;; amdgpu-corpus repo=pytorch/pytorch kind=compiled arch=gfx1100 opt=O3
	.text
	.amdgcn_target "amdgcn-amd-amdhsa--gfx1100"
	.amdhsa_code_object_version 6
	.section	.text._ZN2at6native12_GLOBAL__N_143distribution_elementwise_grid_stride_kernelImLi2EZZZNS0_9templates4cuda21random_from_to_kernelIPNS_17CUDAGeneratorImplEEEvRNS_18TensorIteratorBaseEmlT_ENKUlvE_clEvENKUlvE_clEvEUlP25hiprandStatePhilox4_32_10E_ZNS1_27distribution_nullary_kernelIhm15HIP_vector_typeIyLj2EES7_SF_ZZZNS5_IS7_EEvS9_mlSA_ENKSB_clEvENKSC_clEvEUlmE_EEvS9_T2_RKT3_T4_EUlimE_EEvlNS_15PhiloxCudaStateET1_SK_,"axG",@progbits,_ZN2at6native12_GLOBAL__N_143distribution_elementwise_grid_stride_kernelImLi2EZZZNS0_9templates4cuda21random_from_to_kernelIPNS_17CUDAGeneratorImplEEEvRNS_18TensorIteratorBaseEmlT_ENKUlvE_clEvENKUlvE_clEvEUlP25hiprandStatePhilox4_32_10E_ZNS1_27distribution_nullary_kernelIhm15HIP_vector_typeIyLj2EES7_SF_ZZZNS5_IS7_EEvS9_mlSA_ENKSB_clEvENKSC_clEvEUlmE_EEvS9_T2_RKT3_T4_EUlimE_EEvlNS_15PhiloxCudaStateET1_SK_,comdat
	.globl	_ZN2at6native12_GLOBAL__N_143distribution_elementwise_grid_stride_kernelImLi2EZZZNS0_9templates4cuda21random_from_to_kernelIPNS_17CUDAGeneratorImplEEEvRNS_18TensorIteratorBaseEmlT_ENKUlvE_clEvENKUlvE_clEvEUlP25hiprandStatePhilox4_32_10E_ZNS1_27distribution_nullary_kernelIhm15HIP_vector_typeIyLj2EES7_SF_ZZZNS5_IS7_EEvS9_mlSA_ENKSB_clEvENKSC_clEvEUlmE_EEvS9_T2_RKT3_T4_EUlimE_EEvlNS_15PhiloxCudaStateET1_SK_ ; -- Begin function _ZN2at6native12_GLOBAL__N_143distribution_elementwise_grid_stride_kernelImLi2EZZZNS0_9templates4cuda21random_from_to_kernelIPNS_17CUDAGeneratorImplEEEvRNS_18TensorIteratorBaseEmlT_ENKUlvE_clEvENKUlvE_clEvEUlP25hiprandStatePhilox4_32_10E_ZNS1_27distribution_nullary_kernelIhm15HIP_vector_typeIyLj2EES7_SF_ZZZNS5_IS7_EEvS9_mlSA_ENKSB_clEvENKSC_clEvEUlmE_EEvS9_T2_RKT3_T4_EUlimE_EEvlNS_15PhiloxCudaStateET1_SK_
	.p2align	8
	.type	_ZN2at6native12_GLOBAL__N_143distribution_elementwise_grid_stride_kernelImLi2EZZZNS0_9templates4cuda21random_from_to_kernelIPNS_17CUDAGeneratorImplEEEvRNS_18TensorIteratorBaseEmlT_ENKUlvE_clEvENKUlvE_clEvEUlP25hiprandStatePhilox4_32_10E_ZNS1_27distribution_nullary_kernelIhm15HIP_vector_typeIyLj2EES7_SF_ZZZNS5_IS7_EEvS9_mlSA_ENKSB_clEvENKSC_clEvEUlmE_EEvS9_T2_RKT3_T4_EUlimE_EEvlNS_15PhiloxCudaStateET1_SK_,@function
_ZN2at6native12_GLOBAL__N_143distribution_elementwise_grid_stride_kernelImLi2EZZZNS0_9templates4cuda21random_from_to_kernelIPNS_17CUDAGeneratorImplEEEvRNS_18TensorIteratorBaseEmlT_ENKUlvE_clEvENKUlvE_clEvEUlP25hiprandStatePhilox4_32_10E_ZNS1_27distribution_nullary_kernelIhm15HIP_vector_typeIyLj2EES7_SF_ZZZNS5_IS7_EEvS9_mlSA_ENKSB_clEvENKSC_clEvEUlmE_EEvS9_T2_RKT3_T4_EUlimE_EEvlNS_15PhiloxCudaStateET1_SK_: ; @_ZN2at6native12_GLOBAL__N_143distribution_elementwise_grid_stride_kernelImLi2EZZZNS0_9templates4cuda21random_from_to_kernelIPNS_17CUDAGeneratorImplEEEvRNS_18TensorIteratorBaseEmlT_ENKUlvE_clEvENKUlvE_clEvEUlP25hiprandStatePhilox4_32_10E_ZNS1_27distribution_nullary_kernelIhm15HIP_vector_typeIyLj2EES7_SF_ZZZNS5_IS7_EEvS9_mlSA_ENKSB_clEvENKSC_clEvEUlmE_EEvS9_T2_RKT3_T4_EUlimE_EEvlNS_15PhiloxCudaStateET1_SK_
; %bb.0:
	s_clause 0x2
	s_load_b64 s[8:9], s[0:1], 0x10
	s_load_b128 s[4:7], s[0:1], 0x0
	s_load_b32 s2, s[0:1], 0x20
	s_waitcnt lgkmcnt(0)
	v_dual_mov_b32 v2, s8 :: v_dual_mov_b32 v3, s9
	v_dual_mov_b32 v12, s7 :: v_dual_mov_b32 v11, s6
	s_bitcmp0_b32 s2, 0
	s_mov_b32 s2, 0
	s_cbranch_scc1 .LBB0_2
; %bb.1:
	v_dual_mov_b32 v1, s8 :: v_dual_mov_b32 v2, s9
	v_dual_mov_b32 v4, s6 :: v_dual_mov_b32 v5, s7
	s_load_b64 s[6:7], s[0:1], 0x18
	flat_load_b64 v[2:3], v[1:2]
	flat_load_b64 v[11:12], v[4:5]
	s_waitcnt vmcnt(1) lgkmcnt(0)
	v_add_co_u32 v2, vcc_lo, v2, s6
	v_add_co_ci_u32_e32 v3, vcc_lo, s7, v3, vcc_lo
.LBB0_2:
	s_clause 0x1
	s_load_b32 s3, s[0:1], 0x5c
	s_load_b32 s16, s[0:1], 0x50
	s_waitcnt lgkmcnt(0)
	s_and_b32 s14, s3, 0xffff
	s_add_u32 s6, s4, -1
	s_mul_i32 s12, s16, s14
	s_addc_u32 s3, s5, -1
	s_lshl_b32 s13, s12, 1
	s_cmp_lg_u64 s[2:3], 0
	s_cbranch_scc0 .LBB0_31
; %bb.3:
	v_cvt_f32_ubyte0_e32 v1, 0
	v_cvt_f32_u32_e32 v4, s13
	s_sub_u32 s8, 0, s13
	s_subb_u32 s9, 0, 0
	s_delay_alu instid0(VALU_DEP_1) | instskip(NEXT) | instid1(VALU_DEP_1)
	v_fmamk_f32 v1, v1, 0x4f800000, v4
	v_rcp_f32_e32 v1, v1
	s_waitcnt_depctr 0xfff
	v_mul_f32_e32 v1, 0x5f7ffffc, v1
	s_delay_alu instid0(VALU_DEP_1) | instskip(NEXT) | instid1(VALU_DEP_1)
	v_mul_f32_e32 v4, 0x2f800000, v1
	v_trunc_f32_e32 v4, v4
	s_delay_alu instid0(VALU_DEP_1) | instskip(SKIP_1) | instid1(VALU_DEP_2)
	v_fmamk_f32 v1, v4, 0xcf800000, v1
	v_cvt_u32_f32_e32 v4, v4
	v_cvt_u32_f32_e32 v1, v1
	s_delay_alu instid0(VALU_DEP_2) | instskip(NEXT) | instid1(VALU_DEP_2)
	v_readfirstlane_b32 s2, v4
	v_readfirstlane_b32 s7, v1
	s_delay_alu instid0(VALU_DEP_2) | instskip(NEXT) | instid1(VALU_DEP_1)
	s_mul_i32 s10, s8, s2
	s_mul_hi_u32 s17, s8, s7
	s_mul_i32 s11, s9, s7
	s_add_i32 s10, s17, s10
	s_mul_i32 s18, s8, s7
	s_add_i32 s10, s10, s11
	s_mul_hi_u32 s17, s7, s18
	s_mul_hi_u32 s19, s2, s18
	s_mul_i32 s11, s2, s18
	s_mul_hi_u32 s18, s7, s10
	s_mul_i32 s7, s7, s10
	s_mul_hi_u32 s20, s2, s10
	s_add_u32 s7, s17, s7
	s_addc_u32 s17, 0, s18
	s_add_u32 s7, s7, s11
	s_mul_i32 s10, s2, s10
	s_addc_u32 s7, s17, s19
	s_addc_u32 s11, s20, 0
	s_add_u32 s7, s7, s10
	s_addc_u32 s10, 0, s11
	v_add_co_u32 v1, s7, v1, s7
	s_delay_alu instid0(VALU_DEP_1) | instskip(SKIP_1) | instid1(VALU_DEP_1)
	s_cmp_lg_u32 s7, 0
	s_addc_u32 s2, s2, s10
	v_readfirstlane_b32 s7, v1
	s_mul_i32 s10, s8, s2
	s_delay_alu instid0(VALU_DEP_1)
	s_mul_hi_u32 s11, s8, s7
	s_mul_i32 s9, s9, s7
	s_add_i32 s10, s11, s10
	s_mul_i32 s8, s8, s7
	s_add_i32 s10, s10, s9
	s_mul_hi_u32 s11, s2, s8
	s_mul_i32 s17, s2, s8
	s_mul_hi_u32 s8, s7, s8
	s_mul_hi_u32 s18, s7, s10
	s_mul_i32 s7, s7, s10
	s_mul_hi_u32 s9, s2, s10
	s_add_u32 s7, s8, s7
	s_addc_u32 s8, 0, s18
	s_add_u32 s7, s7, s17
	s_mul_i32 s10, s2, s10
	s_addc_u32 s7, s8, s11
	s_addc_u32 s8, s9, 0
	s_add_u32 s7, s7, s10
	s_addc_u32 s8, 0, s8
	v_add_co_u32 v1, s7, v1, s7
	s_delay_alu instid0(VALU_DEP_1) | instskip(SKIP_2) | instid1(VALU_DEP_1)
	s_cmp_lg_u32 s7, 0
	s_addc_u32 s7, s2, s8
	s_ashr_i32 s8, s3, 31
	v_readfirstlane_b32 s10, v1
	s_add_u32 s2, s6, s8
	s_mov_b32 s9, s8
	s_addc_u32 s3, s3, s8
	s_delay_alu instid0(SALU_CYCLE_1) | instskip(NEXT) | instid1(SALU_CYCLE_1)
	s_xor_b64 s[2:3], s[2:3], s[8:9]
	s_mul_i32 s17, s2, s7
	s_mul_hi_u32 s18, s2, s10
	s_mul_hi_u32 s11, s2, s7
	;; [unrolled: 1-line block ×3, first 2 shown]
	s_mul_i32 s10, s3, s10
	s_add_u32 s17, s18, s17
	s_addc_u32 s11, 0, s11
	s_mul_hi_u32 s19, s3, s7
	s_add_u32 s10, s17, s10
	s_mul_i32 s7, s3, s7
	s_addc_u32 s10, s11, s20
	s_addc_u32 s11, s19, 0
	s_add_u32 s7, s10, s7
	s_addc_u32 s10, 0, s11
	s_mul_i32 s17, s13, s7
	s_add_u32 s11, s7, 1
	v_sub_co_u32 v1, s2, s2, s17
	s_mul_hi_u32 s17, s13, s7
	s_addc_u32 s18, s10, 0
	s_mul_i32 s19, s13, s10
	s_delay_alu instid0(VALU_DEP_1)
	v_sub_co_u32 v4, s20, v1, s13
	s_add_u32 s21, s7, 2
	s_addc_u32 s22, s10, 0
	s_add_i32 s17, s17, s19
	s_cmp_lg_u32 s2, 0
	v_readfirstlane_b32 s2, v4
	s_subb_u32 s3, s3, s17
	s_cmp_lg_u32 s20, 0
	s_subb_u32 s17, s3, 0
	s_delay_alu instid0(VALU_DEP_1) | instskip(SKIP_4) | instid1(SALU_CYCLE_1)
	s_cmp_ge_u32 s2, s13
	s_cselect_b32 s2, -1, 0
	s_cmp_eq_u32 s17, 0
	v_readfirstlane_b32 s17, v1
	s_cselect_b32 s2, s2, -1
	s_cmp_lg_u32 s2, 0
	s_cselect_b32 s2, s21, s11
	s_cselect_b32 s11, s22, s18
	s_cmp_ge_u32 s17, s13
	s_cselect_b32 s17, -1, 0
	s_cmp_eq_u32 s3, 0
	s_cselect_b32 s3, s17, -1
	s_delay_alu instid0(SALU_CYCLE_1) | instskip(SKIP_2) | instid1(SALU_CYCLE_1)
	s_cmp_lg_u32 s3, 0
	s_cselect_b32 s3, s11, s10
	s_cselect_b32 s2, s2, s7
	s_xor_b64 s[2:3], s[2:3], s[8:9]
	s_delay_alu instid0(SALU_CYCLE_1)
	s_sub_u32 s2, s2, s8
	s_subb_u32 s3, s3, s8
	s_cbranch_execnz .LBB0_5
.LBB0_4:
	v_cvt_f32_u32_e32 v1, s13
	s_sub_i32 s3, 0, s13
	s_delay_alu instid0(VALU_DEP_1) | instskip(SKIP_2) | instid1(VALU_DEP_1)
	v_rcp_iflag_f32_e32 v1, v1
	s_waitcnt_depctr 0xfff
	v_mul_f32_e32 v1, 0x4f7ffffe, v1
	v_cvt_u32_f32_e32 v1, v1
	s_delay_alu instid0(VALU_DEP_1) | instskip(NEXT) | instid1(VALU_DEP_1)
	v_readfirstlane_b32 s2, v1
	s_mul_i32 s3, s3, s2
	s_delay_alu instid0(SALU_CYCLE_1) | instskip(NEXT) | instid1(SALU_CYCLE_1)
	s_mul_hi_u32 s3, s2, s3
	s_add_i32 s2, s2, s3
	s_delay_alu instid0(SALU_CYCLE_1) | instskip(NEXT) | instid1(SALU_CYCLE_1)
	s_mul_hi_u32 s2, s6, s2
	s_mul_i32 s3, s2, s13
	s_delay_alu instid0(SALU_CYCLE_1)
	s_sub_i32 s3, s6, s3
	s_add_i32 s6, s2, 1
	s_sub_i32 s7, s3, s13
	s_cmp_ge_u32 s3, s13
	s_cselect_b32 s2, s6, s2
	s_cselect_b32 s3, s7, s3
	s_add_i32 s6, s2, 1
	s_cmp_ge_u32 s3, s13
	s_mov_b32 s3, 0
	s_cselect_b32 s2, s6, s2
.LBB0_5:
	v_mov_b32_e32 v13, 0
	s_add_u32 s2, s2, 1
	s_addc_u32 s3, s3, 0
	s_mul_hi_u32 s6, s16, s14
	s_mul_hi_u32 s7, s12, s2
	v_mov_b32_e32 v1, v13
	s_mul_i32 s3, s12, s3
	s_mul_i32 s6, s6, s2
	s_add_i32 s3, s7, s3
	s_mul_i32 s2, s12, s2
	v_mad_u64_u32 v[15:16], null, s14, s15, v[0:1]
	s_add_i32 s3, s3, s6
	s_mov_b32 s6, exec_lo
	s_lshl_b64 s[2:3], s[2:3], 1
	s_delay_alu instid0(VALU_DEP_1) | instid1(SALU_CYCLE_1)
	v_cmpx_gt_i64_e64 s[2:3], v[15:16]
	s_cbranch_execz .LBB0_30
; %bb.6:
	v_alignbit_b32 v19, v3, v2, 2
	v_mad_u64_u32 v[6:7], null, 0xcd9e8d57, v15, 0
	v_lshrrev_b32_e32 v20, 2, v3
	s_waitcnt vmcnt(0)
	v_dual_mov_b32 v14, v12 :: v_dual_and_b32 v35, 3, v2
	v_mad_u64_u32 v[4:5], null, 0xd2511f53, v19, 0
	v_add_co_u32 v22, null, 0x9e3779b9, v11
	v_xor3_b32 v3, v11, v7, v20
	s_delay_alu instid0(VALU_DEP_4) | instskip(SKIP_2) | instid1(VALU_DEP_4)
	v_add_co_u32 v21, null, 0xbb67ae85, v14
	v_add_co_u32 v23, null, 0x3c6ef372, v11
	v_xor_b32_e32 v1, v5, v12
	v_mad_u64_u32 v[7:8], null, 0xd2511f53, v3, 0
	v_add_co_u32 v24, null, 0x76cf5d0a, v14
	s_delay_alu instid0(VALU_DEP_3) | instskip(SKIP_2) | instid1(VALU_DEP_3)
	v_xor_b32_e32 v1, v1, v16
	v_add_co_u32 v25, null, 0x32370b8f, v14
	v_add_co_u32 v26, null, 0xdaa66d2b, v11
	v_mad_u64_u32 v[9:10], null, 0xcd9e8d57, v1, 0
	v_xor3_b32 v1, v21, v8, v4
	v_add_co_u32 v27, null, 0x78dde6e4, v11
	v_add_co_u32 v28, null, 0xed9eba14, v14
	s_delay_alu instid0(VALU_DEP_3) | instskip(SKIP_3) | instid1(VALU_DEP_3)
	v_mad_u64_u32 v[3:4], null, 0xcd9e8d57, v1, 0
	v_xor3_b32 v8, v22, v10, v6
	v_add_co_u32 v29, null, 0xa9066899, v14
	v_add_co_u32 v30, null, 0x1715609d, v11
	v_mad_u64_u32 v[5:6], null, 0xd2511f53, v8, 0
	v_xor3_b32 v1, v23, v4, v9
	v_add_co_u32 v31, null, 0xb54cda56, v11
	v_add_co_u32 v32, null, 0x646e171e, v14
	;; [unrolled: 1-line block ×3, first 2 shown]
	v_xor3_b32 v4, v24, v6, v7
	v_mad_u64_u32 v[6:7], null, 0xd2511f53, v1, 0
	v_add_co_u32 v34, null, 0x5384540f, v11
	s_delay_alu instid0(VALU_DEP_3)
	v_mad_u64_u32 v[8:9], null, 0xcd9e8d57, v4, 0
	s_clause 0x2
	s_load_b64 s[6:7], s[0:1], 0x30
	s_load_b32 s17, s[0:1], 0x38
	s_load_b128 s[8:11], s[0:1], 0x40
	v_add_co_u32 v37, null, 0xf1bbcdc8, v11
	v_xor3_b32 v1, v25, v7, v5
	v_add_co_u32 v38, null, 0xdb3d7428, v14
	v_xor3_b32 v5, v26, v9, v3
	v_dual_mov_b32 v40, v15 :: v_dual_add_nc_u32 v39, 0x96a522ad, v12
	s_delay_alu instid0(VALU_DEP_4) | instskip(NEXT) | instid1(VALU_DEP_3)
	v_mad_u64_u32 v[3:4], null, 0xcd9e8d57, v1, 0
	v_mad_u64_u32 v[9:10], null, 0xd2511f53, v5, 0
	v_mov_b32_e32 v43, v16
	s_mov_b32 s1, 0
	s_delay_alu instid0(VALU_DEP_3) | instskip(NEXT) | instid1(VALU_DEP_3)
	v_xor3_b32 v1, v27, v4, v8
	v_xor3_b32 v8, v28, v10, v6
	s_waitcnt lgkmcnt(0)
	s_mul_i32 s0, s16, s17
	s_delay_alu instid0(VALU_DEP_2) | instskip(NEXT) | instid1(VALU_DEP_2)
	v_mad_u64_u32 v[4:5], null, 0xd2511f53, v1, 0
	v_mad_u64_u32 v[6:7], null, 0xcd9e8d57, v8, 0
	s_mul_i32 s0, s0, s14
	s_delay_alu instid0(SALU_CYCLE_1) | instskip(NEXT) | instid1(VALU_DEP_2)
	s_lshl_b32 s11, s0, 1
	v_xor3_b32 v1, v29, v5, v9
	s_delay_alu instid0(VALU_DEP_2) | instskip(NEXT) | instid1(VALU_DEP_2)
	v_xor3_b32 v3, v30, v7, v3
	v_mad_u64_u32 v[7:8], null, 0xcd9e8d57, v1, 0
	s_delay_alu instid0(VALU_DEP_2) | instskip(NEXT) | instid1(VALU_DEP_2)
	v_mad_u64_u32 v[9:10], null, 0xd2511f53, v3, 0
	v_xor3_b32 v1, v31, v8, v6
	s_delay_alu instid0(VALU_DEP_2) | instskip(NEXT) | instid1(VALU_DEP_2)
	v_xor3_b32 v8, v32, v10, v4
	v_mad_u64_u32 v[3:4], null, 0xd2511f53, v1, 0
	s_delay_alu instid0(VALU_DEP_2) | instskip(NEXT) | instid1(VALU_DEP_2)
	v_mad_u64_u32 v[5:6], null, 0xcd9e8d57, v8, 0
	v_xor3_b32 v1, v33, v4, v9
	s_delay_alu instid0(VALU_DEP_2) | instskip(NEXT) | instid1(VALU_DEP_2)
	v_xor3_b32 v2, v34, v6, v7
	v_mad_u64_u32 v[6:7], null, 0xcd9e8d57, v1, 0
	s_delay_alu instid0(VALU_DEP_2) | instskip(SKIP_2) | instid1(VALU_DEP_3)
	v_mad_u64_u32 v[8:9], null, 0xd2511f53, v2, 0
	v_mad_u64_u32 v[17:18], null, s15, s14, v[0:1]
	s_add_i32 s15, s15, s16
	v_xor3_b32 v1, v37, v7, v5
	s_delay_alu instid0(VALU_DEP_3) | instskip(NEXT) | instid1(VALU_DEP_3)
	v_xor3_b32 v7, v38, v9, v3
	v_mul_lo_u32 v41, s17, v17
	s_delay_alu instid0(VALU_DEP_3) | instskip(SKIP_1) | instid1(VALU_DEP_4)
	v_mad_u64_u32 v[3:4], null, s15, s14, v[0:1]
	v_mad_u64_u32 v[4:5], null, 0xd2511f53, v1, 0
	v_mad_u64_u32 v[1:2], null, 0xcd9e8d57, v7, 0
	v_add_nc_u32_e32 v36, 0x8ff34781, v11
	s_mov_b32 s14, 0
	s_delay_alu instid0(VALU_DEP_4) | instskip(NEXT) | instid1(VALU_DEP_4)
	v_mul_lo_u32 v42, s17, v3
	v_mov_b32_e32 v3, v4
	s_delay_alu instid0(VALU_DEP_3)
	v_xor3_b32 v0, v2, v6, v36
	v_xor3_b32 v2, v5, v8, v39
	s_branch .LBB0_9
.LBB0_7:                                ;   in Loop: Header=BB0_9 Depth=1
	s_or_b32 exec_lo, exec_lo, s0
	v_add_nc_u32_e32 v0, s14, v42
	s_delay_alu instid0(VALU_DEP_2) | instskip(NEXT) | instid1(VALU_DEP_2)
	v_add_nc_u32_e32 v2, s10, v7
	v_ashrrev_i32_e32 v1, 31, v0
	v_add_co_u32 v0, vcc_lo, s6, v0
	s_delay_alu instid0(VALU_DEP_2)
	v_add_co_ci_u32_e32 v1, vcc_lo, s7, v1, vcc_lo
	global_store_b8 v[0:1], v2, off
.LBB0_8:                                ;   in Loop: Header=BB0_9 Depth=1
	s_or_b32 exec_lo, exec_lo, s15
	v_add_co_u32 v15, vcc_lo, v15, s13
	v_add_co_ci_u32_e32 v16, vcc_lo, 0, v16, vcc_lo
	v_mov_b32_e32 v7, v17
	v_dual_mov_b32 v0, v4 :: v_dual_mov_b32 v1, v5
	s_delay_alu instid0(VALU_DEP_3) | instskip(NEXT) | instid1(VALU_DEP_3)
	v_cmp_le_i64_e32 vcc_lo, s[2:3], v[15:16]
	v_dual_mov_b32 v2, v6 :: v_dual_mov_b32 v3, v7
	s_add_i32 s14, s14, s11
	s_waitcnt_vscnt null, 0x0
	s_barrier
	s_or_b32 s1, vcc_lo, s1
	buffer_gl0_inv
	s_and_not1_b32 exec_lo, exec_lo, s1
	s_cbranch_execz .LBB0_30
.LBB0_9:                                ; =>This Inner Loop Header: Depth=1
	v_add_co_u32 v19, vcc_lo, v19, 1
	s_delay_alu instid0(VALU_DEP_1) | instskip(SKIP_2) | instid1(VALU_DEP_1)
	v_cndmask_b32_e64 v4, 0, 1, vcc_lo
	v_add_co_ci_u32_e32 v20, vcc_lo, 0, v20, vcc_lo
	s_mov_b32 s0, exec_lo
	v_cmp_eq_u32_e32 vcc_lo, 0, v20
	s_delay_alu instid0(VALU_DEP_3) | instskip(NEXT) | instid1(VALU_DEP_1)
	v_cndmask_b32_e32 v4, 0, v4, vcc_lo
	v_add_nc_u32_e32 v40, v4, v40
	s_delay_alu instid0(VALU_DEP_1) | instskip(SKIP_2) | instid1(VALU_DEP_2)
	v_cmp_eq_u32_e32 vcc_lo, 0, v40
	v_mad_u64_u32 v[6:7], null, 0xcd9e8d57, v40, 0
	v_cndmask_b32_e32 v4, 0, v4, vcc_lo
	v_xor3_b32 v9, v7, v11, v20
	s_delay_alu instid0(VALU_DEP_2) | instskip(SKIP_1) | instid1(VALU_DEP_3)
	v_add_nc_u32_e32 v43, v4, v43
	v_mad_u64_u32 v[4:5], null, 0xd2511f53, v19, 0
	v_mad_u64_u32 v[7:8], null, 0xd2511f53, v9, 0
	s_delay_alu instid0(VALU_DEP_2) | instskip(NEXT) | instid1(VALU_DEP_2)
	v_xor_b32_e32 v5, v5, v12
	v_xor3_b32 v8, v21, v8, v4
	s_delay_alu instid0(VALU_DEP_2) | instskip(NEXT) | instid1(VALU_DEP_1)
	v_xor_b32_e32 v5, v43, v5
	v_mad_u64_u32 v[9:10], null, 0xcd9e8d57, v5, 0
	s_delay_alu instid0(VALU_DEP_3) | instskip(NEXT) | instid1(VALU_DEP_2)
	v_mad_u64_u32 v[4:5], null, 0xcd9e8d57, v8, 0
	v_xor3_b32 v6, v22, v10, v6
	s_delay_alu instid0(VALU_DEP_2) | instskip(NEXT) | instid1(VALU_DEP_2)
	v_xor3_b32 v8, v23, v5, v9
	v_mad_u64_u32 v[17:18], null, 0xd2511f53, v6, 0
	s_delay_alu instid0(VALU_DEP_2) | instskip(NEXT) | instid1(VALU_DEP_2)
	v_mad_u64_u32 v[5:6], null, 0xd2511f53, v8, 0
	v_xor3_b32 v9, v24, v18, v7
	s_delay_alu instid0(VALU_DEP_2) | instskip(NEXT) | instid1(VALU_DEP_2)
	v_xor3_b32 v6, v25, v6, v17
	v_mad_u64_u32 v[7:8], null, 0xcd9e8d57, v9, 0
	s_delay_alu instid0(VALU_DEP_1) | instskip(NEXT) | instid1(VALU_DEP_3)
	v_xor3_b32 v4, v26, v8, v4
	v_mad_u64_u32 v[8:9], null, 0xcd9e8d57, v6, 0
	s_delay_alu instid0(VALU_DEP_2) | instskip(NEXT) | instid1(VALU_DEP_2)
	v_mad_u64_u32 v[17:18], null, 0xd2511f53, v4, 0
	v_xor3_b32 v6, v27, v9, v7
	s_delay_alu instid0(VALU_DEP_2) | instskip(NEXT) | instid1(VALU_DEP_2)
	v_xor3_b32 v9, v28, v18, v5
	v_mad_u64_u32 v[4:5], null, 0xd2511f53, v6, 0
	s_delay_alu instid0(VALU_DEP_2) | instskip(NEXT) | instid1(VALU_DEP_2)
	v_mad_u64_u32 v[6:7], null, 0xcd9e8d57, v9, 0
	v_xor3_b32 v5, v29, v5, v17
	s_delay_alu instid0(VALU_DEP_2) | instskip(NEXT) | instid1(VALU_DEP_2)
	;; [unrolled: 6-line block ×6, first 2 shown]
	v_xor3_b32 v4, v6, v7, v36
	v_mov_b32_e32 v6, v10
	v_cmpx_lt_i32_e32 1, v35
	s_xor_b32 s0, exec_lo, s0
	s_cbranch_execnz .LBB0_12
; %bb.10:                               ;   in Loop: Header=BB0_9 Depth=1
	s_and_not1_saveexec_b32 s0, s0
	s_cbranch_execnz .LBB0_17
.LBB0_11:                               ;   in Loop: Header=BB0_9 Depth=1
	s_or_b32 exec_lo, exec_lo, s0
	s_delay_alu instid0(SALU_CYCLE_1)
	s_mov_b32 s15, exec_lo
	v_cmpx_gt_i64_e64 s[4:5], v[15:16]
	s_cbranch_execnz .LBB0_20
	s_branch .LBB0_25
.LBB0_12:                               ;   in Loop: Header=BB0_9 Depth=1
	s_mov_b32 s15, exec_lo
	v_cmpx_lt_i32_e32 2, v35
	s_xor_b32 s15, exec_lo, s15
; %bb.13:                               ;   in Loop: Header=BB0_9 Depth=1
	v_dual_mov_b32 v7, v3 :: v_dual_mov_b32 v8, v4
	v_mov_b32_e32 v9, v5
	s_delay_alu instid0(VALU_DEP_2) | instskip(NEXT) | instid1(VALU_DEP_2)
	v_dual_mov_b32 v0, v7 :: v_dual_mov_b32 v1, v8
	v_dual_mov_b32 v2, v9 :: v_dual_mov_b32 v3, v10
; %bb.14:                               ;   in Loop: Header=BB0_9 Depth=1
	s_and_not1_saveexec_b32 s15, s15
; %bb.15:                               ;   in Loop: Header=BB0_9 Depth=1
	s_delay_alu instid0(VALU_DEP_1)
	v_dual_mov_b32 v0, v2 :: v_dual_mov_b32 v1, v3
	v_dual_mov_b32 v2, v4 :: v_dual_mov_b32 v3, v5
; %bb.16:                               ;   in Loop: Header=BB0_9 Depth=1
	s_or_b32 exec_lo, exec_lo, s15
	s_and_not1_saveexec_b32 s0, s0
	s_cbranch_execz .LBB0_11
.LBB0_17:                               ;   in Loop: Header=BB0_9 Depth=1
	s_mov_b32 s15, exec_lo
	v_cmpx_eq_u32_e32 1, v35
; %bb.18:                               ;   in Loop: Header=BB0_9 Depth=1
	v_dual_mov_b32 v0, v1 :: v_dual_mov_b32 v1, v2
	v_dual_mov_b32 v2, v3 :: v_dual_mov_b32 v3, v4
; %bb.19:                               ;   in Loop: Header=BB0_9 Depth=1
	s_or_b32 exec_lo, exec_lo, s15
	s_delay_alu instid0(SALU_CYCLE_1) | instskip(NEXT) | instid1(SALU_CYCLE_1)
	s_or_b32 exec_lo, exec_lo, s0
	s_mov_b32 s15, exec_lo
	v_cmpx_gt_i64_e64 s[4:5], v[15:16]
	s_cbranch_execz .LBB0_25
.LBB0_20:                               ;   in Loop: Header=BB0_9 Depth=1
	v_or_b32_e32 v14, s9, v0
                                        ; implicit-def: $vgpr7_vgpr8
	s_mov_b32 s0, exec_lo
	s_delay_alu instid0(VALU_DEP_1)
	v_cmpx_ne_u64_e32 0, v[13:14]
	s_xor_b32 s16, exec_lo, s0
	s_cbranch_execz .LBB0_22
; %bb.21:                               ;   in Loop: Header=BB0_9 Depth=1
	v_cvt_f32_u32_e32 v7, s8
	v_cvt_f32_u32_e32 v8, s9
	s_sub_u32 s0, 0, s8
	s_subb_u32 s17, 0, s9
	s_delay_alu instid0(VALU_DEP_1) | instskip(NEXT) | instid1(VALU_DEP_1)
	v_fmac_f32_e32 v7, 0x4f800000, v8
	v_rcp_f32_e32 v7, v7
	s_waitcnt_depctr 0xfff
	v_mul_f32_e32 v7, 0x5f7ffffc, v7
	s_delay_alu instid0(VALU_DEP_1) | instskip(NEXT) | instid1(VALU_DEP_1)
	v_mul_f32_e32 v8, 0x2f800000, v7
	v_trunc_f32_e32 v8, v8
	s_delay_alu instid0(VALU_DEP_1) | instskip(SKIP_1) | instid1(VALU_DEP_2)
	v_fmac_f32_e32 v7, 0xcf800000, v8
	v_cvt_u32_f32_e32 v8, v8
	v_cvt_u32_f32_e32 v7, v7
	s_delay_alu instid0(VALU_DEP_2) | instskip(NEXT) | instid1(VALU_DEP_2)
	v_mul_lo_u32 v9, s0, v8
	v_mul_hi_u32 v10, s0, v7
	v_mul_lo_u32 v14, s17, v7
	s_delay_alu instid0(VALU_DEP_2) | instskip(SKIP_1) | instid1(VALU_DEP_2)
	v_add_nc_u32_e32 v9, v10, v9
	v_mul_lo_u32 v10, s0, v7
	v_add_nc_u32_e32 v9, v9, v14
	s_delay_alu instid0(VALU_DEP_2) | instskip(NEXT) | instid1(VALU_DEP_2)
	v_mul_hi_u32 v14, v7, v10
	v_mul_lo_u32 v18, v7, v9
	v_mul_hi_u32 v44, v7, v9
	v_mul_hi_u32 v45, v8, v10
	v_mul_lo_u32 v10, v8, v10
	v_mul_hi_u32 v46, v8, v9
	v_mul_lo_u32 v9, v8, v9
	v_add_co_u32 v14, vcc_lo, v14, v18
	v_add_co_ci_u32_e32 v18, vcc_lo, 0, v44, vcc_lo
	s_delay_alu instid0(VALU_DEP_2) | instskip(NEXT) | instid1(VALU_DEP_2)
	v_add_co_u32 v10, vcc_lo, v14, v10
	v_add_co_ci_u32_e32 v10, vcc_lo, v18, v45, vcc_lo
	v_add_co_ci_u32_e32 v14, vcc_lo, 0, v46, vcc_lo
	s_delay_alu instid0(VALU_DEP_2) | instskip(NEXT) | instid1(VALU_DEP_2)
	v_add_co_u32 v9, vcc_lo, v10, v9
	v_add_co_ci_u32_e32 v10, vcc_lo, 0, v14, vcc_lo
	s_delay_alu instid0(VALU_DEP_2) | instskip(NEXT) | instid1(VALU_DEP_2)
	v_add_co_u32 v7, vcc_lo, v7, v9
	v_add_co_ci_u32_e32 v8, vcc_lo, v8, v10, vcc_lo
	s_delay_alu instid0(VALU_DEP_2) | instskip(SKIP_1) | instid1(VALU_DEP_3)
	v_mul_hi_u32 v9, s0, v7
	v_mul_lo_u32 v14, s17, v7
	v_mul_lo_u32 v10, s0, v8
	s_delay_alu instid0(VALU_DEP_1) | instskip(SKIP_1) | instid1(VALU_DEP_2)
	v_add_nc_u32_e32 v9, v9, v10
	v_mul_lo_u32 v10, s0, v7
	v_add_nc_u32_e32 v9, v9, v14
	s_delay_alu instid0(VALU_DEP_2) | instskip(NEXT) | instid1(VALU_DEP_2)
	v_mul_hi_u32 v14, v7, v10
	v_mul_lo_u32 v18, v7, v9
	v_mul_hi_u32 v44, v7, v9
	v_mul_hi_u32 v45, v8, v10
	v_mul_lo_u32 v10, v8, v10
	v_mul_hi_u32 v46, v8, v9
	v_mul_lo_u32 v9, v8, v9
	v_add_co_u32 v14, vcc_lo, v14, v18
	v_add_co_ci_u32_e32 v18, vcc_lo, 0, v44, vcc_lo
	s_delay_alu instid0(VALU_DEP_2) | instskip(NEXT) | instid1(VALU_DEP_2)
	v_add_co_u32 v10, vcc_lo, v14, v10
	v_add_co_ci_u32_e32 v10, vcc_lo, v18, v45, vcc_lo
	v_add_co_ci_u32_e32 v14, vcc_lo, 0, v46, vcc_lo
	s_delay_alu instid0(VALU_DEP_2) | instskip(NEXT) | instid1(VALU_DEP_2)
	v_add_co_u32 v9, vcc_lo, v10, v9
	v_add_co_ci_u32_e32 v10, vcc_lo, 0, v14, vcc_lo
	s_delay_alu instid0(VALU_DEP_2) | instskip(NEXT) | instid1(VALU_DEP_2)
	v_add_co_u32 v14, vcc_lo, v7, v9
	v_add_co_ci_u32_e32 v18, vcc_lo, v8, v10, vcc_lo
	s_delay_alu instid0(VALU_DEP_2) | instskip(SKIP_1) | instid1(VALU_DEP_3)
	v_mul_hi_u32 v46, v1, v14
	v_mad_u64_u32 v[9:10], null, v0, v14, 0
	v_mad_u64_u32 v[7:8], null, v1, v18, 0
	;; [unrolled: 1-line block ×3, first 2 shown]
	s_delay_alu instid0(VALU_DEP_2) | instskip(NEXT) | instid1(VALU_DEP_3)
	v_add_co_u32 v7, vcc_lo, v46, v7
	v_add_co_ci_u32_e32 v8, vcc_lo, 0, v8, vcc_lo
	s_delay_alu instid0(VALU_DEP_2) | instskip(NEXT) | instid1(VALU_DEP_2)
	v_add_co_u32 v7, vcc_lo, v7, v9
	v_add_co_ci_u32_e32 v7, vcc_lo, v8, v10, vcc_lo
	v_add_co_ci_u32_e32 v8, vcc_lo, 0, v45, vcc_lo
	s_delay_alu instid0(VALU_DEP_2) | instskip(NEXT) | instid1(VALU_DEP_2)
	v_add_co_u32 v9, vcc_lo, v7, v44
	v_add_co_ci_u32_e32 v10, vcc_lo, 0, v8, vcc_lo
	s_delay_alu instid0(VALU_DEP_2) | instskip(SKIP_1) | instid1(VALU_DEP_3)
	v_mul_lo_u32 v14, s9, v9
	v_mad_u64_u32 v[7:8], null, s8, v9, 0
	v_mul_lo_u32 v9, s8, v10
	s_delay_alu instid0(VALU_DEP_2) | instskip(NEXT) | instid1(VALU_DEP_2)
	v_sub_co_u32 v7, vcc_lo, v1, v7
	v_add3_u32 v8, v8, v9, v14
	s_delay_alu instid0(VALU_DEP_1) | instskip(NEXT) | instid1(VALU_DEP_1)
	v_sub_nc_u32_e32 v9, v0, v8
	v_subrev_co_ci_u32_e64 v9, s0, s9, v9, vcc_lo
	s_delay_alu instid0(VALU_DEP_4) | instskip(SKIP_1) | instid1(VALU_DEP_3)
	v_sub_co_u32 v10, s0, v7, s8
	v_sub_co_ci_u32_e32 v0, vcc_lo, v0, v8, vcc_lo
	v_subrev_co_ci_u32_e64 v9, s0, 0, v9, s0
	s_delay_alu instid0(VALU_DEP_3) | instskip(SKIP_1) | instid1(VALU_DEP_3)
	v_cmp_le_u32_e32 vcc_lo, s8, v10
	v_cndmask_b32_e64 v8, 0, -1, vcc_lo
	v_cmp_le_u32_e32 vcc_lo, s9, v9
	v_cndmask_b32_e64 v14, 0, -1, vcc_lo
	;; [unrolled: 2-line block ×4, first 2 shown]
	v_cmp_eq_u32_e32 vcc_lo, s9, v9
	v_cndmask_b32_e32 v8, v14, v8, vcc_lo
	v_sub_co_u32 v9, vcc_lo, v10, s8
	v_cmp_eq_u32_e32 vcc_lo, s9, v0
	v_cndmask_b32_e32 v0, v44, v18, vcc_lo
	s_delay_alu instid0(VALU_DEP_4) | instskip(NEXT) | instid1(VALU_DEP_4)
	v_cmp_ne_u32_e32 vcc_lo, 0, v8
	v_cndmask_b32_e32 v8, v10, v9, vcc_lo
	s_delay_alu instid0(VALU_DEP_3) | instskip(NEXT) | instid1(VALU_DEP_2)
	v_cmp_ne_u32_e32 vcc_lo, 0, v0
	v_cndmask_b32_e32 v7, v7, v8, vcc_lo
.LBB0_22:                               ;   in Loop: Header=BB0_9 Depth=1
	s_and_not1_saveexec_b32 s0, s16
	s_cbranch_execz .LBB0_24
; %bb.23:                               ;   in Loop: Header=BB0_9 Depth=1
	v_cvt_f32_u32_e32 v0, s8
	s_sub_i32 s16, 0, s8
	s_delay_alu instid0(VALU_DEP_1) | instskip(SKIP_2) | instid1(VALU_DEP_1)
	v_rcp_iflag_f32_e32 v0, v0
	s_waitcnt_depctr 0xfff
	v_mul_f32_e32 v0, 0x4f7ffffe, v0
	v_cvt_u32_f32_e32 v0, v0
	s_delay_alu instid0(VALU_DEP_1) | instskip(NEXT) | instid1(VALU_DEP_1)
	v_mul_lo_u32 v7, s16, v0
	v_mul_hi_u32 v7, v0, v7
	s_delay_alu instid0(VALU_DEP_1) | instskip(NEXT) | instid1(VALU_DEP_1)
	v_add_nc_u32_e32 v0, v0, v7
	v_mul_hi_u32 v0, v1, v0
	s_delay_alu instid0(VALU_DEP_1) | instskip(NEXT) | instid1(VALU_DEP_1)
	v_mul_lo_u32 v0, v0, s8
	v_sub_nc_u32_e32 v0, v1, v0
	s_delay_alu instid0(VALU_DEP_1) | instskip(SKIP_1) | instid1(VALU_DEP_2)
	v_subrev_nc_u32_e32 v1, s8, v0
	v_cmp_le_u32_e32 vcc_lo, s8, v0
	v_cndmask_b32_e32 v0, v0, v1, vcc_lo
	s_delay_alu instid0(VALU_DEP_1) | instskip(SKIP_1) | instid1(VALU_DEP_2)
	v_subrev_nc_u32_e32 v1, s8, v0
	v_cmp_le_u32_e32 vcc_lo, s8, v0
	v_cndmask_b32_e32 v7, v0, v1, vcc_lo
.LBB0_24:                               ;   in Loop: Header=BB0_9 Depth=1
	s_or_b32 exec_lo, exec_lo, s0
	v_add_nc_u32_e32 v0, s14, v41
	s_delay_alu instid0(VALU_DEP_2) | instskip(NEXT) | instid1(VALU_DEP_2)
	v_add_nc_u32_e32 v7, s10, v7
	v_ashrrev_i32_e32 v1, 31, v0
	v_add_co_u32 v0, vcc_lo, s6, v0
	s_delay_alu instid0(VALU_DEP_2)
	v_add_co_ci_u32_e32 v1, vcc_lo, s7, v1, vcc_lo
	global_store_b8 v[0:1], v7, off
.LBB0_25:                               ;   in Loop: Header=BB0_9 Depth=1
	s_or_b32 exec_lo, exec_lo, s15
	v_add_co_u32 v0, vcc_lo, s12, v15
	v_add_co_ci_u32_e32 v1, vcc_lo, 0, v16, vcc_lo
	s_mov_b32 s15, exec_lo
	s_delay_alu instid0(VALU_DEP_1)
	v_cmpx_gt_i64_e64 s[4:5], v[0:1]
	s_cbranch_execz .LBB0_8
; %bb.26:                               ;   in Loop: Header=BB0_9 Depth=1
	v_or_b32_e32 v14, s9, v2
                                        ; implicit-def: $vgpr7_vgpr8
	s_mov_b32 s0, exec_lo
	s_delay_alu instid0(VALU_DEP_1)
	v_cmpx_ne_u64_e32 0, v[13:14]
	s_xor_b32 s16, exec_lo, s0
	s_cbranch_execz .LBB0_28
; %bb.27:                               ;   in Loop: Header=BB0_9 Depth=1
	v_cvt_f32_u32_e32 v0, s8
	v_cvt_f32_u32_e32 v1, s9
	s_sub_u32 s0, 0, s8
	s_subb_u32 s17, 0, s9
	s_delay_alu instid0(VALU_DEP_1) | instskip(NEXT) | instid1(VALU_DEP_1)
	v_fmac_f32_e32 v0, 0x4f800000, v1
	v_rcp_f32_e32 v0, v0
	s_waitcnt_depctr 0xfff
	v_mul_f32_e32 v0, 0x5f7ffffc, v0
	s_delay_alu instid0(VALU_DEP_1) | instskip(NEXT) | instid1(VALU_DEP_1)
	v_mul_f32_e32 v1, 0x2f800000, v0
	v_trunc_f32_e32 v1, v1
	s_delay_alu instid0(VALU_DEP_1) | instskip(SKIP_1) | instid1(VALU_DEP_2)
	v_fmac_f32_e32 v0, 0xcf800000, v1
	v_cvt_u32_f32_e32 v1, v1
	v_cvt_u32_f32_e32 v0, v0
	s_delay_alu instid0(VALU_DEP_2) | instskip(NEXT) | instid1(VALU_DEP_2)
	v_mul_lo_u32 v7, s0, v1
	v_mul_hi_u32 v8, s0, v0
	v_mul_lo_u32 v9, s17, v0
	s_delay_alu instid0(VALU_DEP_2) | instskip(SKIP_1) | instid1(VALU_DEP_2)
	v_add_nc_u32_e32 v7, v8, v7
	v_mul_lo_u32 v8, s0, v0
	v_add_nc_u32_e32 v7, v7, v9
	s_delay_alu instid0(VALU_DEP_2) | instskip(NEXT) | instid1(VALU_DEP_2)
	v_mul_hi_u32 v9, v0, v8
	v_mul_lo_u32 v10, v0, v7
	v_mul_hi_u32 v14, v0, v7
	v_mul_hi_u32 v18, v1, v8
	v_mul_lo_u32 v8, v1, v8
	v_mul_hi_u32 v44, v1, v7
	v_mul_lo_u32 v7, v1, v7
	v_add_co_u32 v9, vcc_lo, v9, v10
	v_add_co_ci_u32_e32 v10, vcc_lo, 0, v14, vcc_lo
	s_delay_alu instid0(VALU_DEP_2) | instskip(NEXT) | instid1(VALU_DEP_2)
	v_add_co_u32 v8, vcc_lo, v9, v8
	v_add_co_ci_u32_e32 v8, vcc_lo, v10, v18, vcc_lo
	v_add_co_ci_u32_e32 v9, vcc_lo, 0, v44, vcc_lo
	s_delay_alu instid0(VALU_DEP_2) | instskip(NEXT) | instid1(VALU_DEP_2)
	v_add_co_u32 v7, vcc_lo, v8, v7
	v_add_co_ci_u32_e32 v8, vcc_lo, 0, v9, vcc_lo
	s_delay_alu instid0(VALU_DEP_2) | instskip(NEXT) | instid1(VALU_DEP_2)
	v_add_co_u32 v0, vcc_lo, v0, v7
	v_add_co_ci_u32_e32 v1, vcc_lo, v1, v8, vcc_lo
	s_delay_alu instid0(VALU_DEP_2) | instskip(SKIP_1) | instid1(VALU_DEP_3)
	v_mul_hi_u32 v7, s0, v0
	v_mul_lo_u32 v9, s17, v0
	v_mul_lo_u32 v8, s0, v1
	s_delay_alu instid0(VALU_DEP_1) | instskip(SKIP_1) | instid1(VALU_DEP_2)
	v_add_nc_u32_e32 v7, v7, v8
	v_mul_lo_u32 v8, s0, v0
	v_add_nc_u32_e32 v7, v7, v9
	s_delay_alu instid0(VALU_DEP_2) | instskip(NEXT) | instid1(VALU_DEP_2)
	v_mul_hi_u32 v9, v0, v8
	v_mul_lo_u32 v10, v0, v7
	v_mul_hi_u32 v14, v0, v7
	v_mul_hi_u32 v18, v1, v8
	v_mul_lo_u32 v8, v1, v8
	v_mul_hi_u32 v44, v1, v7
	v_mul_lo_u32 v7, v1, v7
	v_add_co_u32 v9, vcc_lo, v9, v10
	v_add_co_ci_u32_e32 v10, vcc_lo, 0, v14, vcc_lo
	s_delay_alu instid0(VALU_DEP_2) | instskip(NEXT) | instid1(VALU_DEP_2)
	v_add_co_u32 v8, vcc_lo, v9, v8
	v_add_co_ci_u32_e32 v8, vcc_lo, v10, v18, vcc_lo
	v_add_co_ci_u32_e32 v9, vcc_lo, 0, v44, vcc_lo
	s_delay_alu instid0(VALU_DEP_2) | instskip(NEXT) | instid1(VALU_DEP_2)
	v_add_co_u32 v7, vcc_lo, v8, v7
	v_add_co_ci_u32_e32 v8, vcc_lo, 0, v9, vcc_lo
	s_delay_alu instid0(VALU_DEP_2) | instskip(NEXT) | instid1(VALU_DEP_2)
	v_add_co_u32 v9, vcc_lo, v0, v7
	v_add_co_ci_u32_e32 v14, vcc_lo, v1, v8, vcc_lo
	s_delay_alu instid0(VALU_DEP_2) | instskip(SKIP_1) | instid1(VALU_DEP_3)
	v_mul_hi_u32 v18, v3, v9
	v_mad_u64_u32 v[7:8], null, v2, v9, 0
	v_mad_u64_u32 v[0:1], null, v3, v14, 0
	;; [unrolled: 1-line block ×3, first 2 shown]
	s_delay_alu instid0(VALU_DEP_2) | instskip(NEXT) | instid1(VALU_DEP_3)
	v_add_co_u32 v0, vcc_lo, v18, v0
	v_add_co_ci_u32_e32 v1, vcc_lo, 0, v1, vcc_lo
	s_delay_alu instid0(VALU_DEP_2) | instskip(NEXT) | instid1(VALU_DEP_2)
	v_add_co_u32 v0, vcc_lo, v0, v7
	v_add_co_ci_u32_e32 v0, vcc_lo, v1, v8, vcc_lo
	v_add_co_ci_u32_e32 v1, vcc_lo, 0, v10, vcc_lo
	s_delay_alu instid0(VALU_DEP_2) | instskip(NEXT) | instid1(VALU_DEP_2)
	v_add_co_u32 v7, vcc_lo, v0, v9
	v_add_co_ci_u32_e32 v8, vcc_lo, 0, v1, vcc_lo
	s_delay_alu instid0(VALU_DEP_2) | instskip(SKIP_1) | instid1(VALU_DEP_3)
	v_mul_lo_u32 v9, s9, v7
	v_mad_u64_u32 v[0:1], null, s8, v7, 0
	v_mul_lo_u32 v7, s8, v8
	s_delay_alu instid0(VALU_DEP_2) | instskip(NEXT) | instid1(VALU_DEP_2)
	v_sub_co_u32 v0, vcc_lo, v3, v0
	v_add3_u32 v1, v1, v7, v9
	s_delay_alu instid0(VALU_DEP_1) | instskip(NEXT) | instid1(VALU_DEP_1)
	v_sub_nc_u32_e32 v7, v2, v1
	v_subrev_co_ci_u32_e64 v3, s0, s9, v7, vcc_lo
	s_delay_alu instid0(VALU_DEP_4) | instskip(SKIP_1) | instid1(VALU_DEP_3)
	v_sub_co_u32 v7, s0, v0, s8
	v_sub_co_ci_u32_e32 v1, vcc_lo, v2, v1, vcc_lo
	v_subrev_co_ci_u32_e64 v3, s0, 0, v3, s0
	s_delay_alu instid0(VALU_DEP_3) | instskip(SKIP_1) | instid1(VALU_DEP_3)
	v_cmp_le_u32_e32 vcc_lo, s8, v7
	v_cndmask_b32_e64 v2, 0, -1, vcc_lo
	v_cmp_le_u32_e32 vcc_lo, s9, v3
	v_cndmask_b32_e64 v8, 0, -1, vcc_lo
	;; [unrolled: 2-line block ×4, first 2 shown]
	v_cmp_eq_u32_e32 vcc_lo, s9, v3
	v_cndmask_b32_e32 v2, v8, v2, vcc_lo
	v_sub_co_u32 v3, vcc_lo, v7, s8
	v_cmp_eq_u32_e32 vcc_lo, s9, v1
	v_cndmask_b32_e32 v1, v10, v9, vcc_lo
	s_delay_alu instid0(VALU_DEP_4) | instskip(NEXT) | instid1(VALU_DEP_4)
	v_cmp_ne_u32_e32 vcc_lo, 0, v2
	v_cndmask_b32_e32 v2, v7, v3, vcc_lo
	s_delay_alu instid0(VALU_DEP_3) | instskip(NEXT) | instid1(VALU_DEP_2)
	v_cmp_ne_u32_e32 vcc_lo, 0, v1
	v_cndmask_b32_e32 v7, v0, v2, vcc_lo
                                        ; implicit-def: $vgpr0_vgpr1_vgpr2_vgpr3
.LBB0_28:                               ;   in Loop: Header=BB0_9 Depth=1
	s_and_not1_saveexec_b32 s0, s16
	s_cbranch_execz .LBB0_7
; %bb.29:                               ;   in Loop: Header=BB0_9 Depth=1
	v_cvt_f32_u32_e32 v0, s8
	s_sub_i32 s16, 0, s8
	s_delay_alu instid0(VALU_DEP_1) | instskip(SKIP_2) | instid1(VALU_DEP_1)
	v_rcp_iflag_f32_e32 v0, v0
	s_waitcnt_depctr 0xfff
	v_mul_f32_e32 v0, 0x4f7ffffe, v0
	v_cvt_u32_f32_e32 v0, v0
	s_delay_alu instid0(VALU_DEP_1) | instskip(NEXT) | instid1(VALU_DEP_1)
	v_mul_lo_u32 v1, s16, v0
	v_mul_hi_u32 v1, v0, v1
	s_delay_alu instid0(VALU_DEP_1) | instskip(NEXT) | instid1(VALU_DEP_1)
	v_add_nc_u32_e32 v0, v0, v1
	v_mul_hi_u32 v0, v3, v0
	s_delay_alu instid0(VALU_DEP_1) | instskip(NEXT) | instid1(VALU_DEP_1)
	v_mul_lo_u32 v0, v0, s8
	v_sub_nc_u32_e32 v0, v3, v0
	s_delay_alu instid0(VALU_DEP_1) | instskip(SKIP_1) | instid1(VALU_DEP_2)
	v_subrev_nc_u32_e32 v1, s8, v0
	v_cmp_le_u32_e32 vcc_lo, s8, v0
	v_cndmask_b32_e32 v0, v0, v1, vcc_lo
	s_delay_alu instid0(VALU_DEP_1) | instskip(SKIP_1) | instid1(VALU_DEP_2)
	v_subrev_nc_u32_e32 v1, s8, v0
	v_cmp_le_u32_e32 vcc_lo, s8, v0
	v_cndmask_b32_e32 v7, v0, v1, vcc_lo
	s_branch .LBB0_7
.LBB0_30:
	s_endpgm
.LBB0_31:
                                        ; implicit-def: $sgpr2_sgpr3
	s_branch .LBB0_4
	.section	.rodata,"a",@progbits
	.p2align	6, 0x0
	.amdhsa_kernel _ZN2at6native12_GLOBAL__N_143distribution_elementwise_grid_stride_kernelImLi2EZZZNS0_9templates4cuda21random_from_to_kernelIPNS_17CUDAGeneratorImplEEEvRNS_18TensorIteratorBaseEmlT_ENKUlvE_clEvENKUlvE_clEvEUlP25hiprandStatePhilox4_32_10E_ZNS1_27distribution_nullary_kernelIhm15HIP_vector_typeIyLj2EES7_SF_ZZZNS5_IS7_EEvS9_mlSA_ENKSB_clEvENKSC_clEvEUlmE_EEvS9_T2_RKT3_T4_EUlimE_EEvlNS_15PhiloxCudaStateET1_SK_
		.amdhsa_group_segment_fixed_size 0
		.amdhsa_private_segment_fixed_size 0
		.amdhsa_kernarg_size 336
		.amdhsa_user_sgpr_count 15
		.amdhsa_user_sgpr_dispatch_ptr 0
		.amdhsa_user_sgpr_queue_ptr 0
		.amdhsa_user_sgpr_kernarg_segment_ptr 1
		.amdhsa_user_sgpr_dispatch_id 0
		.amdhsa_user_sgpr_private_segment_size 0
		.amdhsa_wavefront_size32 1
		.amdhsa_uses_dynamic_stack 0
		.amdhsa_enable_private_segment 0
		.amdhsa_system_sgpr_workgroup_id_x 1
		.amdhsa_system_sgpr_workgroup_id_y 0
		.amdhsa_system_sgpr_workgroup_id_z 0
		.amdhsa_system_sgpr_workgroup_info 0
		.amdhsa_system_vgpr_workitem_id 0
		.amdhsa_next_free_vgpr 47
		.amdhsa_next_free_sgpr 23
		.amdhsa_reserve_vcc 1
		.amdhsa_float_round_mode_32 0
		.amdhsa_float_round_mode_16_64 0
		.amdhsa_float_denorm_mode_32 3
		.amdhsa_float_denorm_mode_16_64 3
		.amdhsa_dx10_clamp 1
		.amdhsa_ieee_mode 1
		.amdhsa_fp16_overflow 0
		.amdhsa_workgroup_processor_mode 1
		.amdhsa_memory_ordered 1
		.amdhsa_forward_progress 0
		.amdhsa_shared_vgpr_count 0
		.amdhsa_exception_fp_ieee_invalid_op 0
		.amdhsa_exception_fp_denorm_src 0
		.amdhsa_exception_fp_ieee_div_zero 0
		.amdhsa_exception_fp_ieee_overflow 0
		.amdhsa_exception_fp_ieee_underflow 0
		.amdhsa_exception_fp_ieee_inexact 0
		.amdhsa_exception_int_div_zero 0
	.end_amdhsa_kernel
	.section	.text._ZN2at6native12_GLOBAL__N_143distribution_elementwise_grid_stride_kernelImLi2EZZZNS0_9templates4cuda21random_from_to_kernelIPNS_17CUDAGeneratorImplEEEvRNS_18TensorIteratorBaseEmlT_ENKUlvE_clEvENKUlvE_clEvEUlP25hiprandStatePhilox4_32_10E_ZNS1_27distribution_nullary_kernelIhm15HIP_vector_typeIyLj2EES7_SF_ZZZNS5_IS7_EEvS9_mlSA_ENKSB_clEvENKSC_clEvEUlmE_EEvS9_T2_RKT3_T4_EUlimE_EEvlNS_15PhiloxCudaStateET1_SK_,"axG",@progbits,_ZN2at6native12_GLOBAL__N_143distribution_elementwise_grid_stride_kernelImLi2EZZZNS0_9templates4cuda21random_from_to_kernelIPNS_17CUDAGeneratorImplEEEvRNS_18TensorIteratorBaseEmlT_ENKUlvE_clEvENKUlvE_clEvEUlP25hiprandStatePhilox4_32_10E_ZNS1_27distribution_nullary_kernelIhm15HIP_vector_typeIyLj2EES7_SF_ZZZNS5_IS7_EEvS9_mlSA_ENKSB_clEvENKSC_clEvEUlmE_EEvS9_T2_RKT3_T4_EUlimE_EEvlNS_15PhiloxCudaStateET1_SK_,comdat
.Lfunc_end0:
	.size	_ZN2at6native12_GLOBAL__N_143distribution_elementwise_grid_stride_kernelImLi2EZZZNS0_9templates4cuda21random_from_to_kernelIPNS_17CUDAGeneratorImplEEEvRNS_18TensorIteratorBaseEmlT_ENKUlvE_clEvENKUlvE_clEvEUlP25hiprandStatePhilox4_32_10E_ZNS1_27distribution_nullary_kernelIhm15HIP_vector_typeIyLj2EES7_SF_ZZZNS5_IS7_EEvS9_mlSA_ENKSB_clEvENKSC_clEvEUlmE_EEvS9_T2_RKT3_T4_EUlimE_EEvlNS_15PhiloxCudaStateET1_SK_, .Lfunc_end0-_ZN2at6native12_GLOBAL__N_143distribution_elementwise_grid_stride_kernelImLi2EZZZNS0_9templates4cuda21random_from_to_kernelIPNS_17CUDAGeneratorImplEEEvRNS_18TensorIteratorBaseEmlT_ENKUlvE_clEvENKUlvE_clEvEUlP25hiprandStatePhilox4_32_10E_ZNS1_27distribution_nullary_kernelIhm15HIP_vector_typeIyLj2EES7_SF_ZZZNS5_IS7_EEvS9_mlSA_ENKSB_clEvENKSC_clEvEUlmE_EEvS9_T2_RKT3_T4_EUlimE_EEvlNS_15PhiloxCudaStateET1_SK_
                                        ; -- End function
	.section	.AMDGPU.csdata,"",@progbits
; Kernel info:
; codeLenInByte = 4348
; NumSgprs: 25
; NumVgprs: 47
; ScratchSize: 0
; MemoryBound: 0
; FloatMode: 240
; IeeeMode: 1
; LDSByteSize: 0 bytes/workgroup (compile time only)
; SGPRBlocks: 3
; VGPRBlocks: 5
; NumSGPRsForWavesPerEU: 25
; NumVGPRsForWavesPerEU: 47
; Occupancy: 16
; WaveLimiterHint : 0
; COMPUTE_PGM_RSRC2:SCRATCH_EN: 0
; COMPUTE_PGM_RSRC2:USER_SGPR: 15
; COMPUTE_PGM_RSRC2:TRAP_HANDLER: 0
; COMPUTE_PGM_RSRC2:TGID_X_EN: 1
; COMPUTE_PGM_RSRC2:TGID_Y_EN: 0
; COMPUTE_PGM_RSRC2:TGID_Z_EN: 0
; COMPUTE_PGM_RSRC2:TIDIG_COMP_CNT: 0
	.section	.text._ZN2at6native12_GLOBAL__N_143distribution_elementwise_grid_stride_kernelImLi2EZZZNS0_9templates4cuda21random_from_to_kernelIPNS_17CUDAGeneratorImplEEEvRNS_18TensorIteratorBaseEmlT_ENKUlvE_clEvENKUlvE_clEvEUlP25hiprandStatePhilox4_32_10E_ZNS1_27distribution_nullary_kernelIhm15HIP_vector_typeIyLj2EES7_SF_ZZZNS5_IS7_EEvS9_mlSA_ENKSB_clEvENKSC_clEvEUlmE_EEvS9_T2_RKT3_T4_EUlimE0_EEvlNS_15PhiloxCudaStateET1_SK_,"axG",@progbits,_ZN2at6native12_GLOBAL__N_143distribution_elementwise_grid_stride_kernelImLi2EZZZNS0_9templates4cuda21random_from_to_kernelIPNS_17CUDAGeneratorImplEEEvRNS_18TensorIteratorBaseEmlT_ENKUlvE_clEvENKUlvE_clEvEUlP25hiprandStatePhilox4_32_10E_ZNS1_27distribution_nullary_kernelIhm15HIP_vector_typeIyLj2EES7_SF_ZZZNS5_IS7_EEvS9_mlSA_ENKSB_clEvENKSC_clEvEUlmE_EEvS9_T2_RKT3_T4_EUlimE0_EEvlNS_15PhiloxCudaStateET1_SK_,comdat
	.globl	_ZN2at6native12_GLOBAL__N_143distribution_elementwise_grid_stride_kernelImLi2EZZZNS0_9templates4cuda21random_from_to_kernelIPNS_17CUDAGeneratorImplEEEvRNS_18TensorIteratorBaseEmlT_ENKUlvE_clEvENKUlvE_clEvEUlP25hiprandStatePhilox4_32_10E_ZNS1_27distribution_nullary_kernelIhm15HIP_vector_typeIyLj2EES7_SF_ZZZNS5_IS7_EEvS9_mlSA_ENKSB_clEvENKSC_clEvEUlmE_EEvS9_T2_RKT3_T4_EUlimE0_EEvlNS_15PhiloxCudaStateET1_SK_ ; -- Begin function _ZN2at6native12_GLOBAL__N_143distribution_elementwise_grid_stride_kernelImLi2EZZZNS0_9templates4cuda21random_from_to_kernelIPNS_17CUDAGeneratorImplEEEvRNS_18TensorIteratorBaseEmlT_ENKUlvE_clEvENKUlvE_clEvEUlP25hiprandStatePhilox4_32_10E_ZNS1_27distribution_nullary_kernelIhm15HIP_vector_typeIyLj2EES7_SF_ZZZNS5_IS7_EEvS9_mlSA_ENKSB_clEvENKSC_clEvEUlmE_EEvS9_T2_RKT3_T4_EUlimE0_EEvlNS_15PhiloxCudaStateET1_SK_
	.p2align	8
	.type	_ZN2at6native12_GLOBAL__N_143distribution_elementwise_grid_stride_kernelImLi2EZZZNS0_9templates4cuda21random_from_to_kernelIPNS_17CUDAGeneratorImplEEEvRNS_18TensorIteratorBaseEmlT_ENKUlvE_clEvENKUlvE_clEvEUlP25hiprandStatePhilox4_32_10E_ZNS1_27distribution_nullary_kernelIhm15HIP_vector_typeIyLj2EES7_SF_ZZZNS5_IS7_EEvS9_mlSA_ENKSB_clEvENKSC_clEvEUlmE_EEvS9_T2_RKT3_T4_EUlimE0_EEvlNS_15PhiloxCudaStateET1_SK_,@function
_ZN2at6native12_GLOBAL__N_143distribution_elementwise_grid_stride_kernelImLi2EZZZNS0_9templates4cuda21random_from_to_kernelIPNS_17CUDAGeneratorImplEEEvRNS_18TensorIteratorBaseEmlT_ENKUlvE_clEvENKUlvE_clEvEUlP25hiprandStatePhilox4_32_10E_ZNS1_27distribution_nullary_kernelIhm15HIP_vector_typeIyLj2EES7_SF_ZZZNS5_IS7_EEvS9_mlSA_ENKSB_clEvENKSC_clEvEUlmE_EEvS9_T2_RKT3_T4_EUlimE0_EEvlNS_15PhiloxCudaStateET1_SK_: ; @_ZN2at6native12_GLOBAL__N_143distribution_elementwise_grid_stride_kernelImLi2EZZZNS0_9templates4cuda21random_from_to_kernelIPNS_17CUDAGeneratorImplEEEvRNS_18TensorIteratorBaseEmlT_ENKUlvE_clEvENKUlvE_clEvEUlP25hiprandStatePhilox4_32_10E_ZNS1_27distribution_nullary_kernelIhm15HIP_vector_typeIyLj2EES7_SF_ZZZNS5_IS7_EEvS9_mlSA_ENKSB_clEvENKSC_clEvEUlmE_EEvS9_T2_RKT3_T4_EUlimE0_EEvlNS_15PhiloxCudaStateET1_SK_
; %bb.0:
	s_clause 0x2
	s_load_b64 s[4:5], s[0:1], 0x10
	s_load_b128 s[16:19], s[0:1], 0x0
	s_load_b32 s2, s[0:1], 0x20
	s_waitcnt lgkmcnt(0)
	v_dual_mov_b32 v2, s4 :: v_dual_mov_b32 v3, s5
	v_dual_mov_b32 v11, s18 :: v_dual_mov_b32 v12, s19
	s_bitcmp0_b32 s2, 0
	s_mov_b32 s2, 0
	s_cbranch_scc1 .LBB1_2
; %bb.1:
	v_dual_mov_b32 v1, s4 :: v_dual_mov_b32 v2, s5
	v_dual_mov_b32 v4, s18 :: v_dual_mov_b32 v5, s19
	s_load_b64 s[4:5], s[0:1], 0x18
	flat_load_b64 v[2:3], v[1:2]
	flat_load_b64 v[11:12], v[4:5]
	s_waitcnt vmcnt(1) lgkmcnt(0)
	v_add_co_u32 v2, vcc_lo, v2, s4
	v_add_co_ci_u32_e32 v3, vcc_lo, s5, v3, vcc_lo
.LBB1_2:
	s_clause 0x1
	s_load_b32 s3, s[0:1], 0x15c
	s_load_b32 s5, s[0:1], 0x150
	s_waitcnt lgkmcnt(0)
	s_and_b32 s4, s3, 0xffff
	s_add_u32 s6, s16, -1
	s_mul_i32 s28, s5, s4
	s_addc_u32 s3, s17, -1
	s_lshl_b32 s29, s28, 1
	s_cmp_lg_u64 s[2:3], 0
	s_cbranch_scc0 .LBB1_57
; %bb.3:
	v_cvt_f32_ubyte0_e32 v1, 0
	v_cvt_f32_u32_e32 v4, s29
	s_sub_u32 s8, 0, s29
	s_subb_u32 s9, 0, 0
	s_delay_alu instid0(VALU_DEP_1) | instskip(NEXT) | instid1(VALU_DEP_1)
	v_fmamk_f32 v1, v1, 0x4f800000, v4
	v_rcp_f32_e32 v1, v1
	s_waitcnt_depctr 0xfff
	v_mul_f32_e32 v1, 0x5f7ffffc, v1
	s_delay_alu instid0(VALU_DEP_1) | instskip(NEXT) | instid1(VALU_DEP_1)
	v_mul_f32_e32 v4, 0x2f800000, v1
	v_trunc_f32_e32 v4, v4
	s_delay_alu instid0(VALU_DEP_1) | instskip(SKIP_1) | instid1(VALU_DEP_2)
	v_fmamk_f32 v1, v4, 0xcf800000, v1
	v_cvt_u32_f32_e32 v4, v4
	v_cvt_u32_f32_e32 v1, v1
	s_delay_alu instid0(VALU_DEP_2) | instskip(NEXT) | instid1(VALU_DEP_2)
	v_readfirstlane_b32 s2, v4
	v_readfirstlane_b32 s7, v1
	s_delay_alu instid0(VALU_DEP_2) | instskip(NEXT) | instid1(VALU_DEP_1)
	s_mul_i32 s10, s8, s2
	s_mul_hi_u32 s12, s8, s7
	s_mul_i32 s11, s9, s7
	s_add_i32 s10, s12, s10
	s_mul_i32 s13, s8, s7
	s_add_i32 s10, s10, s11
	s_mul_hi_u32 s12, s7, s13
	s_mul_hi_u32 s14, s2, s13
	s_mul_i32 s11, s2, s13
	s_mul_hi_u32 s13, s7, s10
	s_mul_i32 s7, s7, s10
	s_mul_hi_u32 s18, s2, s10
	s_add_u32 s7, s12, s7
	s_addc_u32 s12, 0, s13
	s_add_u32 s7, s7, s11
	s_mul_i32 s10, s2, s10
	s_addc_u32 s7, s12, s14
	s_addc_u32 s11, s18, 0
	s_add_u32 s7, s7, s10
	s_addc_u32 s10, 0, s11
	v_add_co_u32 v1, s7, v1, s7
	s_delay_alu instid0(VALU_DEP_1) | instskip(SKIP_1) | instid1(VALU_DEP_1)
	s_cmp_lg_u32 s7, 0
	s_addc_u32 s2, s2, s10
	v_readfirstlane_b32 s7, v1
	s_mul_i32 s10, s8, s2
	s_delay_alu instid0(VALU_DEP_1)
	s_mul_hi_u32 s11, s8, s7
	s_mul_i32 s9, s9, s7
	s_add_i32 s10, s11, s10
	s_mul_i32 s8, s8, s7
	s_add_i32 s10, s10, s9
	s_mul_hi_u32 s11, s2, s8
	s_mul_i32 s12, s2, s8
	s_mul_hi_u32 s8, s7, s8
	s_mul_hi_u32 s13, s7, s10
	s_mul_i32 s7, s7, s10
	s_mul_hi_u32 s9, s2, s10
	s_add_u32 s7, s8, s7
	s_addc_u32 s8, 0, s13
	s_add_u32 s7, s7, s12
	s_mul_i32 s10, s2, s10
	s_addc_u32 s7, s8, s11
	s_addc_u32 s8, s9, 0
	s_add_u32 s7, s7, s10
	s_addc_u32 s8, 0, s8
	v_add_co_u32 v1, s7, v1, s7
	s_delay_alu instid0(VALU_DEP_1) | instskip(SKIP_2) | instid1(VALU_DEP_1)
	s_cmp_lg_u32 s7, 0
	s_addc_u32 s7, s2, s8
	s_ashr_i32 s8, s3, 31
	v_readfirstlane_b32 s10, v1
	s_add_u32 s2, s6, s8
	s_mov_b32 s9, s8
	s_addc_u32 s3, s3, s8
	s_delay_alu instid0(SALU_CYCLE_1) | instskip(NEXT) | instid1(SALU_CYCLE_1)
	s_xor_b64 s[2:3], s[2:3], s[8:9]
	s_mul_i32 s12, s2, s7
	s_mul_hi_u32 s13, s2, s10
	s_mul_hi_u32 s11, s2, s7
	;; [unrolled: 1-line block ×3, first 2 shown]
	s_mul_i32 s10, s3, s10
	s_add_u32 s12, s13, s12
	s_addc_u32 s11, 0, s11
	s_mul_hi_u32 s14, s3, s7
	s_add_u32 s10, s12, s10
	s_mul_i32 s7, s3, s7
	s_addc_u32 s10, s11, s18
	s_addc_u32 s11, s14, 0
	s_add_u32 s7, s10, s7
	s_addc_u32 s10, 0, s11
	s_mul_i32 s12, s29, s7
	s_add_u32 s11, s7, 1
	v_sub_co_u32 v1, s2, s2, s12
	s_mul_hi_u32 s12, s29, s7
	s_addc_u32 s13, s10, 0
	s_mul_i32 s14, s29, s10
	s_delay_alu instid0(VALU_DEP_1)
	v_sub_co_u32 v4, s18, v1, s29
	s_add_u32 s19, s7, 2
	s_addc_u32 s20, s10, 0
	s_add_i32 s12, s12, s14
	s_cmp_lg_u32 s2, 0
	v_readfirstlane_b32 s2, v4
	s_subb_u32 s3, s3, s12
	s_cmp_lg_u32 s18, 0
	s_subb_u32 s12, s3, 0
	s_delay_alu instid0(VALU_DEP_1) | instskip(SKIP_4) | instid1(SALU_CYCLE_1)
	s_cmp_ge_u32 s2, s29
	s_cselect_b32 s2, -1, 0
	s_cmp_eq_u32 s12, 0
	v_readfirstlane_b32 s12, v1
	s_cselect_b32 s2, s2, -1
	s_cmp_lg_u32 s2, 0
	s_cselect_b32 s2, s19, s11
	s_cselect_b32 s11, s20, s13
	s_cmp_ge_u32 s12, s29
	s_cselect_b32 s12, -1, 0
	s_cmp_eq_u32 s3, 0
	s_cselect_b32 s3, s12, -1
	s_delay_alu instid0(SALU_CYCLE_1) | instskip(SKIP_2) | instid1(SALU_CYCLE_1)
	s_cmp_lg_u32 s3, 0
	s_cselect_b32 s3, s11, s10
	s_cselect_b32 s2, s2, s7
	s_xor_b64 s[2:3], s[2:3], s[8:9]
	s_delay_alu instid0(SALU_CYCLE_1)
	s_sub_u32 s2, s2, s8
	s_subb_u32 s3, s3, s8
	s_cbranch_execnz .LBB1_5
.LBB1_4:
	v_cvt_f32_u32_e32 v1, s29
	s_sub_i32 s3, 0, s29
	s_delay_alu instid0(VALU_DEP_1) | instskip(SKIP_2) | instid1(VALU_DEP_1)
	v_rcp_iflag_f32_e32 v1, v1
	s_waitcnt_depctr 0xfff
	v_mul_f32_e32 v1, 0x4f7ffffe, v1
	v_cvt_u32_f32_e32 v1, v1
	s_delay_alu instid0(VALU_DEP_1) | instskip(NEXT) | instid1(VALU_DEP_1)
	v_readfirstlane_b32 s2, v1
	s_mul_i32 s3, s3, s2
	s_delay_alu instid0(SALU_CYCLE_1) | instskip(NEXT) | instid1(SALU_CYCLE_1)
	s_mul_hi_u32 s3, s2, s3
	s_add_i32 s2, s2, s3
	s_delay_alu instid0(SALU_CYCLE_1) | instskip(NEXT) | instid1(SALU_CYCLE_1)
	s_mul_hi_u32 s2, s6, s2
	s_mul_i32 s3, s2, s29
	s_delay_alu instid0(SALU_CYCLE_1)
	s_sub_i32 s3, s6, s3
	s_add_i32 s6, s2, 1
	s_sub_i32 s7, s3, s29
	s_cmp_ge_u32 s3, s29
	s_cselect_b32 s2, s6, s2
	s_cselect_b32 s3, s7, s3
	s_add_i32 s6, s2, 1
	s_cmp_ge_u32 s3, s29
	s_mov_b32 s3, 0
	s_cselect_b32 s2, s6, s2
.LBB1_5:
	v_mov_b32_e32 v13, 0
	s_add_u32 s2, s2, 1
	s_addc_u32 s3, s3, 0
	s_mul_hi_u32 s5, s5, s4
	s_mul_hi_u32 s6, s28, s2
	v_mov_b32_e32 v1, v13
	s_mul_i32 s3, s28, s3
	s_mul_i32 s5, s5, s2
	s_add_i32 s3, s6, s3
	s_mul_i32 s2, s28, s2
	v_mad_u64_u32 v[15:16], null, s4, s15, v[0:1]
	s_add_i32 s3, s3, s5
	s_mov_b32 s4, exec_lo
	s_lshl_b64 s[2:3], s[2:3], 1
	s_delay_alu instid0(VALU_DEP_1) | instid1(SALU_CYCLE_1)
	v_cmpx_gt_i64_e64 s[2:3], v[15:16]
	s_cbranch_execz .LBB1_56
; %bb.6:
	v_alignbit_b32 v19, v3, v2, 2
	v_mad_u64_u32 v[4:5], null, 0xcd9e8d57, v15, 0
	v_lshrrev_b32_e32 v20, 2, v3
	s_waitcnt vmcnt(0)
	v_dual_mov_b32 v9, v12 :: v_dual_add_nc_u32 v30, 0x8ff34781, v11
	v_mad_u64_u32 v[0:1], null, 0xd2511f53, v19, 0
	v_add_co_u32 v22, null, 0x9e3779b9, v11
	v_xor3_b32 v3, v11, v5, v20
	s_delay_alu instid0(VALU_DEP_4) | instskip(SKIP_2) | instid1(VALU_DEP_4)
	v_add_co_u32 v21, null, 0xbb67ae85, v9
	v_add_co_u32 v23, null, 0x3c6ef372, v11
	v_xor_b32_e32 v1, v1, v12
	v_mad_u64_u32 v[5:6], null, 0xd2511f53, v3, 0
	v_add_co_u32 v24, null, 0x76cf5d0a, v9
	s_delay_alu instid0(VALU_DEP_3) | instskip(SKIP_2) | instid1(VALU_DEP_3)
	v_xor_b32_e32 v1, v1, v16
	v_add_co_u32 v25, null, 0x32370b8f, v9
	v_add_co_u32 v26, null, 0xdaa66d2b, v11
	v_mad_u64_u32 v[7:8], null, 0xcd9e8d57, v1, 0
	v_xor3_b32 v3, v21, v6, v0
	v_add_co_u32 v27, null, 0x78dde6e4, v11
	v_add_co_u32 v28, null, 0xed9eba14, v9
	s_delay_alu instid0(VALU_DEP_3) | instskip(SKIP_3) | instid1(VALU_DEP_3)
	v_mad_u64_u32 v[0:1], null, 0xcd9e8d57, v3, 0
	v_xor3_b32 v6, v22, v8, v4
	v_dual_mov_b32 v40, v15 :: v_dual_and_b32 v29, 3, v2
	v_add_co_u32 v31, null, 0xa9066899, v9
	v_mad_u64_u32 v[3:4], null, 0xd2511f53, v6, 0
	v_xor3_b32 v1, v23, v1, v7
	v_add_co_u32 v32, null, 0x1715609d, v11
	v_add_co_u32 v34, null, 0xb54cda56, v11
	;; [unrolled: 1-line block ×3, first 2 shown]
	v_xor3_b32 v8, v24, v4, v5
	v_mad_u64_u32 v[4:5], null, 0xd2511f53, v1, 0
	s_load_b256 s[4:11], s[0:1], 0x30
	v_add_co_u32 v33, null, 0x5384540f, v11
	s_delay_alu instid0(VALU_DEP_3) | instskip(SKIP_1) | instid1(VALU_DEP_4)
	v_mad_u64_u32 v[6:7], null, 0xcd9e8d57, v8, 0
	v_add_co_u32 v37, null, 0x1fd5c5a3, v9
	v_xor3_b32 v3, v25, v5, v3
	v_add_co_u32 v35, null, 0xf1bbcdc8, v11
	v_add_co_u32 v38, null, 0xdb3d7428, v9
	v_xor3_b32 v5, v26, v7, v0
	s_delay_alu instid0(VALU_DEP_4) | instskip(SKIP_2) | instid1(VALU_DEP_2)
	v_mad_u64_u32 v[0:1], null, 0xcd9e8d57, v3, 0
	s_add_u32 s18, s0, 48
	s_load_b64 s[20:21], s[0:1], 0x148
	v_mad_u64_u32 v[7:8], null, 0xd2511f53, v5, 0
	s_clause 0x1
	s_load_b64 s[22:23], s[0:1], 0xf4
	s_load_b128 s[12:15], s[0:1], 0x138
	s_addc_u32 s19, s1, 0
	v_xor3_b32 v3, v27, v1, v6
	s_waitcnt lgkmcnt(0)
	s_add_i32 s26, s4, -1
	v_add_nc_u32_e32 v39, 0x96a522ad, v12
	s_cmp_gt_u32 s26, 1
	v_xor3_b32 v5, v28, v8, v4
	v_mad_u64_u32 v[1:2], null, 0xd2511f53, v3, 0
	s_cselect_b32 s11, -1, 0
	s_cmp_lg_u32 s4, 0
	s_delay_alu instid0(VALU_DEP_2) | instskip(SKIP_2) | instid1(VALU_DEP_2)
	v_mad_u64_u32 v[3:4], null, 0xcd9e8d57, v5, 0
	s_cselect_b32 s21, -1, 0
	s_add_u32 s24, s0, 0xf4
	v_xor3_b32 v2, v31, v2, v7
	s_addc_u32 s25, s1, 0
	s_min_u32 s0, s26, 15
	s_cmp_gt_u32 s4, 1
	s_delay_alu instid0(VALU_DEP_2) | instskip(SKIP_3) | instid1(VALU_DEP_2)
	v_xor3_b32 v0, v32, v4, v0
	v_mad_u64_u32 v[4:5], null, 0xcd9e8d57, v2, 0
	s_cselect_b32 s4, -1, 0
	s_add_i32 s0, s0, 1
	v_mad_u64_u32 v[6:7], null, 0xd2511f53, v0, 0
	s_and_b32 s31, s0, 3
	s_cmp_lg_u32 s26, 2
	s_delay_alu instid0(VALU_DEP_2) | instskip(SKIP_3) | instid1(VALU_DEP_3)
	v_xor3_b32 v2, v34, v5, v3
	s_cselect_b32 s33, -1, 0
	s_and_b32 s34, s0, 28
	v_mov_b32_e32 v41, v16
	v_xor3_b32 v5, v36, v7, v1
	v_mad_u64_u32 v[0:1], null, 0xd2511f53, v2, 0
	s_cmp_lg_u32 s31, 0
	s_mov_b32 s30, 0
	s_delay_alu instid0(VALU_DEP_2) | instskip(SKIP_1) | instid1(VALU_DEP_2)
	v_mad_u64_u32 v[2:3], null, 0xcd9e8d57, v5, 0
	s_cselect_b32 s35, -1, 0
	v_xor3_b32 v1, v37, v1, v6
	s_delay_alu instid0(VALU_DEP_2) | instskip(NEXT) | instid1(VALU_DEP_2)
	v_xor3_b32 v3, v33, v3, v4
	v_mad_u64_u32 v[4:5], null, 0xcd9e8d57, v1, 0
	s_delay_alu instid0(VALU_DEP_2) | instskip(NEXT) | instid1(VALU_DEP_2)
	v_mad_u64_u32 v[6:7], null, 0xd2511f53, v3, 0
	v_xor3_b32 v1, v35, v5, v2
	s_delay_alu instid0(VALU_DEP_2) | instskip(NEXT) | instid1(VALU_DEP_2)
	v_xor3_b32 v0, v38, v7, v0
	v_mad_u64_u32 v[7:8], null, 0xd2511f53, v1, 0
	s_delay_alu instid0(VALU_DEP_2) | instskip(NEXT) | instid1(VALU_DEP_2)
	v_mad_u64_u32 v[1:2], null, 0xcd9e8d57, v0, 0
	v_mov_b32_e32 v3, v7
	s_delay_alu instid0(VALU_DEP_2) | instskip(NEXT) | instid1(VALU_DEP_4)
	v_xor3_b32 v0, v2, v4, v30
	v_xor3_b32 v2, v8, v6, v39
	s_branch .LBB1_9
.LBB1_7:                                ;   in Loop: Header=BB1_9 Depth=1
	s_or_b32 exec_lo, exec_lo, s0
	s_delay_alu instid0(VALU_DEP_1)
	v_add_nc_u32_e32 v0, s20, v8
	global_store_b8 v7, v0, s[12:13]
.LBB1_8:                                ;   in Loop: Header=BB1_9 Depth=1
	s_or_b32 exec_lo, exec_lo, s36
	v_add_co_u32 v15, vcc_lo, v15, s29
	v_add_co_ci_u32_e32 v16, vcc_lo, 0, v16, vcc_lo
	v_mov_b32_e32 v7, v17
	v_dual_mov_b32 v0, v4 :: v_dual_mov_b32 v1, v5
	s_delay_alu instid0(VALU_DEP_3) | instskip(NEXT) | instid1(VALU_DEP_3)
	v_cmp_le_i64_e32 vcc_lo, s[2:3], v[15:16]
	v_dual_mov_b32 v2, v6 :: v_dual_mov_b32 v3, v7
	s_waitcnt_vscnt null, 0x0
	s_barrier
	buffer_gl0_inv
	s_or_b32 s30, vcc_lo, s30
	s_delay_alu instid0(SALU_CYCLE_1)
	s_and_not1_b32 exec_lo, exec_lo, s30
	s_cbranch_execz .LBB1_56
.LBB1_9:                                ; =>This Loop Header: Depth=1
                                        ;     Child Loop BB1_24 Depth 2
                                        ;     Child Loop BB1_29 Depth 2
	;; [unrolled: 1-line block ×4, first 2 shown]
	v_add_co_u32 v19, vcc_lo, v19, 1
	s_delay_alu instid0(VALU_DEP_1) | instskip(SKIP_2) | instid1(VALU_DEP_1)
	v_cndmask_b32_e64 v4, 0, 1, vcc_lo
	v_add_co_ci_u32_e32 v20, vcc_lo, 0, v20, vcc_lo
	s_mov_b32 s0, exec_lo
	v_cmp_eq_u32_e32 vcc_lo, 0, v20
	s_delay_alu instid0(VALU_DEP_3) | instskip(NEXT) | instid1(VALU_DEP_1)
	v_cndmask_b32_e32 v4, 0, v4, vcc_lo
	v_add_nc_u32_e32 v40, v4, v40
	s_delay_alu instid0(VALU_DEP_1) | instskip(SKIP_2) | instid1(VALU_DEP_2)
	v_cmp_eq_u32_e32 vcc_lo, 0, v40
	v_mad_u64_u32 v[6:7], null, 0xcd9e8d57, v40, 0
	v_cndmask_b32_e32 v4, 0, v4, vcc_lo
	v_xor3_b32 v9, v7, v11, v20
	s_delay_alu instid0(VALU_DEP_2) | instskip(SKIP_1) | instid1(VALU_DEP_3)
	v_add_nc_u32_e32 v41, v4, v41
	v_mad_u64_u32 v[4:5], null, 0xd2511f53, v19, 0
	v_mad_u64_u32 v[7:8], null, 0xd2511f53, v9, 0
	s_delay_alu instid0(VALU_DEP_2) | instskip(NEXT) | instid1(VALU_DEP_2)
	v_xor_b32_e32 v5, v5, v12
	v_xor3_b32 v8, v21, v8, v4
	s_delay_alu instid0(VALU_DEP_2) | instskip(NEXT) | instid1(VALU_DEP_1)
	v_xor_b32_e32 v5, v41, v5
	v_mad_u64_u32 v[9:10], null, 0xcd9e8d57, v5, 0
	s_delay_alu instid0(VALU_DEP_3) | instskip(NEXT) | instid1(VALU_DEP_2)
	v_mad_u64_u32 v[4:5], null, 0xcd9e8d57, v8, 0
	v_xor3_b32 v6, v22, v10, v6
	s_delay_alu instid0(VALU_DEP_2) | instskip(NEXT) | instid1(VALU_DEP_2)
	v_xor3_b32 v8, v23, v5, v9
	v_mad_u64_u32 v[17:18], null, 0xd2511f53, v6, 0
	s_delay_alu instid0(VALU_DEP_2) | instskip(NEXT) | instid1(VALU_DEP_2)
	v_mad_u64_u32 v[5:6], null, 0xd2511f53, v8, 0
	v_xor3_b32 v9, v24, v18, v7
	s_delay_alu instid0(VALU_DEP_2) | instskip(NEXT) | instid1(VALU_DEP_2)
	v_xor3_b32 v6, v25, v6, v17
	v_mad_u64_u32 v[7:8], null, 0xcd9e8d57, v9, 0
	s_delay_alu instid0(VALU_DEP_1) | instskip(NEXT) | instid1(VALU_DEP_3)
	v_xor3_b32 v4, v26, v8, v4
	v_mad_u64_u32 v[8:9], null, 0xcd9e8d57, v6, 0
	s_delay_alu instid0(VALU_DEP_2) | instskip(NEXT) | instid1(VALU_DEP_2)
	v_mad_u64_u32 v[17:18], null, 0xd2511f53, v4, 0
	v_xor3_b32 v6, v27, v9, v7
	s_delay_alu instid0(VALU_DEP_2) | instskip(NEXT) | instid1(VALU_DEP_2)
	v_xor3_b32 v9, v28, v18, v5
	v_mad_u64_u32 v[4:5], null, 0xd2511f53, v6, 0
	s_delay_alu instid0(VALU_DEP_2) | instskip(NEXT) | instid1(VALU_DEP_2)
	v_mad_u64_u32 v[6:7], null, 0xcd9e8d57, v9, 0
	v_xor3_b32 v5, v31, v5, v17
	s_delay_alu instid0(VALU_DEP_2) | instskip(NEXT) | instid1(VALU_DEP_2)
	;; [unrolled: 6-line block ×6, first 2 shown]
	v_xor3_b32 v4, v6, v7, v30
	v_mov_b32_e32 v6, v10
	v_cmpx_lt_i32_e32 1, v29
	s_xor_b32 s0, exec_lo, s0
	s_cbranch_execnz .LBB1_12
; %bb.10:                               ;   in Loop: Header=BB1_9 Depth=1
	s_and_not1_saveexec_b32 s0, s0
	s_cbranch_execnz .LBB1_17
.LBB1_11:                               ;   in Loop: Header=BB1_9 Depth=1
	s_or_b32 exec_lo, exec_lo, s0
	s_delay_alu instid0(SALU_CYCLE_1)
	s_mov_b32 s36, exec_lo
	v_cmpx_gt_i64_e64 s[16:17], v[15:16]
	s_cbranch_execnz .LBB1_20
	s_branch .LBB1_38
.LBB1_12:                               ;   in Loop: Header=BB1_9 Depth=1
	s_mov_b32 s1, exec_lo
	v_cmpx_lt_i32_e32 2, v29
	s_xor_b32 s1, exec_lo, s1
; %bb.13:                               ;   in Loop: Header=BB1_9 Depth=1
	v_dual_mov_b32 v7, v3 :: v_dual_mov_b32 v8, v4
	v_mov_b32_e32 v9, v5
	s_delay_alu instid0(VALU_DEP_2) | instskip(NEXT) | instid1(VALU_DEP_2)
	v_dual_mov_b32 v0, v7 :: v_dual_mov_b32 v1, v8
	v_dual_mov_b32 v2, v9 :: v_dual_mov_b32 v3, v10
; %bb.14:                               ;   in Loop: Header=BB1_9 Depth=1
	s_and_not1_saveexec_b32 s1, s1
; %bb.15:                               ;   in Loop: Header=BB1_9 Depth=1
	s_delay_alu instid0(VALU_DEP_1)
	v_dual_mov_b32 v0, v2 :: v_dual_mov_b32 v1, v3
	v_dual_mov_b32 v2, v4 :: v_dual_mov_b32 v3, v5
; %bb.16:                               ;   in Loop: Header=BB1_9 Depth=1
	s_or_b32 exec_lo, exec_lo, s1
	s_and_not1_saveexec_b32 s0, s0
	s_cbranch_execz .LBB1_11
.LBB1_17:                               ;   in Loop: Header=BB1_9 Depth=1
	s_mov_b32 s1, exec_lo
	v_cmpx_eq_u32_e32 1, v29
; %bb.18:                               ;   in Loop: Header=BB1_9 Depth=1
	v_dual_mov_b32 v0, v1 :: v_dual_mov_b32 v1, v2
	v_dual_mov_b32 v2, v3 :: v_dual_mov_b32 v3, v4
; %bb.19:                               ;   in Loop: Header=BB1_9 Depth=1
	s_or_b32 exec_lo, exec_lo, s1
	s_delay_alu instid0(SALU_CYCLE_1) | instskip(NEXT) | instid1(SALU_CYCLE_1)
	s_or_b32 exec_lo, exec_lo, s0
	s_mov_b32 s36, exec_lo
	v_cmpx_gt_i64_e64 s[16:17], v[15:16]
	s_cbranch_execz .LBB1_38
.LBB1_20:                               ;   in Loop: Header=BB1_9 Depth=1
	s_and_not1_b32 vcc_lo, exec_lo, s11
	s_cbranch_vccnz .LBB1_26
; %bb.21:                               ;   in Loop: Header=BB1_9 Depth=1
	v_mov_b32_e32 v7, 0
	s_and_not1_b32 vcc_lo, exec_lo, s21
	s_cbranch_vccnz .LBB1_30
; %bb.22:                               ;   in Loop: Header=BB1_9 Depth=1
	s_and_not1_b32 vcc_lo, exec_lo, s33
	s_mov_b32 s0, 0
	s_cbranch_vccnz .LBB1_27
; %bb.23:                               ;   in Loop: Header=BB1_9 Depth=1
	v_dual_mov_b32 v7, 0 :: v_dual_mov_b32 v8, v15
	s_mov_b32 s37, 0
	s_mov_b64 s[0:1], s[18:19]
	s_mov_b64 s[26:27], s[24:25]
.LBB1_24:                               ;   Parent Loop BB1_9 Depth=1
                                        ; =>  This Inner Loop Header: Depth=2
	s_clause 0x1
	s_load_b256 s[40:47], s[0:1], 0x4
	s_load_b128 s[48:51], s[0:1], 0x24
	s_load_b128 s[52:55], s[26:27], 0x0
	s_add_u32 s0, s0, 48
	s_addc_u32 s1, s1, 0
	s_add_i32 s37, s37, 4
	s_add_u32 s26, s26, 16
	s_addc_u32 s27, s27, 0
	s_cmp_lg_u32 s34, s37
	s_waitcnt lgkmcnt(0)
	v_mul_hi_u32 v9, s41, v8
	s_delay_alu instid0(VALU_DEP_1) | instskip(NEXT) | instid1(VALU_DEP_1)
	v_add_nc_u32_e32 v9, v8, v9
	v_lshrrev_b32_e32 v9, s42, v9
	s_delay_alu instid0(VALU_DEP_1) | instskip(SKIP_1) | instid1(VALU_DEP_2)
	v_mul_hi_u32 v10, s44, v9
	v_mul_lo_u32 v42, v9, s40
	v_add_nc_u32_e32 v10, v9, v10
	s_delay_alu instid0(VALU_DEP_2) | instskip(NEXT) | instid1(VALU_DEP_2)
	v_sub_nc_u32_e32 v42, v8, v42
	v_lshrrev_b32_e32 v10, s45, v10
	s_delay_alu instid0(VALU_DEP_2) | instskip(NEXT) | instid1(VALU_DEP_2)
	v_mul_lo_u32 v42, v42, s52
	v_mul_hi_u32 v14, s47, v10
	v_mul_lo_u32 v43, v10, s43
	s_delay_alu instid0(VALU_DEP_2) | instskip(NEXT) | instid1(VALU_DEP_2)
	v_add_nc_u32_e32 v14, v10, v14
	v_sub_nc_u32_e32 v9, v9, v43
	s_delay_alu instid0(VALU_DEP_2) | instskip(NEXT) | instid1(VALU_DEP_2)
	v_lshrrev_b32_e32 v14, s48, v14
	v_mul_lo_u32 v9, v9, s53
	s_delay_alu instid0(VALU_DEP_2) | instskip(NEXT) | instid1(VALU_DEP_2)
	v_mul_hi_u32 v18, s50, v14
	v_add3_u32 v7, v42, v7, v9
	s_delay_alu instid0(VALU_DEP_2) | instskip(NEXT) | instid1(VALU_DEP_1)
	v_add_nc_u32_e32 v18, v14, v18
	v_lshrrev_b32_e32 v8, s51, v18
	v_mul_lo_u32 v18, v14, s46
	s_delay_alu instid0(VALU_DEP_2) | instskip(NEXT) | instid1(VALU_DEP_2)
	v_mul_lo_u32 v44, v8, s49
	v_sub_nc_u32_e32 v10, v10, v18
	s_delay_alu instid0(VALU_DEP_2) | instskip(NEXT) | instid1(VALU_DEP_2)
	v_sub_nc_u32_e32 v14, v14, v44
	v_mul_lo_u32 v10, v10, s54
	s_delay_alu instid0(VALU_DEP_2) | instskip(NEXT) | instid1(VALU_DEP_1)
	v_mul_lo_u32 v14, v14, s55
	v_add3_u32 v7, v10, v7, v14
	s_cbranch_scc1 .LBB1_24
; %bb.25:                               ;   in Loop: Header=BB1_9 Depth=1
	s_mov_b32 s0, s34
	s_and_not1_b32 vcc_lo, exec_lo, s35
	s_cbranch_vccz .LBB1_28
	s_branch .LBB1_30
.LBB1_26:                               ;   in Loop: Header=BB1_9 Depth=1
                                        ; implicit-def: $vgpr7
	s_branch .LBB1_31
.LBB1_27:                               ;   in Loop: Header=BB1_9 Depth=1
	v_mov_b32_e32 v8, v15
	s_and_not1_b32 vcc_lo, exec_lo, s35
	s_cbranch_vccnz .LBB1_30
.LBB1_28:                               ;   in Loop: Header=BB1_9 Depth=1
	s_lshl_b32 s1, s0, 2
	s_mul_i32 s26, s0, 12
	s_add_u32 s0, s24, s1
	s_addc_u32 s1, s25, 0
	s_add_u32 s26, s18, s26
	s_addc_u32 s27, s19, 0
	s_mov_b32 s37, s31
	.p2align	6
.LBB1_29:                               ;   Parent Loop BB1_9 Depth=1
                                        ; =>  This Inner Loop Header: Depth=2
	s_clause 0x1
	s_load_b64 s[38:39], s[26:27], 0x4
	s_load_b32 s40, s[26:27], 0xc
	s_add_u32 s26, s26, 12
	s_addc_u32 s27, s27, 0
	s_waitcnt lgkmcnt(0)
	v_mul_hi_u32 v9, s39, v8
	s_load_b32 s39, s[0:1], 0x0
	s_add_u32 s0, s0, 4
	s_addc_u32 s1, s1, 0
	s_add_i32 s37, s37, -1
	s_delay_alu instid0(SALU_CYCLE_1) | instskip(NEXT) | instid1(VALU_DEP_1)
	s_cmp_lg_u32 s37, 0
	v_add_nc_u32_e32 v9, v8, v9
	s_delay_alu instid0(VALU_DEP_1) | instskip(NEXT) | instid1(VALU_DEP_1)
	v_lshrrev_b32_e32 v14, s40, v9
	v_mul_lo_u32 v9, v14, s38
	s_delay_alu instid0(VALU_DEP_1) | instskip(SKIP_1) | instid1(VALU_DEP_1)
	v_sub_nc_u32_e32 v8, v8, v9
	s_waitcnt lgkmcnt(0)
	v_mad_u64_u32 v[9:10], null, v8, s39, v[7:8]
	s_delay_alu instid0(VALU_DEP_1)
	v_dual_mov_b32 v8, v14 :: v_dual_mov_b32 v7, v9
	s_cbranch_scc1 .LBB1_29
.LBB1_30:                               ;   in Loop: Header=BB1_9 Depth=1
	s_cbranch_execnz .LBB1_33
.LBB1_31:                               ;   in Loop: Header=BB1_9 Depth=1
	v_mul_hi_u32 v7, v15, s6
	s_and_not1_b32 vcc_lo, exec_lo, s4
	s_delay_alu instid0(VALU_DEP_1) | instskip(NEXT) | instid1(VALU_DEP_1)
	v_add_nc_u32_e32 v7, v7, v15
	v_lshrrev_b32_e32 v8, s7, v7
	s_delay_alu instid0(VALU_DEP_1) | instskip(NEXT) | instid1(VALU_DEP_1)
	v_mul_lo_u32 v7, v8, s5
	v_sub_nc_u32_e32 v7, v15, v7
	s_delay_alu instid0(VALU_DEP_1)
	v_mul_lo_u32 v7, v7, s22
	s_cbranch_vccnz .LBB1_33
; %bb.32:                               ;   in Loop: Header=BB1_9 Depth=1
	v_mul_hi_u32 v9, s9, v8
	s_delay_alu instid0(VALU_DEP_1) | instskip(NEXT) | instid1(VALU_DEP_1)
	v_add_nc_u32_e32 v9, v8, v9
	v_lshrrev_b32_e32 v9, s10, v9
	s_delay_alu instid0(VALU_DEP_1) | instskip(NEXT) | instid1(VALU_DEP_1)
	v_mul_lo_u32 v9, v9, s8
	v_sub_nc_u32_e32 v10, v8, v9
	s_delay_alu instid0(VALU_DEP_1) | instskip(NEXT) | instid1(VALU_DEP_1)
	v_mad_u64_u32 v[8:9], null, v10, s23, v[7:8]
	v_mov_b32_e32 v7, v8
.LBB1_33:                               ;   in Loop: Header=BB1_9 Depth=1
	v_or_b32_e32 v14, s15, v0
                                        ; implicit-def: $vgpr8_vgpr9
	s_mov_b32 s0, exec_lo
	s_delay_alu instid0(VALU_DEP_1)
	v_cmpx_ne_u64_e32 0, v[13:14]
	s_xor_b32 s1, exec_lo, s0
	s_cbranch_execz .LBB1_35
; %bb.34:                               ;   in Loop: Header=BB1_9 Depth=1
	v_cvt_f32_u32_e32 v8, s14
	v_cvt_f32_u32_e32 v9, s15
	s_sub_u32 s0, 0, s14
	s_subb_u32 s26, 0, s15
	s_delay_alu instid0(VALU_DEP_1) | instskip(NEXT) | instid1(VALU_DEP_1)
	v_fmac_f32_e32 v8, 0x4f800000, v9
	v_rcp_f32_e32 v8, v8
	s_waitcnt_depctr 0xfff
	v_mul_f32_e32 v8, 0x5f7ffffc, v8
	s_delay_alu instid0(VALU_DEP_1) | instskip(NEXT) | instid1(VALU_DEP_1)
	v_mul_f32_e32 v9, 0x2f800000, v8
	v_trunc_f32_e32 v9, v9
	s_delay_alu instid0(VALU_DEP_1) | instskip(SKIP_1) | instid1(VALU_DEP_2)
	v_fmac_f32_e32 v8, 0xcf800000, v9
	v_cvt_u32_f32_e32 v9, v9
	v_cvt_u32_f32_e32 v8, v8
	s_delay_alu instid0(VALU_DEP_2) | instskip(NEXT) | instid1(VALU_DEP_2)
	v_mul_lo_u32 v10, s0, v9
	v_mul_hi_u32 v14, s0, v8
	v_mul_lo_u32 v18, s26, v8
	s_delay_alu instid0(VALU_DEP_2) | instskip(SKIP_1) | instid1(VALU_DEP_2)
	v_add_nc_u32_e32 v10, v14, v10
	v_mul_lo_u32 v14, s0, v8
	v_add_nc_u32_e32 v10, v10, v18
	s_delay_alu instid0(VALU_DEP_2) | instskip(NEXT) | instid1(VALU_DEP_2)
	v_mul_hi_u32 v18, v8, v14
	v_mul_lo_u32 v42, v8, v10
	v_mul_hi_u32 v43, v8, v10
	v_mul_hi_u32 v44, v9, v14
	v_mul_lo_u32 v14, v9, v14
	v_mul_hi_u32 v45, v9, v10
	v_mul_lo_u32 v10, v9, v10
	v_add_co_u32 v18, vcc_lo, v18, v42
	v_add_co_ci_u32_e32 v42, vcc_lo, 0, v43, vcc_lo
	s_delay_alu instid0(VALU_DEP_2) | instskip(NEXT) | instid1(VALU_DEP_2)
	v_add_co_u32 v14, vcc_lo, v18, v14
	v_add_co_ci_u32_e32 v14, vcc_lo, v42, v44, vcc_lo
	v_add_co_ci_u32_e32 v18, vcc_lo, 0, v45, vcc_lo
	s_delay_alu instid0(VALU_DEP_2) | instskip(NEXT) | instid1(VALU_DEP_2)
	v_add_co_u32 v10, vcc_lo, v14, v10
	v_add_co_ci_u32_e32 v14, vcc_lo, 0, v18, vcc_lo
	s_delay_alu instid0(VALU_DEP_2) | instskip(NEXT) | instid1(VALU_DEP_2)
	v_add_co_u32 v8, vcc_lo, v8, v10
	v_add_co_ci_u32_e32 v9, vcc_lo, v9, v14, vcc_lo
	s_delay_alu instid0(VALU_DEP_2) | instskip(SKIP_1) | instid1(VALU_DEP_3)
	v_mul_hi_u32 v10, s0, v8
	v_mul_lo_u32 v18, s26, v8
	v_mul_lo_u32 v14, s0, v9
	s_delay_alu instid0(VALU_DEP_1) | instskip(SKIP_1) | instid1(VALU_DEP_2)
	v_add_nc_u32_e32 v10, v10, v14
	v_mul_lo_u32 v14, s0, v8
	v_add_nc_u32_e32 v10, v10, v18
	s_delay_alu instid0(VALU_DEP_2) | instskip(NEXT) | instid1(VALU_DEP_2)
	v_mul_hi_u32 v18, v8, v14
	v_mul_lo_u32 v42, v8, v10
	v_mul_hi_u32 v43, v8, v10
	v_mul_hi_u32 v44, v9, v14
	v_mul_lo_u32 v14, v9, v14
	v_mul_hi_u32 v45, v9, v10
	v_mul_lo_u32 v10, v9, v10
	v_add_co_u32 v18, vcc_lo, v18, v42
	v_add_co_ci_u32_e32 v42, vcc_lo, 0, v43, vcc_lo
	s_delay_alu instid0(VALU_DEP_2) | instskip(NEXT) | instid1(VALU_DEP_2)
	v_add_co_u32 v14, vcc_lo, v18, v14
	v_add_co_ci_u32_e32 v14, vcc_lo, v42, v44, vcc_lo
	v_add_co_ci_u32_e32 v18, vcc_lo, 0, v45, vcc_lo
	s_delay_alu instid0(VALU_DEP_2) | instskip(NEXT) | instid1(VALU_DEP_2)
	v_add_co_u32 v10, vcc_lo, v14, v10
	v_add_co_ci_u32_e32 v14, vcc_lo, 0, v18, vcc_lo
	s_delay_alu instid0(VALU_DEP_2) | instskip(NEXT) | instid1(VALU_DEP_2)
	v_add_co_u32 v10, vcc_lo, v8, v10
	v_add_co_ci_u32_e32 v14, vcc_lo, v9, v14, vcc_lo
	s_delay_alu instid0(VALU_DEP_2) | instskip(SKIP_1) | instid1(VALU_DEP_3)
	v_mul_hi_u32 v18, v1, v10
	v_mad_u64_u32 v[42:43], null, v0, v10, 0
	v_mad_u64_u32 v[8:9], null, v1, v14, 0
	;; [unrolled: 1-line block ×3, first 2 shown]
	s_delay_alu instid0(VALU_DEP_2) | instskip(NEXT) | instid1(VALU_DEP_3)
	v_add_co_u32 v8, vcc_lo, v18, v8
	v_add_co_ci_u32_e32 v9, vcc_lo, 0, v9, vcc_lo
	s_delay_alu instid0(VALU_DEP_2) | instskip(NEXT) | instid1(VALU_DEP_2)
	v_add_co_u32 v8, vcc_lo, v8, v42
	v_add_co_ci_u32_e32 v8, vcc_lo, v9, v43, vcc_lo
	v_add_co_ci_u32_e32 v9, vcc_lo, 0, v45, vcc_lo
	s_delay_alu instid0(VALU_DEP_2) | instskip(NEXT) | instid1(VALU_DEP_2)
	v_add_co_u32 v10, vcc_lo, v8, v44
	v_add_co_ci_u32_e32 v14, vcc_lo, 0, v9, vcc_lo
	s_delay_alu instid0(VALU_DEP_2) | instskip(SKIP_1) | instid1(VALU_DEP_3)
	v_mul_lo_u32 v18, s15, v10
	v_mad_u64_u32 v[8:9], null, s14, v10, 0
	v_mul_lo_u32 v10, s14, v14
	s_delay_alu instid0(VALU_DEP_2) | instskip(NEXT) | instid1(VALU_DEP_2)
	v_sub_co_u32 v8, vcc_lo, v1, v8
	v_add3_u32 v9, v9, v10, v18
	s_delay_alu instid0(VALU_DEP_1) | instskip(NEXT) | instid1(VALU_DEP_1)
	v_sub_nc_u32_e32 v10, v0, v9
	v_subrev_co_ci_u32_e64 v10, s0, s15, v10, vcc_lo
	s_delay_alu instid0(VALU_DEP_4) | instskip(SKIP_1) | instid1(VALU_DEP_3)
	v_sub_co_u32 v14, s0, v8, s14
	v_sub_co_ci_u32_e32 v0, vcc_lo, v0, v9, vcc_lo
	v_subrev_co_ci_u32_e64 v10, s0, 0, v10, s0
	s_delay_alu instid0(VALU_DEP_3) | instskip(SKIP_1) | instid1(VALU_DEP_3)
	v_cmp_le_u32_e32 vcc_lo, s14, v14
	v_cndmask_b32_e64 v9, 0, -1, vcc_lo
	v_cmp_le_u32_e32 vcc_lo, s15, v10
	v_cndmask_b32_e64 v18, 0, -1, vcc_lo
	v_cmp_le_u32_e32 vcc_lo, s14, v8
	v_cndmask_b32_e64 v42, 0, -1, vcc_lo
	v_cmp_le_u32_e32 vcc_lo, s15, v0
	v_cndmask_b32_e64 v43, 0, -1, vcc_lo
	v_cmp_eq_u32_e32 vcc_lo, s15, v10
	v_cndmask_b32_e32 v9, v18, v9, vcc_lo
	v_sub_co_u32 v10, vcc_lo, v14, s14
	v_cmp_eq_u32_e32 vcc_lo, s15, v0
	v_cndmask_b32_e32 v0, v43, v42, vcc_lo
	s_delay_alu instid0(VALU_DEP_4) | instskip(NEXT) | instid1(VALU_DEP_4)
	v_cmp_ne_u32_e32 vcc_lo, 0, v9
	v_cndmask_b32_e32 v9, v14, v10, vcc_lo
	s_delay_alu instid0(VALU_DEP_3) | instskip(NEXT) | instid1(VALU_DEP_2)
	v_cmp_ne_u32_e32 vcc_lo, 0, v0
	v_cndmask_b32_e32 v8, v8, v9, vcc_lo
.LBB1_35:                               ;   in Loop: Header=BB1_9 Depth=1
	s_and_not1_saveexec_b32 s0, s1
	s_cbranch_execz .LBB1_37
; %bb.36:                               ;   in Loop: Header=BB1_9 Depth=1
	v_cvt_f32_u32_e32 v0, s14
	s_sub_i32 s1, 0, s14
	s_delay_alu instid0(VALU_DEP_1) | instskip(SKIP_2) | instid1(VALU_DEP_1)
	v_rcp_iflag_f32_e32 v0, v0
	s_waitcnt_depctr 0xfff
	v_mul_f32_e32 v0, 0x4f7ffffe, v0
	v_cvt_u32_f32_e32 v0, v0
	s_delay_alu instid0(VALU_DEP_1) | instskip(NEXT) | instid1(VALU_DEP_1)
	v_mul_lo_u32 v8, s1, v0
	v_mul_hi_u32 v8, v0, v8
	s_delay_alu instid0(VALU_DEP_1) | instskip(NEXT) | instid1(VALU_DEP_1)
	v_add_nc_u32_e32 v0, v0, v8
	v_mul_hi_u32 v0, v1, v0
	s_delay_alu instid0(VALU_DEP_1) | instskip(NEXT) | instid1(VALU_DEP_1)
	v_mul_lo_u32 v0, v0, s14
	v_sub_nc_u32_e32 v0, v1, v0
	s_delay_alu instid0(VALU_DEP_1) | instskip(SKIP_1) | instid1(VALU_DEP_2)
	v_subrev_nc_u32_e32 v1, s14, v0
	v_cmp_le_u32_e32 vcc_lo, s14, v0
	v_cndmask_b32_e32 v0, v0, v1, vcc_lo
	s_delay_alu instid0(VALU_DEP_1) | instskip(SKIP_1) | instid1(VALU_DEP_2)
	v_subrev_nc_u32_e32 v1, s14, v0
	v_cmp_le_u32_e32 vcc_lo, s14, v0
	v_cndmask_b32_e32 v8, v0, v1, vcc_lo
.LBB1_37:                               ;   in Loop: Header=BB1_9 Depth=1
	s_or_b32 exec_lo, exec_lo, s0
	s_delay_alu instid0(VALU_DEP_1)
	v_add_nc_u32_e32 v0, s20, v8
	global_store_b8 v7, v0, s[12:13]
.LBB1_38:                               ;   in Loop: Header=BB1_9 Depth=1
	s_or_b32 exec_lo, exec_lo, s36
	v_add_co_u32 v0, vcc_lo, v15, s28
	v_add_co_ci_u32_e32 v1, vcc_lo, 0, v16, vcc_lo
	s_mov_b32 s36, exec_lo
	s_delay_alu instid0(VALU_DEP_1)
	v_cmpx_gt_i64_e64 s[16:17], v[0:1]
	s_cbranch_execz .LBB1_8
; %bb.39:                               ;   in Loop: Header=BB1_9 Depth=1
	s_and_not1_b32 vcc_lo, exec_lo, s11
	s_cbranch_vccnz .LBB1_45
; %bb.40:                               ;   in Loop: Header=BB1_9 Depth=1
	v_mov_b32_e32 v7, 0
	s_and_not1_b32 vcc_lo, exec_lo, s21
	s_cbranch_vccnz .LBB1_49
; %bb.41:                               ;   in Loop: Header=BB1_9 Depth=1
	s_and_not1_b32 vcc_lo, exec_lo, s33
	s_mov_b32 s0, 0
	s_cbranch_vccnz .LBB1_46
; %bb.42:                               ;   in Loop: Header=BB1_9 Depth=1
	v_mov_b32_e32 v7, 0
	v_mov_b32_e32 v1, v0
	s_mov_b32 s37, 0
	s_mov_b64 s[0:1], s[18:19]
	s_mov_b64 s[26:27], s[24:25]
.LBB1_43:                               ;   Parent Loop BB1_9 Depth=1
                                        ; =>  This Inner Loop Header: Depth=2
	s_clause 0x1
	s_load_b256 s[40:47], s[0:1], 0x4
	s_load_b128 s[48:51], s[0:1], 0x24
	s_load_b128 s[52:55], s[26:27], 0x0
	s_add_u32 s0, s0, 48
	s_addc_u32 s1, s1, 0
	s_add_i32 s37, s37, 4
	s_add_u32 s26, s26, 16
	s_addc_u32 s27, s27, 0
	s_cmp_eq_u32 s34, s37
	s_waitcnt lgkmcnt(0)
	v_mul_hi_u32 v8, s41, v1
	s_delay_alu instid0(VALU_DEP_1) | instskip(NEXT) | instid1(VALU_DEP_1)
	v_add_nc_u32_e32 v8, v1, v8
	v_lshrrev_b32_e32 v8, s42, v8
	s_delay_alu instid0(VALU_DEP_1) | instskip(SKIP_1) | instid1(VALU_DEP_2)
	v_mul_hi_u32 v9, s44, v8
	v_mul_lo_u32 v18, v8, s40
	v_add_nc_u32_e32 v9, v8, v9
	s_delay_alu instid0(VALU_DEP_2) | instskip(NEXT) | instid1(VALU_DEP_2)
	v_sub_nc_u32_e32 v18, v1, v18
	v_lshrrev_b32_e32 v9, s45, v9
	s_delay_alu instid0(VALU_DEP_2) | instskip(NEXT) | instid1(VALU_DEP_2)
	v_mul_lo_u32 v18, v18, s52
	v_mul_hi_u32 v10, s47, v9
	v_mul_lo_u32 v42, v9, s43
	s_delay_alu instid0(VALU_DEP_2) | instskip(NEXT) | instid1(VALU_DEP_2)
	v_add_nc_u32_e32 v10, v9, v10
	v_sub_nc_u32_e32 v8, v8, v42
	s_delay_alu instid0(VALU_DEP_2) | instskip(NEXT) | instid1(VALU_DEP_2)
	v_lshrrev_b32_e32 v10, s48, v10
	v_mul_lo_u32 v8, v8, s53
	s_delay_alu instid0(VALU_DEP_2) | instskip(NEXT) | instid1(VALU_DEP_2)
	v_mul_hi_u32 v14, s50, v10
	v_add3_u32 v7, v18, v7, v8
	s_delay_alu instid0(VALU_DEP_2) | instskip(NEXT) | instid1(VALU_DEP_1)
	v_add_nc_u32_e32 v14, v10, v14
	v_lshrrev_b32_e32 v1, s51, v14
	v_mul_lo_u32 v14, v10, s46
	s_delay_alu instid0(VALU_DEP_2) | instskip(NEXT) | instid1(VALU_DEP_2)
	v_mul_lo_u32 v43, v1, s49
	v_sub_nc_u32_e32 v9, v9, v14
	s_delay_alu instid0(VALU_DEP_2) | instskip(NEXT) | instid1(VALU_DEP_2)
	v_sub_nc_u32_e32 v10, v10, v43
	v_mul_lo_u32 v9, v9, s54
	s_delay_alu instid0(VALU_DEP_2) | instskip(NEXT) | instid1(VALU_DEP_1)
	v_mul_lo_u32 v10, v10, s55
	v_add3_u32 v7, v9, v7, v10
	s_cbranch_scc0 .LBB1_43
; %bb.44:                               ;   in Loop: Header=BB1_9 Depth=1
	s_mov_b32 s0, s34
	s_and_not1_b32 vcc_lo, exec_lo, s35
	s_cbranch_vccz .LBB1_47
	s_branch .LBB1_49
.LBB1_45:                               ;   in Loop: Header=BB1_9 Depth=1
                                        ; implicit-def: $vgpr7
	s_branch .LBB1_50
.LBB1_46:                               ;   in Loop: Header=BB1_9 Depth=1
	v_mov_b32_e32 v1, v0
	s_and_not1_b32 vcc_lo, exec_lo, s35
	s_cbranch_vccnz .LBB1_49
.LBB1_47:                               ;   in Loop: Header=BB1_9 Depth=1
	s_lshl_b32 s1, s0, 2
	s_mul_i32 s26, s0, 12
	s_add_u32 s0, s24, s1
	s_addc_u32 s1, s25, 0
	s_add_u32 s26, s18, s26
	s_addc_u32 s27, s19, 0
	s_mov_b32 s37, s31
	.p2align	6
.LBB1_48:                               ;   Parent Loop BB1_9 Depth=1
                                        ; =>  This Inner Loop Header: Depth=2
	s_clause 0x1
	s_load_b64 s[38:39], s[26:27], 0x4
	s_load_b32 s40, s[26:27], 0xc
	s_add_u32 s26, s26, 12
	s_addc_u32 s27, s27, 0
	s_waitcnt lgkmcnt(0)
	v_mul_hi_u32 v8, s39, v1
	s_load_b32 s39, s[0:1], 0x0
	s_add_u32 s0, s0, 4
	s_addc_u32 s1, s1, 0
	s_add_i32 s37, s37, -1
	s_delay_alu instid0(SALU_CYCLE_1) | instskip(NEXT) | instid1(VALU_DEP_1)
	s_cmp_lg_u32 s37, 0
	v_add_nc_u32_e32 v8, v1, v8
	s_delay_alu instid0(VALU_DEP_1) | instskip(NEXT) | instid1(VALU_DEP_1)
	v_lshrrev_b32_e32 v10, s40, v8
	v_mul_lo_u32 v8, v10, s38
	s_delay_alu instid0(VALU_DEP_1) | instskip(SKIP_1) | instid1(VALU_DEP_1)
	v_sub_nc_u32_e32 v1, v1, v8
	s_waitcnt lgkmcnt(0)
	v_mad_u64_u32 v[8:9], null, v1, s39, v[7:8]
	v_mov_b32_e32 v1, v10
	s_delay_alu instid0(VALU_DEP_2)
	v_mov_b32_e32 v7, v8
	s_cbranch_scc1 .LBB1_48
.LBB1_49:                               ;   in Loop: Header=BB1_9 Depth=1
	s_cbranch_execnz .LBB1_52
.LBB1_50:                               ;   in Loop: Header=BB1_9 Depth=1
	v_mul_hi_u32 v1, v0, s6
	s_and_not1_b32 vcc_lo, exec_lo, s4
	s_delay_alu instid0(VALU_DEP_1) | instskip(NEXT) | instid1(VALU_DEP_1)
	v_add_nc_u32_e32 v1, v1, v0
	v_lshrrev_b32_e32 v1, s7, v1
	s_delay_alu instid0(VALU_DEP_1) | instskip(NEXT) | instid1(VALU_DEP_1)
	v_mul_lo_u32 v7, v1, s5
	v_sub_nc_u32_e32 v0, v0, v7
	s_delay_alu instid0(VALU_DEP_1)
	v_mul_lo_u32 v7, v0, s22
	s_cbranch_vccnz .LBB1_52
; %bb.51:                               ;   in Loop: Header=BB1_9 Depth=1
	v_mul_hi_u32 v0, s9, v1
	s_delay_alu instid0(VALU_DEP_1) | instskip(NEXT) | instid1(VALU_DEP_1)
	v_add_nc_u32_e32 v0, v1, v0
	v_lshrrev_b32_e32 v0, s10, v0
	s_delay_alu instid0(VALU_DEP_1) | instskip(NEXT) | instid1(VALU_DEP_1)
	v_mul_lo_u32 v0, v0, s8
	v_sub_nc_u32_e32 v8, v1, v0
	s_delay_alu instid0(VALU_DEP_1) | instskip(NEXT) | instid1(VALU_DEP_1)
	v_mad_u64_u32 v[0:1], null, v8, s23, v[7:8]
	v_mov_b32_e32 v7, v0
.LBB1_52:                               ;   in Loop: Header=BB1_9 Depth=1
	v_or_b32_e32 v14, s15, v2
                                        ; implicit-def: $vgpr8_vgpr9
	s_mov_b32 s0, exec_lo
	s_delay_alu instid0(VALU_DEP_1)
	v_cmpx_ne_u64_e32 0, v[13:14]
	s_xor_b32 s1, exec_lo, s0
	s_cbranch_execz .LBB1_54
; %bb.53:                               ;   in Loop: Header=BB1_9 Depth=1
	v_cvt_f32_u32_e32 v0, s14
	v_cvt_f32_u32_e32 v1, s15
	s_sub_u32 s0, 0, s14
	s_subb_u32 s26, 0, s15
	s_delay_alu instid0(VALU_DEP_1) | instskip(NEXT) | instid1(VALU_DEP_1)
	v_fmac_f32_e32 v0, 0x4f800000, v1
	v_rcp_f32_e32 v0, v0
	s_waitcnt_depctr 0xfff
	v_mul_f32_e32 v0, 0x5f7ffffc, v0
	s_delay_alu instid0(VALU_DEP_1) | instskip(NEXT) | instid1(VALU_DEP_1)
	v_mul_f32_e32 v1, 0x2f800000, v0
	v_trunc_f32_e32 v1, v1
	s_delay_alu instid0(VALU_DEP_1) | instskip(SKIP_1) | instid1(VALU_DEP_2)
	v_fmac_f32_e32 v0, 0xcf800000, v1
	v_cvt_u32_f32_e32 v1, v1
	v_cvt_u32_f32_e32 v0, v0
	s_delay_alu instid0(VALU_DEP_2) | instskip(NEXT) | instid1(VALU_DEP_2)
	v_mul_lo_u32 v8, s0, v1
	v_mul_hi_u32 v9, s0, v0
	v_mul_lo_u32 v10, s26, v0
	s_delay_alu instid0(VALU_DEP_2) | instskip(SKIP_1) | instid1(VALU_DEP_2)
	v_add_nc_u32_e32 v8, v9, v8
	v_mul_lo_u32 v9, s0, v0
	v_add_nc_u32_e32 v8, v8, v10
	s_delay_alu instid0(VALU_DEP_2) | instskip(NEXT) | instid1(VALU_DEP_2)
	v_mul_hi_u32 v10, v0, v9
	v_mul_lo_u32 v14, v0, v8
	v_mul_hi_u32 v18, v0, v8
	v_mul_hi_u32 v42, v1, v9
	v_mul_lo_u32 v9, v1, v9
	v_mul_hi_u32 v43, v1, v8
	v_mul_lo_u32 v8, v1, v8
	v_add_co_u32 v10, vcc_lo, v10, v14
	v_add_co_ci_u32_e32 v14, vcc_lo, 0, v18, vcc_lo
	s_delay_alu instid0(VALU_DEP_2) | instskip(NEXT) | instid1(VALU_DEP_2)
	v_add_co_u32 v9, vcc_lo, v10, v9
	v_add_co_ci_u32_e32 v9, vcc_lo, v14, v42, vcc_lo
	v_add_co_ci_u32_e32 v10, vcc_lo, 0, v43, vcc_lo
	s_delay_alu instid0(VALU_DEP_2) | instskip(NEXT) | instid1(VALU_DEP_2)
	v_add_co_u32 v8, vcc_lo, v9, v8
	v_add_co_ci_u32_e32 v9, vcc_lo, 0, v10, vcc_lo
	s_delay_alu instid0(VALU_DEP_2) | instskip(NEXT) | instid1(VALU_DEP_2)
	v_add_co_u32 v0, vcc_lo, v0, v8
	v_add_co_ci_u32_e32 v1, vcc_lo, v1, v9, vcc_lo
	s_delay_alu instid0(VALU_DEP_2) | instskip(SKIP_1) | instid1(VALU_DEP_3)
	v_mul_hi_u32 v8, s0, v0
	v_mul_lo_u32 v10, s26, v0
	v_mul_lo_u32 v9, s0, v1
	s_delay_alu instid0(VALU_DEP_1) | instskip(SKIP_1) | instid1(VALU_DEP_2)
	v_add_nc_u32_e32 v8, v8, v9
	v_mul_lo_u32 v9, s0, v0
	v_add_nc_u32_e32 v8, v8, v10
	s_delay_alu instid0(VALU_DEP_2) | instskip(NEXT) | instid1(VALU_DEP_2)
	v_mul_hi_u32 v10, v0, v9
	v_mul_lo_u32 v14, v0, v8
	v_mul_hi_u32 v18, v0, v8
	v_mul_hi_u32 v42, v1, v9
	v_mul_lo_u32 v9, v1, v9
	v_mul_hi_u32 v43, v1, v8
	v_mul_lo_u32 v8, v1, v8
	v_add_co_u32 v10, vcc_lo, v10, v14
	v_add_co_ci_u32_e32 v14, vcc_lo, 0, v18, vcc_lo
	s_delay_alu instid0(VALU_DEP_2) | instskip(NEXT) | instid1(VALU_DEP_2)
	v_add_co_u32 v9, vcc_lo, v10, v9
	v_add_co_ci_u32_e32 v9, vcc_lo, v14, v42, vcc_lo
	v_add_co_ci_u32_e32 v10, vcc_lo, 0, v43, vcc_lo
	s_delay_alu instid0(VALU_DEP_2) | instskip(NEXT) | instid1(VALU_DEP_2)
	v_add_co_u32 v8, vcc_lo, v9, v8
	v_add_co_ci_u32_e32 v9, vcc_lo, 0, v10, vcc_lo
	s_delay_alu instid0(VALU_DEP_2) | instskip(NEXT) | instid1(VALU_DEP_2)
	v_add_co_u32 v10, vcc_lo, v0, v8
	v_add_co_ci_u32_e32 v14, vcc_lo, v1, v9, vcc_lo
	s_delay_alu instid0(VALU_DEP_2) | instskip(SKIP_1) | instid1(VALU_DEP_3)
	v_mul_hi_u32 v18, v3, v10
	v_mad_u64_u32 v[8:9], null, v2, v10, 0
	v_mad_u64_u32 v[0:1], null, v3, v14, 0
	;; [unrolled: 1-line block ×3, first 2 shown]
	s_delay_alu instid0(VALU_DEP_2) | instskip(NEXT) | instid1(VALU_DEP_3)
	v_add_co_u32 v0, vcc_lo, v18, v0
	v_add_co_ci_u32_e32 v1, vcc_lo, 0, v1, vcc_lo
	s_delay_alu instid0(VALU_DEP_2) | instskip(NEXT) | instid1(VALU_DEP_2)
	v_add_co_u32 v0, vcc_lo, v0, v8
	v_add_co_ci_u32_e32 v0, vcc_lo, v1, v9, vcc_lo
	v_add_co_ci_u32_e32 v1, vcc_lo, 0, v43, vcc_lo
	s_delay_alu instid0(VALU_DEP_2) | instskip(NEXT) | instid1(VALU_DEP_2)
	v_add_co_u32 v8, vcc_lo, v0, v42
	v_add_co_ci_u32_e32 v9, vcc_lo, 0, v1, vcc_lo
	s_delay_alu instid0(VALU_DEP_2) | instskip(SKIP_1) | instid1(VALU_DEP_3)
	v_mul_lo_u32 v10, s15, v8
	v_mad_u64_u32 v[0:1], null, s14, v8, 0
	v_mul_lo_u32 v8, s14, v9
	s_delay_alu instid0(VALU_DEP_2) | instskip(NEXT) | instid1(VALU_DEP_2)
	v_sub_co_u32 v0, vcc_lo, v3, v0
	v_add3_u32 v1, v1, v8, v10
	s_delay_alu instid0(VALU_DEP_1) | instskip(NEXT) | instid1(VALU_DEP_1)
	v_sub_nc_u32_e32 v8, v2, v1
	v_subrev_co_ci_u32_e64 v3, s0, s15, v8, vcc_lo
	s_delay_alu instid0(VALU_DEP_4) | instskip(SKIP_1) | instid1(VALU_DEP_3)
	v_sub_co_u32 v8, s0, v0, s14
	v_sub_co_ci_u32_e32 v1, vcc_lo, v2, v1, vcc_lo
	v_subrev_co_ci_u32_e64 v3, s0, 0, v3, s0
	s_delay_alu instid0(VALU_DEP_3) | instskip(SKIP_1) | instid1(VALU_DEP_3)
	v_cmp_le_u32_e32 vcc_lo, s14, v8
	v_cndmask_b32_e64 v2, 0, -1, vcc_lo
	v_cmp_le_u32_e32 vcc_lo, s15, v3
	v_cndmask_b32_e64 v9, 0, -1, vcc_lo
	;; [unrolled: 2-line block ×4, first 2 shown]
	v_cmp_eq_u32_e32 vcc_lo, s15, v3
	v_cndmask_b32_e32 v2, v9, v2, vcc_lo
	v_sub_co_u32 v3, vcc_lo, v8, s14
	v_cmp_eq_u32_e32 vcc_lo, s15, v1
	v_cndmask_b32_e32 v1, v14, v10, vcc_lo
	s_delay_alu instid0(VALU_DEP_4) | instskip(NEXT) | instid1(VALU_DEP_4)
	v_cmp_ne_u32_e32 vcc_lo, 0, v2
	v_cndmask_b32_e32 v2, v8, v3, vcc_lo
	s_delay_alu instid0(VALU_DEP_3) | instskip(NEXT) | instid1(VALU_DEP_2)
	v_cmp_ne_u32_e32 vcc_lo, 0, v1
	v_cndmask_b32_e32 v8, v0, v2, vcc_lo
                                        ; implicit-def: $vgpr0_vgpr1_vgpr2_vgpr3
.LBB1_54:                               ;   in Loop: Header=BB1_9 Depth=1
	s_and_not1_saveexec_b32 s0, s1
	s_cbranch_execz .LBB1_7
; %bb.55:                               ;   in Loop: Header=BB1_9 Depth=1
	v_cvt_f32_u32_e32 v0, s14
	s_sub_i32 s1, 0, s14
	s_delay_alu instid0(VALU_DEP_1) | instskip(SKIP_2) | instid1(VALU_DEP_1)
	v_rcp_iflag_f32_e32 v0, v0
	s_waitcnt_depctr 0xfff
	v_mul_f32_e32 v0, 0x4f7ffffe, v0
	v_cvt_u32_f32_e32 v0, v0
	s_delay_alu instid0(VALU_DEP_1) | instskip(NEXT) | instid1(VALU_DEP_1)
	v_mul_lo_u32 v1, s1, v0
	v_mul_hi_u32 v1, v0, v1
	s_delay_alu instid0(VALU_DEP_1) | instskip(NEXT) | instid1(VALU_DEP_1)
	v_add_nc_u32_e32 v0, v0, v1
	v_mul_hi_u32 v0, v3, v0
	s_delay_alu instid0(VALU_DEP_1) | instskip(NEXT) | instid1(VALU_DEP_1)
	v_mul_lo_u32 v0, v0, s14
	v_sub_nc_u32_e32 v0, v3, v0
	s_delay_alu instid0(VALU_DEP_1) | instskip(SKIP_1) | instid1(VALU_DEP_2)
	v_subrev_nc_u32_e32 v1, s14, v0
	v_cmp_le_u32_e32 vcc_lo, s14, v0
	v_cndmask_b32_e32 v0, v0, v1, vcc_lo
	s_delay_alu instid0(VALU_DEP_1) | instskip(SKIP_1) | instid1(VALU_DEP_2)
	v_subrev_nc_u32_e32 v1, s14, v0
	v_cmp_le_u32_e32 vcc_lo, s14, v0
	v_cndmask_b32_e32 v8, v0, v1, vcc_lo
	s_branch .LBB1_7
.LBB1_56:
	s_endpgm
.LBB1_57:
                                        ; implicit-def: $sgpr2_sgpr3
	s_branch .LBB1_4
	.section	.rodata,"a",@progbits
	.p2align	6, 0x0
	.amdhsa_kernel _ZN2at6native12_GLOBAL__N_143distribution_elementwise_grid_stride_kernelImLi2EZZZNS0_9templates4cuda21random_from_to_kernelIPNS_17CUDAGeneratorImplEEEvRNS_18TensorIteratorBaseEmlT_ENKUlvE_clEvENKUlvE_clEvEUlP25hiprandStatePhilox4_32_10E_ZNS1_27distribution_nullary_kernelIhm15HIP_vector_typeIyLj2EES7_SF_ZZZNS5_IS7_EEvS9_mlSA_ENKSB_clEvENKSC_clEvEUlmE_EEvS9_T2_RKT3_T4_EUlimE0_EEvlNS_15PhiloxCudaStateET1_SK_
		.amdhsa_group_segment_fixed_size 0
		.amdhsa_private_segment_fixed_size 0
		.amdhsa_kernarg_size 592
		.amdhsa_user_sgpr_count 15
		.amdhsa_user_sgpr_dispatch_ptr 0
		.amdhsa_user_sgpr_queue_ptr 0
		.amdhsa_user_sgpr_kernarg_segment_ptr 1
		.amdhsa_user_sgpr_dispatch_id 0
		.amdhsa_user_sgpr_private_segment_size 0
		.amdhsa_wavefront_size32 1
		.amdhsa_uses_dynamic_stack 0
		.amdhsa_enable_private_segment 0
		.amdhsa_system_sgpr_workgroup_id_x 1
		.amdhsa_system_sgpr_workgroup_id_y 0
		.amdhsa_system_sgpr_workgroup_id_z 0
		.amdhsa_system_sgpr_workgroup_info 0
		.amdhsa_system_vgpr_workitem_id 0
		.amdhsa_next_free_vgpr 46
		.amdhsa_next_free_sgpr 56
		.amdhsa_reserve_vcc 1
		.amdhsa_float_round_mode_32 0
		.amdhsa_float_round_mode_16_64 0
		.amdhsa_float_denorm_mode_32 3
		.amdhsa_float_denorm_mode_16_64 3
		.amdhsa_dx10_clamp 1
		.amdhsa_ieee_mode 1
		.amdhsa_fp16_overflow 0
		.amdhsa_workgroup_processor_mode 1
		.amdhsa_memory_ordered 1
		.amdhsa_forward_progress 0
		.amdhsa_shared_vgpr_count 0
		.amdhsa_exception_fp_ieee_invalid_op 0
		.amdhsa_exception_fp_denorm_src 0
		.amdhsa_exception_fp_ieee_div_zero 0
		.amdhsa_exception_fp_ieee_overflow 0
		.amdhsa_exception_fp_ieee_underflow 0
		.amdhsa_exception_fp_ieee_inexact 0
		.amdhsa_exception_int_div_zero 0
	.end_amdhsa_kernel
	.section	.text._ZN2at6native12_GLOBAL__N_143distribution_elementwise_grid_stride_kernelImLi2EZZZNS0_9templates4cuda21random_from_to_kernelIPNS_17CUDAGeneratorImplEEEvRNS_18TensorIteratorBaseEmlT_ENKUlvE_clEvENKUlvE_clEvEUlP25hiprandStatePhilox4_32_10E_ZNS1_27distribution_nullary_kernelIhm15HIP_vector_typeIyLj2EES7_SF_ZZZNS5_IS7_EEvS9_mlSA_ENKSB_clEvENKSC_clEvEUlmE_EEvS9_T2_RKT3_T4_EUlimE0_EEvlNS_15PhiloxCudaStateET1_SK_,"axG",@progbits,_ZN2at6native12_GLOBAL__N_143distribution_elementwise_grid_stride_kernelImLi2EZZZNS0_9templates4cuda21random_from_to_kernelIPNS_17CUDAGeneratorImplEEEvRNS_18TensorIteratorBaseEmlT_ENKUlvE_clEvENKUlvE_clEvEUlP25hiprandStatePhilox4_32_10E_ZNS1_27distribution_nullary_kernelIhm15HIP_vector_typeIyLj2EES7_SF_ZZZNS5_IS7_EEvS9_mlSA_ENKSB_clEvENKSC_clEvEUlmE_EEvS9_T2_RKT3_T4_EUlimE0_EEvlNS_15PhiloxCudaStateET1_SK_,comdat
.Lfunc_end1:
	.size	_ZN2at6native12_GLOBAL__N_143distribution_elementwise_grid_stride_kernelImLi2EZZZNS0_9templates4cuda21random_from_to_kernelIPNS_17CUDAGeneratorImplEEEvRNS_18TensorIteratorBaseEmlT_ENKUlvE_clEvENKUlvE_clEvEUlP25hiprandStatePhilox4_32_10E_ZNS1_27distribution_nullary_kernelIhm15HIP_vector_typeIyLj2EES7_SF_ZZZNS5_IS7_EEvS9_mlSA_ENKSB_clEvENKSC_clEvEUlmE_EEvS9_T2_RKT3_T4_EUlimE0_EEvlNS_15PhiloxCudaStateET1_SK_, .Lfunc_end1-_ZN2at6native12_GLOBAL__N_143distribution_elementwise_grid_stride_kernelImLi2EZZZNS0_9templates4cuda21random_from_to_kernelIPNS_17CUDAGeneratorImplEEEvRNS_18TensorIteratorBaseEmlT_ENKUlvE_clEvENKUlvE_clEvEUlP25hiprandStatePhilox4_32_10E_ZNS1_27distribution_nullary_kernelIhm15HIP_vector_typeIyLj2EES7_SF_ZZZNS5_IS7_EEvS9_mlSA_ENKSB_clEvENKSC_clEvEUlmE_EEvS9_T2_RKT3_T4_EUlimE0_EEvlNS_15PhiloxCudaStateET1_SK_
                                        ; -- End function
	.section	.AMDGPU.csdata,"",@progbits
; Kernel info:
; codeLenInByte = 5544
; NumSgprs: 58
; NumVgprs: 46
; ScratchSize: 0
; MemoryBound: 0
; FloatMode: 240
; IeeeMode: 1
; LDSByteSize: 0 bytes/workgroup (compile time only)
; SGPRBlocks: 7
; VGPRBlocks: 5
; NumSGPRsForWavesPerEU: 58
; NumVGPRsForWavesPerEU: 46
; Occupancy: 16
; WaveLimiterHint : 1
; COMPUTE_PGM_RSRC2:SCRATCH_EN: 0
; COMPUTE_PGM_RSRC2:USER_SGPR: 15
; COMPUTE_PGM_RSRC2:TRAP_HANDLER: 0
; COMPUTE_PGM_RSRC2:TGID_X_EN: 1
; COMPUTE_PGM_RSRC2:TGID_Y_EN: 0
; COMPUTE_PGM_RSRC2:TGID_Z_EN: 0
; COMPUTE_PGM_RSRC2:TIDIG_COMP_CNT: 0
	.section	.text._ZN2at6native12_GLOBAL__N_143distribution_elementwise_grid_stride_kernelIjLi4EZZZNS0_9templates4cuda21random_from_to_kernelIPNS_17CUDAGeneratorImplEEEvRNS_18TensorIteratorBaseEmlT_ENKUlvE_clEvENKUlvE_clEvEUlP25hiprandStatePhilox4_32_10E0_ZNS1_27distribution_nullary_kernelIhj15HIP_vector_typeIjLj4EES7_SF_ZZZNS5_IS7_EEvS9_mlSA_ENKSB_clEvENKSC_clEvEUljE_EEvS9_T2_RKT3_T4_EUlijE_EEvlNS_15PhiloxCudaStateET1_SK_,"axG",@progbits,_ZN2at6native12_GLOBAL__N_143distribution_elementwise_grid_stride_kernelIjLi4EZZZNS0_9templates4cuda21random_from_to_kernelIPNS_17CUDAGeneratorImplEEEvRNS_18TensorIteratorBaseEmlT_ENKUlvE_clEvENKUlvE_clEvEUlP25hiprandStatePhilox4_32_10E0_ZNS1_27distribution_nullary_kernelIhj15HIP_vector_typeIjLj4EES7_SF_ZZZNS5_IS7_EEvS9_mlSA_ENKSB_clEvENKSC_clEvEUljE_EEvS9_T2_RKT3_T4_EUlijE_EEvlNS_15PhiloxCudaStateET1_SK_,comdat
	.globl	_ZN2at6native12_GLOBAL__N_143distribution_elementwise_grid_stride_kernelIjLi4EZZZNS0_9templates4cuda21random_from_to_kernelIPNS_17CUDAGeneratorImplEEEvRNS_18TensorIteratorBaseEmlT_ENKUlvE_clEvENKUlvE_clEvEUlP25hiprandStatePhilox4_32_10E0_ZNS1_27distribution_nullary_kernelIhj15HIP_vector_typeIjLj4EES7_SF_ZZZNS5_IS7_EEvS9_mlSA_ENKSB_clEvENKSC_clEvEUljE_EEvS9_T2_RKT3_T4_EUlijE_EEvlNS_15PhiloxCudaStateET1_SK_ ; -- Begin function _ZN2at6native12_GLOBAL__N_143distribution_elementwise_grid_stride_kernelIjLi4EZZZNS0_9templates4cuda21random_from_to_kernelIPNS_17CUDAGeneratorImplEEEvRNS_18TensorIteratorBaseEmlT_ENKUlvE_clEvENKUlvE_clEvEUlP25hiprandStatePhilox4_32_10E0_ZNS1_27distribution_nullary_kernelIhj15HIP_vector_typeIjLj4EES7_SF_ZZZNS5_IS7_EEvS9_mlSA_ENKSB_clEvENKSC_clEvEUljE_EEvS9_T2_RKT3_T4_EUlijE_EEvlNS_15PhiloxCudaStateET1_SK_
	.p2align	8
	.type	_ZN2at6native12_GLOBAL__N_143distribution_elementwise_grid_stride_kernelIjLi4EZZZNS0_9templates4cuda21random_from_to_kernelIPNS_17CUDAGeneratorImplEEEvRNS_18TensorIteratorBaseEmlT_ENKUlvE_clEvENKUlvE_clEvEUlP25hiprandStatePhilox4_32_10E0_ZNS1_27distribution_nullary_kernelIhj15HIP_vector_typeIjLj4EES7_SF_ZZZNS5_IS7_EEvS9_mlSA_ENKSB_clEvENKSC_clEvEUljE_EEvS9_T2_RKT3_T4_EUlijE_EEvlNS_15PhiloxCudaStateET1_SK_,@function
_ZN2at6native12_GLOBAL__N_143distribution_elementwise_grid_stride_kernelIjLi4EZZZNS0_9templates4cuda21random_from_to_kernelIPNS_17CUDAGeneratorImplEEEvRNS_18TensorIteratorBaseEmlT_ENKUlvE_clEvENKUlvE_clEvEUlP25hiprandStatePhilox4_32_10E0_ZNS1_27distribution_nullary_kernelIhj15HIP_vector_typeIjLj4EES7_SF_ZZZNS5_IS7_EEvS9_mlSA_ENKSB_clEvENKSC_clEvEUljE_EEvS9_T2_RKT3_T4_EUlijE_EEvlNS_15PhiloxCudaStateET1_SK_: ; @_ZN2at6native12_GLOBAL__N_143distribution_elementwise_grid_stride_kernelIjLi4EZZZNS0_9templates4cuda21random_from_to_kernelIPNS_17CUDAGeneratorImplEEEvRNS_18TensorIteratorBaseEmlT_ENKUlvE_clEvENKUlvE_clEvEUlP25hiprandStatePhilox4_32_10E0_ZNS1_27distribution_nullary_kernelIhj15HIP_vector_typeIjLj4EES7_SF_ZZZNS5_IS7_EEvS9_mlSA_ENKSB_clEvENKSC_clEvEUljE_EEvS9_T2_RKT3_T4_EUlijE_EEvlNS_15PhiloxCudaStateET1_SK_
; %bb.0:
	s_clause 0x2
	s_load_b64 s[8:9], s[0:1], 0x10
	s_load_b128 s[4:7], s[0:1], 0x0
	s_load_b32 s2, s[0:1], 0x20
	s_waitcnt lgkmcnt(0)
	v_dual_mov_b32 v2, s8 :: v_dual_mov_b32 v3, s9
	v_dual_mov_b32 v14, s7 :: v_dual_mov_b32 v13, s6
	s_bitcmp0_b32 s2, 0
	s_mov_b32 s2, 0
	s_cbranch_scc1 .LBB2_2
; %bb.1:
	v_dual_mov_b32 v1, s8 :: v_dual_mov_b32 v2, s9
	v_dual_mov_b32 v4, s6 :: v_dual_mov_b32 v5, s7
	s_load_b64 s[6:7], s[0:1], 0x18
	flat_load_b64 v[2:3], v[1:2]
	flat_load_b64 v[13:14], v[4:5]
	s_waitcnt vmcnt(1) lgkmcnt(0)
	v_add_co_u32 v2, vcc_lo, v2, s6
	v_add_co_ci_u32_e32 v3, vcc_lo, s7, v3, vcc_lo
.LBB2_2:
	s_clause 0x1
	s_load_b32 s3, s[0:1], 0x5c
	s_load_b32 s14, s[0:1], 0x50
	s_waitcnt lgkmcnt(0)
	s_and_b32 s13, s3, 0xffff
	s_add_u32 s6, s4, -1
	s_mul_i32 s10, s14, s13
	s_addc_u32 s3, s5, -1
	s_lshl_b32 s11, s10, 2
	s_cmp_lg_u64 s[2:3], 0
	s_cbranch_scc0 .LBB2_35
; %bb.3:
	v_cvt_f32_ubyte0_e32 v1, 0
	v_cvt_f32_u32_e32 v4, s11
	s_sub_u32 s8, 0, s11
	s_subb_u32 s9, 0, 0
	s_delay_alu instid0(VALU_DEP_1) | instskip(NEXT) | instid1(VALU_DEP_1)
	v_fmamk_f32 v1, v1, 0x4f800000, v4
	v_rcp_f32_e32 v1, v1
	s_waitcnt_depctr 0xfff
	v_mul_f32_e32 v1, 0x5f7ffffc, v1
	s_delay_alu instid0(VALU_DEP_1) | instskip(NEXT) | instid1(VALU_DEP_1)
	v_mul_f32_e32 v4, 0x2f800000, v1
	v_trunc_f32_e32 v4, v4
	s_delay_alu instid0(VALU_DEP_1) | instskip(SKIP_1) | instid1(VALU_DEP_2)
	v_fmamk_f32 v1, v4, 0xcf800000, v1
	v_cvt_u32_f32_e32 v4, v4
	v_cvt_u32_f32_e32 v1, v1
	s_delay_alu instid0(VALU_DEP_2) | instskip(NEXT) | instid1(VALU_DEP_2)
	v_readfirstlane_b32 s2, v4
	v_readfirstlane_b32 s7, v1
	s_delay_alu instid0(VALU_DEP_2) | instskip(NEXT) | instid1(VALU_DEP_1)
	s_mul_i32 s12, s8, s2
	s_mul_hi_u32 s17, s8, s7
	s_mul_i32 s16, s9, s7
	s_add_i32 s12, s17, s12
	s_mul_i32 s18, s8, s7
	s_add_i32 s12, s12, s16
	s_mul_hi_u32 s17, s7, s18
	s_mul_hi_u32 s19, s2, s18
	s_mul_i32 s16, s2, s18
	s_mul_hi_u32 s18, s7, s12
	s_mul_i32 s7, s7, s12
	s_mul_hi_u32 s20, s2, s12
	s_add_u32 s7, s17, s7
	s_addc_u32 s17, 0, s18
	s_add_u32 s7, s7, s16
	s_mul_i32 s12, s2, s12
	s_addc_u32 s7, s17, s19
	s_addc_u32 s16, s20, 0
	s_add_u32 s7, s7, s12
	s_addc_u32 s12, 0, s16
	v_add_co_u32 v1, s7, v1, s7
	s_delay_alu instid0(VALU_DEP_1) | instskip(SKIP_1) | instid1(VALU_DEP_1)
	s_cmp_lg_u32 s7, 0
	s_addc_u32 s2, s2, s12
	v_readfirstlane_b32 s7, v1
	s_mul_i32 s12, s8, s2
	s_delay_alu instid0(VALU_DEP_1)
	s_mul_hi_u32 s16, s8, s7
	s_mul_i32 s9, s9, s7
	s_add_i32 s12, s16, s12
	s_mul_i32 s8, s8, s7
	s_add_i32 s12, s12, s9
	s_mul_hi_u32 s16, s2, s8
	s_mul_i32 s17, s2, s8
	s_mul_hi_u32 s8, s7, s8
	s_mul_hi_u32 s18, s7, s12
	s_mul_i32 s7, s7, s12
	s_mul_hi_u32 s9, s2, s12
	s_add_u32 s7, s8, s7
	s_addc_u32 s8, 0, s18
	s_add_u32 s7, s7, s17
	s_mul_i32 s12, s2, s12
	s_addc_u32 s7, s8, s16
	s_addc_u32 s8, s9, 0
	s_add_u32 s7, s7, s12
	s_addc_u32 s8, 0, s8
	v_add_co_u32 v1, s7, v1, s7
	s_delay_alu instid0(VALU_DEP_1) | instskip(SKIP_2) | instid1(VALU_DEP_1)
	s_cmp_lg_u32 s7, 0
	s_addc_u32 s7, s2, s8
	s_ashr_i32 s8, s3, 31
	v_readfirstlane_b32 s12, v1
	s_add_u32 s2, s6, s8
	s_mov_b32 s9, s8
	s_addc_u32 s3, s3, s8
	s_delay_alu instid0(SALU_CYCLE_1) | instskip(NEXT) | instid1(SALU_CYCLE_1)
	s_xor_b64 s[2:3], s[2:3], s[8:9]
	s_mul_i32 s17, s2, s7
	s_mul_hi_u32 s18, s2, s12
	s_mul_hi_u32 s16, s2, s7
	;; [unrolled: 1-line block ×3, first 2 shown]
	s_mul_i32 s12, s3, s12
	s_add_u32 s17, s18, s17
	s_addc_u32 s16, 0, s16
	s_mul_hi_u32 s19, s3, s7
	s_add_u32 s12, s17, s12
	s_mul_i32 s7, s3, s7
	s_addc_u32 s12, s16, s20
	s_addc_u32 s16, s19, 0
	s_add_u32 s7, s12, s7
	s_addc_u32 s12, 0, s16
	s_mul_i32 s17, s11, s7
	s_add_u32 s16, s7, 1
	v_sub_co_u32 v1, s2, s2, s17
	s_mul_hi_u32 s17, s11, s7
	s_addc_u32 s18, s12, 0
	s_mul_i32 s19, s11, s12
	s_delay_alu instid0(VALU_DEP_1)
	v_sub_co_u32 v4, s20, v1, s11
	s_add_u32 s21, s7, 2
	s_addc_u32 s22, s12, 0
	s_add_i32 s17, s17, s19
	s_cmp_lg_u32 s2, 0
	v_readfirstlane_b32 s2, v4
	s_subb_u32 s3, s3, s17
	s_cmp_lg_u32 s20, 0
	s_subb_u32 s17, s3, 0
	s_delay_alu instid0(VALU_DEP_1) | instskip(SKIP_4) | instid1(SALU_CYCLE_1)
	s_cmp_ge_u32 s2, s11
	s_cselect_b32 s2, -1, 0
	s_cmp_eq_u32 s17, 0
	v_readfirstlane_b32 s17, v1
	s_cselect_b32 s2, s2, -1
	s_cmp_lg_u32 s2, 0
	s_cselect_b32 s2, s21, s16
	s_cselect_b32 s16, s22, s18
	s_cmp_ge_u32 s17, s11
	s_cselect_b32 s17, -1, 0
	s_cmp_eq_u32 s3, 0
	s_cselect_b32 s3, s17, -1
	s_delay_alu instid0(SALU_CYCLE_1) | instskip(SKIP_2) | instid1(SALU_CYCLE_1)
	s_cmp_lg_u32 s3, 0
	s_cselect_b32 s3, s16, s12
	s_cselect_b32 s2, s2, s7
	s_xor_b64 s[2:3], s[2:3], s[8:9]
	s_delay_alu instid0(SALU_CYCLE_1)
	s_sub_u32 s2, s2, s8
	s_subb_u32 s3, s3, s8
	s_cbranch_execnz .LBB2_5
.LBB2_4:
	v_cvt_f32_u32_e32 v1, s11
	s_sub_i32 s3, 0, s11
	s_delay_alu instid0(VALU_DEP_1) | instskip(SKIP_2) | instid1(VALU_DEP_1)
	v_rcp_iflag_f32_e32 v1, v1
	s_waitcnt_depctr 0xfff
	v_mul_f32_e32 v1, 0x4f7ffffe, v1
	v_cvt_u32_f32_e32 v1, v1
	s_delay_alu instid0(VALU_DEP_1) | instskip(NEXT) | instid1(VALU_DEP_1)
	v_readfirstlane_b32 s2, v1
	s_mul_i32 s3, s3, s2
	s_delay_alu instid0(SALU_CYCLE_1) | instskip(NEXT) | instid1(SALU_CYCLE_1)
	s_mul_hi_u32 s3, s2, s3
	s_add_i32 s2, s2, s3
	s_delay_alu instid0(SALU_CYCLE_1) | instskip(NEXT) | instid1(SALU_CYCLE_1)
	s_mul_hi_u32 s2, s6, s2
	s_mul_i32 s3, s2, s11
	s_delay_alu instid0(SALU_CYCLE_1)
	s_sub_i32 s3, s6, s3
	s_add_i32 s6, s2, 1
	s_sub_i32 s7, s3, s11
	s_cmp_ge_u32 s3, s11
	s_cselect_b32 s2, s6, s2
	s_cselect_b32 s3, s7, s3
	s_add_i32 s6, s2, 1
	s_cmp_ge_u32 s3, s11
	s_mov_b32 s3, 0
	s_cselect_b32 s2, s6, s2
.LBB2_5:
	v_mov_b32_e32 v1, 0
	s_add_u32 s2, s2, 1
	s_addc_u32 s3, s3, 0
	s_mul_hi_u32 s6, s10, s2
	s_mul_i32 s3, s10, s3
	v_mad_u64_u32 v[15:16], null, s13, s15, v[0:1]
	s_mul_hi_u32 s7, s14, s13
	s_add_i32 s3, s6, s3
	s_mul_i32 s7, s7, s2
	s_mul_i32 s2, s10, s2
	s_add_i32 s3, s3, s7
	s_delay_alu instid0(SALU_CYCLE_1)
	s_lshl_b64 s[6:7], s[2:3], 2
	s_mov_b32 s2, exec_lo
	v_cmpx_gt_i64_e64 s[6:7], v[15:16]
	s_cbranch_execz .LBB2_34
; %bb.6:
	v_alignbit_b32 v19, v3, v2, 2
	v_mad_u64_u32 v[6:7], null, 0xcd9e8d57, v15, 0
	v_lshrrev_b32_e32 v20, 2, v3
	s_waitcnt vmcnt(0)
	v_dual_mov_b32 v11, v14 :: v_dual_add_nc_u32 v32, 0x8ff34781, v13
	v_mad_u64_u32 v[4:5], null, 0xd2511f53, v19, 0
	v_add_co_u32 v22, null, 0x9e3779b9, v13
	s_delay_alu instid0(VALU_DEP_3) | instskip(SKIP_1) | instid1(VALU_DEP_4)
	v_add_co_u32 v21, null, 0xbb67ae85, v11
	v_add_co_u32 v23, null, 0x3c6ef372, v13
	v_xor_b32_e32 v3, v5, v14
	v_xor3_b32 v5, v13, v7, v20
	v_add_co_u32 v24, null, 0x76cf5d0a, v11
	v_add_co_u32 v25, null, 0x32370b8f, v11
	s_delay_alu instid0(VALU_DEP_4) | instskip(NEXT) | instid1(VALU_DEP_4)
	v_xor_b32_e32 v3, v3, v16
	v_mad_u64_u32 v[7:8], null, 0xd2511f53, v5, 0
	v_add_co_u32 v26, null, 0xdaa66d2b, v13
	s_delay_alu instid0(VALU_DEP_3) | instskip(SKIP_1) | instid1(VALU_DEP_4)
	v_mad_u64_u32 v[9:10], null, 0xcd9e8d57, v3, 0
	v_add_co_u32 v27, null, 0x78dde6e4, v13
	v_xor3_b32 v5, v21, v8, v4
	v_add_co_u32 v28, null, 0xed9eba14, v11
	v_add_co_u32 v29, null, 0xa9066899, v11
	v_xor3_b32 v8, v22, v10, v6
	s_delay_alu instid0(VALU_DEP_4) | instskip(SKIP_1) | instid1(VALU_DEP_3)
	v_mad_u64_u32 v[3:4], null, 0xcd9e8d57, v5, 0
	v_add_co_u32 v30, null, 0x1715609d, v13
	v_mad_u64_u32 v[5:6], null, 0xd2511f53, v8, 0
	v_and_b32_e32 v31, 3, v2
	v_add_co_u32 v35, null, 0xb54cda56, v13
	v_xor3_b32 v4, v23, v4, v9
	v_add_co_u32 v36, null, 0x646e171e, v11
	v_xor3_b32 v10, v24, v6, v7
	v_add_co_u32 v34, null, 0x5384540f, v13
	s_delay_alu instid0(VALU_DEP_4) | instskip(NEXT) | instid1(VALU_DEP_3)
	v_mad_u64_u32 v[6:7], null, 0xd2511f53, v4, 0
	v_mad_u64_u32 v[8:9], null, 0xcd9e8d57, v10, 0
	v_add_co_u32 v38, null, 0x1fd5c5a3, v11
	s_clause 0x1
	s_load_b64 s[8:9], s[0:1], 0x30
	s_load_b32 s16, s[0:1], 0x38
	v_add_co_u32 v37, null, 0xf1bbcdc8, v13
	s_delay_alu instid0(VALU_DEP_4) | instskip(NEXT) | instid1(VALU_DEP_4)
	v_xor3_b32 v5, v25, v7, v5
	v_xor3_b32 v7, v26, v9, v3
	v_add_co_u32 v40, null, 0xdb3d7428, v11
	s_load_b128 s[0:3], s[0:1], 0x40
	s_delay_alu instid0(VALU_DEP_3) | instskip(NEXT) | instid1(VALU_DEP_3)
	v_mad_u64_u32 v[3:4], null, 0xcd9e8d57, v5, 0
	v_mad_u64_u32 v[9:10], null, 0xd2511f53, v7, 0
	s_mul_i32 s17, s14, 3
	s_lshl_b32 s18, s14, 1
	s_add_i32 s19, s15, s14
	s_add_i32 s17, s15, s17
	s_delay_alu instid0(VALU_DEP_2) | instskip(SKIP_1) | instid1(VALU_DEP_3)
	v_xor3_b32 v7, v27, v4, v8
	v_mad_u64_u32 v[11:12], null, s19, s13, v[0:1]
	v_xor3_b32 v8, v28, v10, v6
	v_mad_u64_u32 v[17:18], null, s17, s13, v[0:1]
	s_delay_alu instid0(VALU_DEP_4) | instskip(NEXT) | instid1(VALU_DEP_3)
	v_mad_u64_u32 v[4:5], null, 0xd2511f53, v7, 0
	v_mad_u64_u32 v[6:7], null, 0xcd9e8d57, v8, 0
	v_add_nc_u32_e32 v33, 0x96a522ad, v14
	s_waitcnt lgkmcnt(0)
	v_mul_lo_u32 v44, s16, v11
	v_mul_lo_u32 v42, s16, v17
	s_mul_i32 s14, s14, s16
	v_xor3_b32 v5, v29, v5, v9
	v_mov_b32_e32 v39, v15
	v_xor3_b32 v9, v30, v7, v3
	v_mov_b32_e32 v45, v16
	s_mul_i32 s14, s14, s13
	v_mad_u64_u32 v[2:3], null, 0xcd9e8d57, v5, 0
	s_delay_alu instid0(VALU_DEP_3) | instskip(SKIP_3) | instid1(VALU_DEP_2)
	v_mad_u64_u32 v[7:8], null, 0xd2511f53, v9, 0
	s_mov_b32 s3, 0
	s_lshl_b32 s12, s10, 1
	s_lshl_b32 s14, s14, 2
	v_xor3_b32 v9, v35, v3, v6
	v_mad_u64_u32 v[5:6], null, s15, s13, v[0:1]
	s_delay_alu instid0(VALU_DEP_3) | instskip(SKIP_1) | instid1(VALU_DEP_3)
	v_xor3_b32 v10, v36, v8, v4
	s_add_i32 s15, s15, s18
	v_mad_u64_u32 v[3:4], null, 0xd2511f53, v9, 0
	s_delay_alu instid0(VALU_DEP_2) | instskip(NEXT) | instid1(VALU_DEP_4)
	v_mad_u64_u32 v[8:9], null, 0xcd9e8d57, v10, 0
	v_mul_lo_u32 v41, s16, v5
	s_delay_alu instid0(VALU_DEP_3) | instskip(NEXT) | instid1(VALU_DEP_3)
	v_xor3_b32 v4, v38, v4, v7
	v_xor3_b32 v2, v34, v9, v2
	s_delay_alu instid0(VALU_DEP_2) | instskip(NEXT) | instid1(VALU_DEP_2)
	v_mad_u64_u32 v[6:7], null, 0xcd9e8d57, v4, 0
	v_mad_u64_u32 v[9:10], null, 0xd2511f53, v2, 0
	s_delay_alu instid0(VALU_DEP_2) | instskip(NEXT) | instid1(VALU_DEP_2)
	v_xor3_b32 v4, v37, v7, v8
	v_xor3_b32 v10, v40, v10, v3
	v_mad_u64_u32 v[2:3], null, s15, s13, v[0:1]
	s_delay_alu instid0(VALU_DEP_3) | instskip(NEXT) | instid1(VALU_DEP_3)
	v_mad_u64_u32 v[7:8], null, 0xd2511f53, v4, 0
	v_mad_u64_u32 v[3:4], null, 0xcd9e8d57, v10, 0
	s_mul_i32 s13, s10, 3
	s_mov_b32 s15, 0
	s_delay_alu instid0(VALU_DEP_3) | instskip(NEXT) | instid1(VALU_DEP_3)
	v_mul_lo_u32 v43, s16, v2
	v_mov_b32_e32 v5, v7
	s_delay_alu instid0(VALU_DEP_3)
	v_xor3_b32 v2, v4, v6, v32
	v_xor3_b32 v4, v8, v9, v33
	s_branch .LBB2_9
.LBB2_7:                                ;   in Loop: Header=BB2_9 Depth=1
	s_or_b32 exec_lo, exec_lo, s17
	v_add_nc_u32_e32 v2, s15, v42
	s_delay_alu instid0(VALU_DEP_2) | instskip(NEXT) | instid1(VALU_DEP_2)
	v_add_nc_u32_e32 v0, s2, v0
	v_ashrrev_i32_e32 v3, 31, v2
	v_add_co_u32 v2, vcc_lo, s8, v2
	s_delay_alu instid0(VALU_DEP_2)
	v_add_co_ci_u32_e32 v3, vcc_lo, s9, v3, vcc_lo
	global_store_b8 v[2:3], v0, off
.LBB2_8:                                ;   in Loop: Header=BB2_9 Depth=1
	s_or_b32 exec_lo, exec_lo, s16
	v_add_co_u32 v15, vcc_lo, v15, s11
	v_add_co_ci_u32_e32 v16, vcc_lo, 0, v16, vcc_lo
	v_mov_b32_e32 v9, v17
	v_dual_mov_b32 v2, v6 :: v_dual_mov_b32 v3, v7
	s_delay_alu instid0(VALU_DEP_3) | instskip(NEXT) | instid1(VALU_DEP_3)
	v_cmp_le_i64_e32 vcc_lo, s[6:7], v[15:16]
	v_dual_mov_b32 v4, v8 :: v_dual_mov_b32 v5, v9
	s_add_i32 s15, s15, s14
	s_waitcnt_vscnt null, 0x0
	s_barrier
	s_or_b32 s3, vcc_lo, s3
	buffer_gl0_inv
	s_and_not1_b32 exec_lo, exec_lo, s3
	s_cbranch_execz .LBB2_34
.LBB2_9:                                ; =>This Inner Loop Header: Depth=1
	v_add_co_u32 v19, vcc_lo, v19, 1
	s_delay_alu instid0(VALU_DEP_1) | instskip(SKIP_1) | instid1(VALU_DEP_3)
	v_cndmask_b32_e64 v0, 0, 1, vcc_lo
	v_add_co_ci_u32_e32 v20, vcc_lo, 0, v20, vcc_lo
	v_mad_u64_u32 v[6:7], null, 0xd2511f53, v19, 0
	s_mov_b32 s16, exec_lo
	s_delay_alu instid0(VALU_DEP_2) | instskip(SKIP_1) | instid1(VALU_DEP_1)
	v_cmp_eq_u32_e32 vcc_lo, 0, v20
	v_cndmask_b32_e32 v0, 0, v0, vcc_lo
	v_add_nc_u32_e32 v39, v0, v39
	s_delay_alu instid0(VALU_DEP_1) | instskip(SKIP_2) | instid1(VALU_DEP_2)
	v_cmp_eq_u32_e32 vcc_lo, 0, v39
	v_cndmask_b32_e32 v0, 0, v0, vcc_lo
	v_mad_u64_u32 v[8:9], null, 0xcd9e8d57, v39, 0
	v_add_nc_u32_e32 v45, v0, v45
	v_xor_b32_e32 v0, v7, v14
	s_delay_alu instid0(VALU_DEP_3) | instskip(NEXT) | instid1(VALU_DEP_2)
	v_xor3_b32 v7, v9, v13, v20
	v_xor_b32_e32 v0, v45, v0
	s_delay_alu instid0(VALU_DEP_2) | instskip(NEXT) | instid1(VALU_DEP_2)
	v_mad_u64_u32 v[9:10], null, 0xd2511f53, v7, 0
	v_mad_u64_u32 v[11:12], null, 0xcd9e8d57, v0, 0
	s_delay_alu instid0(VALU_DEP_2) | instskip(NEXT) | instid1(VALU_DEP_2)
	v_xor3_b32 v0, v21, v10, v6
	v_xor3_b32 v8, v22, v12, v8
	s_delay_alu instid0(VALU_DEP_2) | instskip(NEXT) | instid1(VALU_DEP_2)
	v_mad_u64_u32 v[6:7], null, 0xcd9e8d57, v0, 0
	v_mad_u64_u32 v[17:18], null, 0xd2511f53, v8, 0
	s_delay_alu instid0(VALU_DEP_2) | instskip(NEXT) | instid1(VALU_DEP_2)
	v_xor3_b32 v0, v23, v7, v11
	v_xor3_b32 v11, v24, v18, v9
	;; [unrolled: 6-line block ×9, first 2 shown]
	s_delay_alu instid0(VALU_DEP_2)
	v_mov_b32_e32 v8, v12
	v_cmpx_lt_i32_e32 1, v31
	s_xor_b32 s16, exec_lo, s16
	s_cbranch_execnz .LBB2_12
; %bb.10:                               ;   in Loop: Header=BB2_9 Depth=1
	s_and_not1_saveexec_b32 s16, s16
	s_cbranch_execnz .LBB2_17
.LBB2_11:                               ;   in Loop: Header=BB2_9 Depth=1
	s_or_b32 exec_lo, exec_lo, s16
	s_delay_alu instid0(SALU_CYCLE_1)
	s_mov_b32 s16, exec_lo
	v_cmpx_gt_i64_e64 s[4:5], v[15:16]
	s_cbranch_execnz .LBB2_20
	s_branch .LBB2_23
.LBB2_12:                               ;   in Loop: Header=BB2_9 Depth=1
	s_mov_b32 s17, exec_lo
	v_cmpx_lt_i32_e32 2, v31
	s_xor_b32 s17, exec_lo, s17
; %bb.13:                               ;   in Loop: Header=BB2_9 Depth=1
	v_dual_mov_b32 v9, v5 :: v_dual_mov_b32 v10, v6
	v_mov_b32_e32 v11, v7
	s_delay_alu instid0(VALU_DEP_2) | instskip(NEXT) | instid1(VALU_DEP_2)
	v_dual_mov_b32 v2, v9 :: v_dual_mov_b32 v3, v10
	v_dual_mov_b32 v4, v11 :: v_dual_mov_b32 v5, v12
; %bb.14:                               ;   in Loop: Header=BB2_9 Depth=1
	s_and_not1_saveexec_b32 s17, s17
; %bb.15:                               ;   in Loop: Header=BB2_9 Depth=1
	s_delay_alu instid0(VALU_DEP_1)
	v_dual_mov_b32 v2, v4 :: v_dual_mov_b32 v3, v5
	v_dual_mov_b32 v4, v6 :: v_dual_mov_b32 v5, v7
; %bb.16:                               ;   in Loop: Header=BB2_9 Depth=1
	s_or_b32 exec_lo, exec_lo, s17
	s_and_not1_saveexec_b32 s16, s16
	s_cbranch_execz .LBB2_11
.LBB2_17:                               ;   in Loop: Header=BB2_9 Depth=1
	s_mov_b32 s17, exec_lo
	v_cmpx_eq_u32_e32 1, v31
; %bb.18:                               ;   in Loop: Header=BB2_9 Depth=1
	v_dual_mov_b32 v2, v3 :: v_dual_mov_b32 v3, v4
	v_dual_mov_b32 v4, v5 :: v_dual_mov_b32 v5, v6
; %bb.19:                               ;   in Loop: Header=BB2_9 Depth=1
	s_or_b32 exec_lo, exec_lo, s17
	s_delay_alu instid0(SALU_CYCLE_1) | instskip(NEXT) | instid1(SALU_CYCLE_1)
	s_or_b32 exec_lo, exec_lo, s16
	s_mov_b32 s16, exec_lo
	v_cmpx_gt_i64_e64 s[4:5], v[15:16]
	s_cbranch_execz .LBB2_23
.LBB2_20:                               ;   in Loop: Header=BB2_9 Depth=1
	v_mov_b32_e32 v0, v2
	s_mov_b32 s17, exec_lo
	s_delay_alu instid0(VALU_DEP_1)
	v_cmpx_le_u64_e64 s[0:1], v[0:1]
	s_cbranch_execz .LBB2_22
; %bb.21:                               ;   in Loop: Header=BB2_9 Depth=1
	v_cvt_f32_u32_e32 v2, s0
	s_sub_i32 s18, 0, s0
	s_delay_alu instid0(VALU_DEP_1) | instskip(SKIP_2) | instid1(VALU_DEP_1)
	v_rcp_iflag_f32_e32 v2, v2
	s_waitcnt_depctr 0xfff
	v_mul_f32_e32 v2, 0x4f7ffffe, v2
	v_cvt_u32_f32_e32 v2, v2
	s_delay_alu instid0(VALU_DEP_1) | instskip(NEXT) | instid1(VALU_DEP_1)
	v_mul_lo_u32 v9, s18, v2
	v_mul_hi_u32 v9, v2, v9
	s_delay_alu instid0(VALU_DEP_1) | instskip(NEXT) | instid1(VALU_DEP_1)
	v_add_nc_u32_e32 v2, v2, v9
	v_mul_hi_u32 v2, v0, v2
	s_delay_alu instid0(VALU_DEP_1) | instskip(NEXT) | instid1(VALU_DEP_1)
	v_mul_lo_u32 v2, v2, s0
	v_sub_nc_u32_e32 v0, v0, v2
	s_delay_alu instid0(VALU_DEP_1) | instskip(SKIP_1) | instid1(VALU_DEP_2)
	v_subrev_nc_u32_e32 v2, s0, v0
	v_cmp_le_u32_e32 vcc_lo, s0, v0
	v_cndmask_b32_e32 v0, v0, v2, vcc_lo
	s_delay_alu instid0(VALU_DEP_1) | instskip(SKIP_1) | instid1(VALU_DEP_2)
	v_subrev_nc_u32_e32 v2, s0, v0
	v_cmp_le_u32_e32 vcc_lo, s0, v0
	v_cndmask_b32_e32 v0, v0, v2, vcc_lo
.LBB2_22:                               ;   in Loop: Header=BB2_9 Depth=1
	s_or_b32 exec_lo, exec_lo, s17
	v_add_nc_u32_e32 v2, s15, v41
	s_delay_alu instid0(VALU_DEP_2) | instskip(NEXT) | instid1(VALU_DEP_2)
	v_add_nc_u32_e32 v0, s2, v0
	v_ashrrev_i32_e32 v10, 31, v2
	v_add_co_u32 v9, vcc_lo, s8, v2
	s_delay_alu instid0(VALU_DEP_2)
	v_add_co_ci_u32_e32 v10, vcc_lo, s9, v10, vcc_lo
	global_store_b8 v[9:10], v0, off
.LBB2_23:                               ;   in Loop: Header=BB2_9 Depth=1
	s_or_b32 exec_lo, exec_lo, s16
	v_add_co_u32 v9, vcc_lo, s10, v15
	v_add_co_ci_u32_e32 v10, vcc_lo, 0, v16, vcc_lo
	s_mov_b32 s16, exec_lo
	s_delay_alu instid0(VALU_DEP_1)
	v_cmpx_gt_i64_e64 s[4:5], v[9:10]
	s_cbranch_execz .LBB2_27
; %bb.24:                               ;   in Loop: Header=BB2_9 Depth=1
	v_mov_b32_e32 v0, v3
	s_mov_b32 s17, exec_lo
	s_delay_alu instid0(VALU_DEP_1)
	v_cmpx_le_u64_e64 s[0:1], v[0:1]
	s_cbranch_execz .LBB2_26
; %bb.25:                               ;   in Loop: Header=BB2_9 Depth=1
	v_cvt_f32_u32_e32 v2, s0
	s_sub_i32 s18, 0, s0
	s_delay_alu instid0(VALU_DEP_1) | instskip(SKIP_2) | instid1(VALU_DEP_1)
	v_rcp_iflag_f32_e32 v2, v2
	s_waitcnt_depctr 0xfff
	v_mul_f32_e32 v2, 0x4f7ffffe, v2
	v_cvt_u32_f32_e32 v2, v2
	s_delay_alu instid0(VALU_DEP_1) | instskip(NEXT) | instid1(VALU_DEP_1)
	v_mul_lo_u32 v3, s18, v2
	v_mul_hi_u32 v3, v2, v3
	s_delay_alu instid0(VALU_DEP_1) | instskip(NEXT) | instid1(VALU_DEP_1)
	v_add_nc_u32_e32 v2, v2, v3
	v_mul_hi_u32 v2, v0, v2
	s_delay_alu instid0(VALU_DEP_1) | instskip(NEXT) | instid1(VALU_DEP_1)
	v_mul_lo_u32 v2, v2, s0
	v_sub_nc_u32_e32 v0, v0, v2
	s_delay_alu instid0(VALU_DEP_1) | instskip(SKIP_1) | instid1(VALU_DEP_2)
	v_subrev_nc_u32_e32 v2, s0, v0
	v_cmp_le_u32_e32 vcc_lo, s0, v0
	v_cndmask_b32_e32 v0, v0, v2, vcc_lo
	s_delay_alu instid0(VALU_DEP_1) | instskip(SKIP_1) | instid1(VALU_DEP_2)
	v_subrev_nc_u32_e32 v2, s0, v0
	v_cmp_le_u32_e32 vcc_lo, s0, v0
	v_cndmask_b32_e32 v0, v0, v2, vcc_lo
.LBB2_26:                               ;   in Loop: Header=BB2_9 Depth=1
	s_or_b32 exec_lo, exec_lo, s17
	v_add_nc_u32_e32 v2, s15, v44
	s_delay_alu instid0(VALU_DEP_2) | instskip(NEXT) | instid1(VALU_DEP_2)
	v_add_nc_u32_e32 v0, s2, v0
	v_ashrrev_i32_e32 v3, 31, v2
	v_add_co_u32 v2, vcc_lo, s8, v2
	s_delay_alu instid0(VALU_DEP_2)
	v_add_co_ci_u32_e32 v3, vcc_lo, s9, v3, vcc_lo
	global_store_b8 v[2:3], v0, off
.LBB2_27:                               ;   in Loop: Header=BB2_9 Depth=1
	s_or_b32 exec_lo, exec_lo, s16
	v_add_co_u32 v2, vcc_lo, s12, v15
	v_add_co_ci_u32_e32 v3, vcc_lo, 0, v16, vcc_lo
	s_mov_b32 s16, exec_lo
	s_delay_alu instid0(VALU_DEP_1)
	v_cmpx_gt_i64_e64 s[4:5], v[2:3]
	s_cbranch_execz .LBB2_31
; %bb.28:                               ;   in Loop: Header=BB2_9 Depth=1
	v_mov_b32_e32 v0, v4
	s_mov_b32 s17, exec_lo
	s_delay_alu instid0(VALU_DEP_1)
	v_cmpx_le_u64_e64 s[0:1], v[0:1]
	s_cbranch_execz .LBB2_30
; %bb.29:                               ;   in Loop: Header=BB2_9 Depth=1
	v_cvt_f32_u32_e32 v2, s0
	s_sub_i32 s18, 0, s0
	s_delay_alu instid0(VALU_DEP_1) | instskip(SKIP_2) | instid1(VALU_DEP_1)
	v_rcp_iflag_f32_e32 v2, v2
	s_waitcnt_depctr 0xfff
	v_mul_f32_e32 v2, 0x4f7ffffe, v2
	v_cvt_u32_f32_e32 v2, v2
	s_delay_alu instid0(VALU_DEP_1) | instskip(NEXT) | instid1(VALU_DEP_1)
	v_mul_lo_u32 v3, s18, v2
	v_mul_hi_u32 v3, v2, v3
	s_delay_alu instid0(VALU_DEP_1) | instskip(NEXT) | instid1(VALU_DEP_1)
	v_add_nc_u32_e32 v2, v2, v3
	v_mul_hi_u32 v2, v0, v2
	s_delay_alu instid0(VALU_DEP_1) | instskip(NEXT) | instid1(VALU_DEP_1)
	v_mul_lo_u32 v2, v2, s0
	v_sub_nc_u32_e32 v0, v0, v2
	s_delay_alu instid0(VALU_DEP_1) | instskip(SKIP_1) | instid1(VALU_DEP_2)
	v_subrev_nc_u32_e32 v2, s0, v0
	v_cmp_le_u32_e32 vcc_lo, s0, v0
	v_cndmask_b32_e32 v0, v0, v2, vcc_lo
	s_delay_alu instid0(VALU_DEP_1) | instskip(SKIP_1) | instid1(VALU_DEP_2)
	v_subrev_nc_u32_e32 v2, s0, v0
	v_cmp_le_u32_e32 vcc_lo, s0, v0
	v_cndmask_b32_e32 v0, v0, v2, vcc_lo
.LBB2_30:                               ;   in Loop: Header=BB2_9 Depth=1
	s_or_b32 exec_lo, exec_lo, s17
	v_add_nc_u32_e32 v2, s15, v43
	s_delay_alu instid0(VALU_DEP_2) | instskip(NEXT) | instid1(VALU_DEP_2)
	v_add_nc_u32_e32 v0, s2, v0
	v_ashrrev_i32_e32 v3, 31, v2
	v_add_co_u32 v2, vcc_lo, s8, v2
	s_delay_alu instid0(VALU_DEP_2)
	v_add_co_ci_u32_e32 v3, vcc_lo, s9, v3, vcc_lo
	global_store_b8 v[2:3], v0, off
.LBB2_31:                               ;   in Loop: Header=BB2_9 Depth=1
	s_or_b32 exec_lo, exec_lo, s16
	v_add_co_u32 v2, vcc_lo, s13, v15
	v_add_co_ci_u32_e32 v3, vcc_lo, 0, v16, vcc_lo
	s_mov_b32 s16, exec_lo
	s_delay_alu instid0(VALU_DEP_1)
	v_cmpx_gt_i64_e64 s[4:5], v[2:3]
	s_cbranch_execz .LBB2_8
; %bb.32:                               ;   in Loop: Header=BB2_9 Depth=1
	v_mov_b32_e32 v0, v5
	s_mov_b32 s17, exec_lo
	s_delay_alu instid0(VALU_DEP_1)
	v_cmpx_le_u64_e64 s[0:1], v[0:1]
	s_cbranch_execz .LBB2_7
; %bb.33:                               ;   in Loop: Header=BB2_9 Depth=1
	v_cvt_f32_u32_e32 v2, s0
	s_sub_i32 s18, 0, s0
	s_delay_alu instid0(VALU_DEP_1) | instskip(SKIP_2) | instid1(VALU_DEP_1)
	v_rcp_iflag_f32_e32 v2, v2
	s_waitcnt_depctr 0xfff
	v_mul_f32_e32 v2, 0x4f7ffffe, v2
	v_cvt_u32_f32_e32 v2, v2
	s_delay_alu instid0(VALU_DEP_1) | instskip(NEXT) | instid1(VALU_DEP_1)
	v_mul_lo_u32 v3, s18, v2
	v_mul_hi_u32 v3, v2, v3
	s_delay_alu instid0(VALU_DEP_1) | instskip(NEXT) | instid1(VALU_DEP_1)
	v_add_nc_u32_e32 v2, v2, v3
	v_mul_hi_u32 v2, v0, v2
	s_delay_alu instid0(VALU_DEP_1) | instskip(NEXT) | instid1(VALU_DEP_1)
	v_mul_lo_u32 v2, v2, s0
	v_sub_nc_u32_e32 v0, v0, v2
	s_delay_alu instid0(VALU_DEP_1) | instskip(SKIP_1) | instid1(VALU_DEP_2)
	v_subrev_nc_u32_e32 v2, s0, v0
	v_cmp_le_u32_e32 vcc_lo, s0, v0
	v_cndmask_b32_e32 v0, v0, v2, vcc_lo
	s_delay_alu instid0(VALU_DEP_1) | instskip(SKIP_1) | instid1(VALU_DEP_2)
	v_subrev_nc_u32_e32 v2, s0, v0
	v_cmp_le_u32_e32 vcc_lo, s0, v0
	v_cndmask_b32_e32 v0, v0, v2, vcc_lo
	s_branch .LBB2_7
.LBB2_34:
	s_endpgm
.LBB2_35:
                                        ; implicit-def: $sgpr2_sgpr3
	s_branch .LBB2_4
	.section	.rodata,"a",@progbits
	.p2align	6, 0x0
	.amdhsa_kernel _ZN2at6native12_GLOBAL__N_143distribution_elementwise_grid_stride_kernelIjLi4EZZZNS0_9templates4cuda21random_from_to_kernelIPNS_17CUDAGeneratorImplEEEvRNS_18TensorIteratorBaseEmlT_ENKUlvE_clEvENKUlvE_clEvEUlP25hiprandStatePhilox4_32_10E0_ZNS1_27distribution_nullary_kernelIhj15HIP_vector_typeIjLj4EES7_SF_ZZZNS5_IS7_EEvS9_mlSA_ENKSB_clEvENKSC_clEvEUljE_EEvS9_T2_RKT3_T4_EUlijE_EEvlNS_15PhiloxCudaStateET1_SK_
		.amdhsa_group_segment_fixed_size 0
		.amdhsa_private_segment_fixed_size 0
		.amdhsa_kernarg_size 336
		.amdhsa_user_sgpr_count 15
		.amdhsa_user_sgpr_dispatch_ptr 0
		.amdhsa_user_sgpr_queue_ptr 0
		.amdhsa_user_sgpr_kernarg_segment_ptr 1
		.amdhsa_user_sgpr_dispatch_id 0
		.amdhsa_user_sgpr_private_segment_size 0
		.amdhsa_wavefront_size32 1
		.amdhsa_uses_dynamic_stack 0
		.amdhsa_enable_private_segment 0
		.amdhsa_system_sgpr_workgroup_id_x 1
		.amdhsa_system_sgpr_workgroup_id_y 0
		.amdhsa_system_sgpr_workgroup_id_z 0
		.amdhsa_system_sgpr_workgroup_info 0
		.amdhsa_system_vgpr_workitem_id 0
		.amdhsa_next_free_vgpr 46
		.amdhsa_next_free_sgpr 23
		.amdhsa_reserve_vcc 1
		.amdhsa_float_round_mode_32 0
		.amdhsa_float_round_mode_16_64 0
		.amdhsa_float_denorm_mode_32 3
		.amdhsa_float_denorm_mode_16_64 3
		.amdhsa_dx10_clamp 1
		.amdhsa_ieee_mode 1
		.amdhsa_fp16_overflow 0
		.amdhsa_workgroup_processor_mode 1
		.amdhsa_memory_ordered 1
		.amdhsa_forward_progress 0
		.amdhsa_shared_vgpr_count 0
		.amdhsa_exception_fp_ieee_invalid_op 0
		.amdhsa_exception_fp_denorm_src 0
		.amdhsa_exception_fp_ieee_div_zero 0
		.amdhsa_exception_fp_ieee_overflow 0
		.amdhsa_exception_fp_ieee_underflow 0
		.amdhsa_exception_fp_ieee_inexact 0
		.amdhsa_exception_int_div_zero 0
	.end_amdhsa_kernel
	.section	.text._ZN2at6native12_GLOBAL__N_143distribution_elementwise_grid_stride_kernelIjLi4EZZZNS0_9templates4cuda21random_from_to_kernelIPNS_17CUDAGeneratorImplEEEvRNS_18TensorIteratorBaseEmlT_ENKUlvE_clEvENKUlvE_clEvEUlP25hiprandStatePhilox4_32_10E0_ZNS1_27distribution_nullary_kernelIhj15HIP_vector_typeIjLj4EES7_SF_ZZZNS5_IS7_EEvS9_mlSA_ENKSB_clEvENKSC_clEvEUljE_EEvS9_T2_RKT3_T4_EUlijE_EEvlNS_15PhiloxCudaStateET1_SK_,"axG",@progbits,_ZN2at6native12_GLOBAL__N_143distribution_elementwise_grid_stride_kernelIjLi4EZZZNS0_9templates4cuda21random_from_to_kernelIPNS_17CUDAGeneratorImplEEEvRNS_18TensorIteratorBaseEmlT_ENKUlvE_clEvENKUlvE_clEvEUlP25hiprandStatePhilox4_32_10E0_ZNS1_27distribution_nullary_kernelIhj15HIP_vector_typeIjLj4EES7_SF_ZZZNS5_IS7_EEvS9_mlSA_ENKSB_clEvENKSC_clEvEUljE_EEvS9_T2_RKT3_T4_EUlijE_EEvlNS_15PhiloxCudaStateET1_SK_,comdat
.Lfunc_end2:
	.size	_ZN2at6native12_GLOBAL__N_143distribution_elementwise_grid_stride_kernelIjLi4EZZZNS0_9templates4cuda21random_from_to_kernelIPNS_17CUDAGeneratorImplEEEvRNS_18TensorIteratorBaseEmlT_ENKUlvE_clEvENKUlvE_clEvEUlP25hiprandStatePhilox4_32_10E0_ZNS1_27distribution_nullary_kernelIhj15HIP_vector_typeIjLj4EES7_SF_ZZZNS5_IS7_EEvS9_mlSA_ENKSB_clEvENKSC_clEvEUljE_EEvS9_T2_RKT3_T4_EUlijE_EEvlNS_15PhiloxCudaStateET1_SK_, .Lfunc_end2-_ZN2at6native12_GLOBAL__N_143distribution_elementwise_grid_stride_kernelIjLi4EZZZNS0_9templates4cuda21random_from_to_kernelIPNS_17CUDAGeneratorImplEEEvRNS_18TensorIteratorBaseEmlT_ENKUlvE_clEvENKUlvE_clEvEUlP25hiprandStatePhilox4_32_10E0_ZNS1_27distribution_nullary_kernelIhj15HIP_vector_typeIjLj4EES7_SF_ZZZNS5_IS7_EEvS9_mlSA_ENKSB_clEvENKSC_clEvEUljE_EEvS9_T2_RKT3_T4_EUlijE_EEvlNS_15PhiloxCudaStateET1_SK_
                                        ; -- End function
	.section	.AMDGPU.csdata,"",@progbits
; Kernel info:
; codeLenInByte = 3424
; NumSgprs: 25
; NumVgprs: 46
; ScratchSize: 0
; MemoryBound: 0
; FloatMode: 240
; IeeeMode: 1
; LDSByteSize: 0 bytes/workgroup (compile time only)
; SGPRBlocks: 3
; VGPRBlocks: 5
; NumSGPRsForWavesPerEU: 25
; NumVGPRsForWavesPerEU: 46
; Occupancy: 16
; WaveLimiterHint : 0
; COMPUTE_PGM_RSRC2:SCRATCH_EN: 0
; COMPUTE_PGM_RSRC2:USER_SGPR: 15
; COMPUTE_PGM_RSRC2:TRAP_HANDLER: 0
; COMPUTE_PGM_RSRC2:TGID_X_EN: 1
; COMPUTE_PGM_RSRC2:TGID_Y_EN: 0
; COMPUTE_PGM_RSRC2:TGID_Z_EN: 0
; COMPUTE_PGM_RSRC2:TIDIG_COMP_CNT: 0
	.section	.text._ZN2at6native12_GLOBAL__N_143distribution_elementwise_grid_stride_kernelIjLi4EZZZNS0_9templates4cuda21random_from_to_kernelIPNS_17CUDAGeneratorImplEEEvRNS_18TensorIteratorBaseEmlT_ENKUlvE_clEvENKUlvE_clEvEUlP25hiprandStatePhilox4_32_10E0_ZNS1_27distribution_nullary_kernelIhj15HIP_vector_typeIjLj4EES7_SF_ZZZNS5_IS7_EEvS9_mlSA_ENKSB_clEvENKSC_clEvEUljE_EEvS9_T2_RKT3_T4_EUlijE0_EEvlNS_15PhiloxCudaStateET1_SK_,"axG",@progbits,_ZN2at6native12_GLOBAL__N_143distribution_elementwise_grid_stride_kernelIjLi4EZZZNS0_9templates4cuda21random_from_to_kernelIPNS_17CUDAGeneratorImplEEEvRNS_18TensorIteratorBaseEmlT_ENKUlvE_clEvENKUlvE_clEvEUlP25hiprandStatePhilox4_32_10E0_ZNS1_27distribution_nullary_kernelIhj15HIP_vector_typeIjLj4EES7_SF_ZZZNS5_IS7_EEvS9_mlSA_ENKSB_clEvENKSC_clEvEUljE_EEvS9_T2_RKT3_T4_EUlijE0_EEvlNS_15PhiloxCudaStateET1_SK_,comdat
	.globl	_ZN2at6native12_GLOBAL__N_143distribution_elementwise_grid_stride_kernelIjLi4EZZZNS0_9templates4cuda21random_from_to_kernelIPNS_17CUDAGeneratorImplEEEvRNS_18TensorIteratorBaseEmlT_ENKUlvE_clEvENKUlvE_clEvEUlP25hiprandStatePhilox4_32_10E0_ZNS1_27distribution_nullary_kernelIhj15HIP_vector_typeIjLj4EES7_SF_ZZZNS5_IS7_EEvS9_mlSA_ENKSB_clEvENKSC_clEvEUljE_EEvS9_T2_RKT3_T4_EUlijE0_EEvlNS_15PhiloxCudaStateET1_SK_ ; -- Begin function _ZN2at6native12_GLOBAL__N_143distribution_elementwise_grid_stride_kernelIjLi4EZZZNS0_9templates4cuda21random_from_to_kernelIPNS_17CUDAGeneratorImplEEEvRNS_18TensorIteratorBaseEmlT_ENKUlvE_clEvENKUlvE_clEvEUlP25hiprandStatePhilox4_32_10E0_ZNS1_27distribution_nullary_kernelIhj15HIP_vector_typeIjLj4EES7_SF_ZZZNS5_IS7_EEvS9_mlSA_ENKSB_clEvENKSC_clEvEUljE_EEvS9_T2_RKT3_T4_EUlijE0_EEvlNS_15PhiloxCudaStateET1_SK_
	.p2align	8
	.type	_ZN2at6native12_GLOBAL__N_143distribution_elementwise_grid_stride_kernelIjLi4EZZZNS0_9templates4cuda21random_from_to_kernelIPNS_17CUDAGeneratorImplEEEvRNS_18TensorIteratorBaseEmlT_ENKUlvE_clEvENKUlvE_clEvEUlP25hiprandStatePhilox4_32_10E0_ZNS1_27distribution_nullary_kernelIhj15HIP_vector_typeIjLj4EES7_SF_ZZZNS5_IS7_EEvS9_mlSA_ENKSB_clEvENKSC_clEvEUljE_EEvS9_T2_RKT3_T4_EUlijE0_EEvlNS_15PhiloxCudaStateET1_SK_,@function
_ZN2at6native12_GLOBAL__N_143distribution_elementwise_grid_stride_kernelIjLi4EZZZNS0_9templates4cuda21random_from_to_kernelIPNS_17CUDAGeneratorImplEEEvRNS_18TensorIteratorBaseEmlT_ENKUlvE_clEvENKUlvE_clEvEUlP25hiprandStatePhilox4_32_10E0_ZNS1_27distribution_nullary_kernelIhj15HIP_vector_typeIjLj4EES7_SF_ZZZNS5_IS7_EEvS9_mlSA_ENKSB_clEvENKSC_clEvEUljE_EEvS9_T2_RKT3_T4_EUlijE0_EEvlNS_15PhiloxCudaStateET1_SK_: ; @_ZN2at6native12_GLOBAL__N_143distribution_elementwise_grid_stride_kernelIjLi4EZZZNS0_9templates4cuda21random_from_to_kernelIPNS_17CUDAGeneratorImplEEEvRNS_18TensorIteratorBaseEmlT_ENKUlvE_clEvENKUlvE_clEvEUlP25hiprandStatePhilox4_32_10E0_ZNS1_27distribution_nullary_kernelIhj15HIP_vector_typeIjLj4EES7_SF_ZZZNS5_IS7_EEvS9_mlSA_ENKSB_clEvENKSC_clEvEUljE_EEvS9_T2_RKT3_T4_EUlijE0_EEvlNS_15PhiloxCudaStateET1_SK_
; %bb.0:
	s_clause 0x2
	s_load_b64 s[4:5], s[0:1], 0x10
	s_load_b128 s[16:19], s[0:1], 0x0
	s_load_b32 s2, s[0:1], 0x20
	s_waitcnt lgkmcnt(0)
	v_dual_mov_b32 v2, s4 :: v_dual_mov_b32 v3, s5
	v_dual_mov_b32 v13, s18 :: v_dual_mov_b32 v14, s19
	s_bitcmp0_b32 s2, 0
	s_mov_b32 s2, 0
	s_cbranch_scc1 .LBB3_2
; %bb.1:
	v_dual_mov_b32 v1, s4 :: v_dual_mov_b32 v2, s5
	v_dual_mov_b32 v4, s18 :: v_dual_mov_b32 v5, s19
	s_load_b64 s[4:5], s[0:1], 0x18
	flat_load_b64 v[2:3], v[1:2]
	flat_load_b64 v[13:14], v[4:5]
	s_waitcnt vmcnt(1) lgkmcnt(0)
	v_add_co_u32 v2, vcc_lo, v2, s4
	v_add_co_ci_u32_e32 v3, vcc_lo, s5, v3, vcc_lo
.LBB3_2:
	s_clause 0x1
	s_load_b32 s3, s[0:1], 0x15c
	s_load_b32 s4, s[0:1], 0x150
	s_waitcnt lgkmcnt(0)
	s_and_b32 s5, s3, 0xffff
	s_add_u32 s6, s16, -1
	s_mul_i32 s28, s4, s5
	s_addc_u32 s3, s17, -1
	s_lshl_b32 s29, s28, 2
	s_cmp_lg_u64 s[2:3], 0
	s_cbranch_scc0 .LBB3_87
; %bb.3:
	v_cvt_f32_ubyte0_e32 v1, 0
	v_cvt_f32_u32_e32 v4, s29
	s_sub_u32 s8, 0, s29
	s_subb_u32 s9, 0, 0
	s_delay_alu instid0(VALU_DEP_1) | instskip(NEXT) | instid1(VALU_DEP_1)
	v_fmamk_f32 v1, v1, 0x4f800000, v4
	v_rcp_f32_e32 v1, v1
	s_waitcnt_depctr 0xfff
	v_mul_f32_e32 v1, 0x5f7ffffc, v1
	s_delay_alu instid0(VALU_DEP_1) | instskip(NEXT) | instid1(VALU_DEP_1)
	v_mul_f32_e32 v4, 0x2f800000, v1
	v_trunc_f32_e32 v4, v4
	s_delay_alu instid0(VALU_DEP_1) | instskip(SKIP_1) | instid1(VALU_DEP_2)
	v_fmamk_f32 v1, v4, 0xcf800000, v1
	v_cvt_u32_f32_e32 v4, v4
	v_cvt_u32_f32_e32 v1, v1
	s_delay_alu instid0(VALU_DEP_2) | instskip(NEXT) | instid1(VALU_DEP_2)
	v_readfirstlane_b32 s2, v4
	v_readfirstlane_b32 s7, v1
	s_delay_alu instid0(VALU_DEP_2) | instskip(NEXT) | instid1(VALU_DEP_1)
	s_mul_i32 s10, s8, s2
	s_mul_hi_u32 s12, s8, s7
	s_mul_i32 s11, s9, s7
	s_add_i32 s10, s12, s10
	s_mul_i32 s13, s8, s7
	s_add_i32 s10, s10, s11
	s_mul_hi_u32 s12, s7, s13
	s_mul_hi_u32 s14, s2, s13
	s_mul_i32 s11, s2, s13
	s_mul_hi_u32 s13, s7, s10
	s_mul_i32 s7, s7, s10
	s_mul_hi_u32 s18, s2, s10
	s_add_u32 s7, s12, s7
	s_addc_u32 s12, 0, s13
	s_add_u32 s7, s7, s11
	s_mul_i32 s10, s2, s10
	s_addc_u32 s7, s12, s14
	s_addc_u32 s11, s18, 0
	s_add_u32 s7, s7, s10
	s_addc_u32 s10, 0, s11
	v_add_co_u32 v1, s7, v1, s7
	s_delay_alu instid0(VALU_DEP_1) | instskip(SKIP_1) | instid1(VALU_DEP_1)
	s_cmp_lg_u32 s7, 0
	s_addc_u32 s2, s2, s10
	v_readfirstlane_b32 s7, v1
	s_mul_i32 s10, s8, s2
	s_delay_alu instid0(VALU_DEP_1)
	s_mul_hi_u32 s11, s8, s7
	s_mul_i32 s9, s9, s7
	s_add_i32 s10, s11, s10
	s_mul_i32 s8, s8, s7
	s_add_i32 s10, s10, s9
	s_mul_hi_u32 s11, s2, s8
	s_mul_i32 s12, s2, s8
	s_mul_hi_u32 s8, s7, s8
	s_mul_hi_u32 s13, s7, s10
	s_mul_i32 s7, s7, s10
	s_mul_hi_u32 s9, s2, s10
	s_add_u32 s7, s8, s7
	s_addc_u32 s8, 0, s13
	s_add_u32 s7, s7, s12
	s_mul_i32 s10, s2, s10
	s_addc_u32 s7, s8, s11
	s_addc_u32 s8, s9, 0
	s_add_u32 s7, s7, s10
	s_addc_u32 s8, 0, s8
	v_add_co_u32 v1, s7, v1, s7
	s_delay_alu instid0(VALU_DEP_1) | instskip(SKIP_2) | instid1(VALU_DEP_1)
	s_cmp_lg_u32 s7, 0
	s_addc_u32 s7, s2, s8
	s_ashr_i32 s8, s3, 31
	v_readfirstlane_b32 s10, v1
	s_add_u32 s2, s6, s8
	s_mov_b32 s9, s8
	s_addc_u32 s3, s3, s8
	s_delay_alu instid0(SALU_CYCLE_1) | instskip(NEXT) | instid1(SALU_CYCLE_1)
	s_xor_b64 s[2:3], s[2:3], s[8:9]
	s_mul_i32 s12, s2, s7
	s_mul_hi_u32 s13, s2, s10
	s_mul_hi_u32 s11, s2, s7
	;; [unrolled: 1-line block ×3, first 2 shown]
	s_mul_i32 s10, s3, s10
	s_add_u32 s12, s13, s12
	s_addc_u32 s11, 0, s11
	s_mul_hi_u32 s14, s3, s7
	s_add_u32 s10, s12, s10
	s_mul_i32 s7, s3, s7
	s_addc_u32 s10, s11, s18
	s_addc_u32 s11, s14, 0
	s_add_u32 s7, s10, s7
	s_addc_u32 s10, 0, s11
	s_mul_i32 s12, s29, s7
	s_add_u32 s11, s7, 1
	v_sub_co_u32 v1, s2, s2, s12
	s_mul_hi_u32 s12, s29, s7
	s_addc_u32 s13, s10, 0
	s_mul_i32 s14, s29, s10
	s_delay_alu instid0(VALU_DEP_1)
	v_sub_co_u32 v4, s18, v1, s29
	s_add_u32 s19, s7, 2
	s_addc_u32 s20, s10, 0
	s_add_i32 s12, s12, s14
	s_cmp_lg_u32 s2, 0
	v_readfirstlane_b32 s2, v4
	s_subb_u32 s3, s3, s12
	s_cmp_lg_u32 s18, 0
	s_subb_u32 s12, s3, 0
	s_delay_alu instid0(VALU_DEP_1) | instskip(SKIP_4) | instid1(SALU_CYCLE_1)
	s_cmp_ge_u32 s2, s29
	s_cselect_b32 s2, -1, 0
	s_cmp_eq_u32 s12, 0
	v_readfirstlane_b32 s12, v1
	s_cselect_b32 s2, s2, -1
	s_cmp_lg_u32 s2, 0
	s_cselect_b32 s2, s19, s11
	s_cselect_b32 s11, s20, s13
	s_cmp_ge_u32 s12, s29
	s_cselect_b32 s12, -1, 0
	s_cmp_eq_u32 s3, 0
	s_cselect_b32 s3, s12, -1
	s_delay_alu instid0(SALU_CYCLE_1) | instskip(SKIP_2) | instid1(SALU_CYCLE_1)
	s_cmp_lg_u32 s3, 0
	s_cselect_b32 s3, s11, s10
	s_cselect_b32 s2, s2, s7
	s_xor_b64 s[2:3], s[2:3], s[8:9]
	s_delay_alu instid0(SALU_CYCLE_1)
	s_sub_u32 s2, s2, s8
	s_subb_u32 s3, s3, s8
	s_cbranch_execnz .LBB3_5
.LBB3_4:
	v_cvt_f32_u32_e32 v1, s29
	s_sub_i32 s3, 0, s29
	s_delay_alu instid0(VALU_DEP_1) | instskip(SKIP_2) | instid1(VALU_DEP_1)
	v_rcp_iflag_f32_e32 v1, v1
	s_waitcnt_depctr 0xfff
	v_mul_f32_e32 v1, 0x4f7ffffe, v1
	v_cvt_u32_f32_e32 v1, v1
	s_delay_alu instid0(VALU_DEP_1) | instskip(NEXT) | instid1(VALU_DEP_1)
	v_readfirstlane_b32 s2, v1
	s_mul_i32 s3, s3, s2
	s_delay_alu instid0(SALU_CYCLE_1) | instskip(NEXT) | instid1(SALU_CYCLE_1)
	s_mul_hi_u32 s3, s2, s3
	s_add_i32 s2, s2, s3
	s_delay_alu instid0(SALU_CYCLE_1) | instskip(NEXT) | instid1(SALU_CYCLE_1)
	s_mul_hi_u32 s2, s6, s2
	s_mul_i32 s3, s2, s29
	s_delay_alu instid0(SALU_CYCLE_1)
	s_sub_i32 s3, s6, s3
	s_add_i32 s6, s2, 1
	s_sub_i32 s7, s3, s29
	s_cmp_ge_u32 s3, s29
	s_cselect_b32 s2, s6, s2
	s_cselect_b32 s3, s7, s3
	s_add_i32 s6, s2, 1
	s_cmp_ge_u32 s3, s29
	s_mov_b32 s3, 0
	s_cselect_b32 s2, s6, s2
.LBB3_5:
	v_mov_b32_e32 v1, 0
	s_add_u32 s2, s2, 1
	s_addc_u32 s3, s3, 0
	s_mul_hi_u32 s6, s28, s2
	s_mul_i32 s3, s28, s3
	v_mad_u64_u32 v[15:16], null, s5, s15, v[0:1]
	s_mul_hi_u32 s4, s4, s5
	s_add_i32 s3, s6, s3
	s_mul_i32 s4, s4, s2
	s_mul_i32 s2, s28, s2
	s_add_i32 s3, s3, s4
	s_mov_b32 s4, exec_lo
	s_lshl_b64 s[2:3], s[2:3], 2
	s_delay_alu instid0(SALU_CYCLE_1)
	v_cmpx_gt_i64_e64 s[2:3], v[15:16]
	s_cbranch_execz .LBB3_86
; %bb.6:
	v_alignbit_b32 v19, v3, v2, 2
	v_mad_u64_u32 v[6:7], null, 0xcd9e8d57, v15, 0
	v_lshrrev_b32_e32 v20, 2, v3
	s_waitcnt vmcnt(0)
	v_dual_mov_b32 v11, v14 :: v_dual_add_nc_u32 v28, 0x8ff34781, v13
	v_mad_u64_u32 v[4:5], null, 0xd2511f53, v19, 0
	v_add_co_u32 v22, null, 0x9e3779b9, v13
	v_xor3_b32 v3, v13, v7, v20
	s_delay_alu instid0(VALU_DEP_4) | instskip(SKIP_2) | instid1(VALU_DEP_4)
	v_add_co_u32 v21, null, 0xbb67ae85, v11
	v_add_co_u32 v23, null, 0x3c6ef372, v13
	v_xor_b32_e32 v0, v5, v14
	v_mad_u64_u32 v[7:8], null, 0xd2511f53, v3, 0
	v_add_co_u32 v24, null, 0x76cf5d0a, v11
	s_delay_alu instid0(VALU_DEP_3) | instskip(SKIP_2) | instid1(VALU_DEP_3)
	v_xor_b32_e32 v0, v0, v16
	v_add_co_u32 v25, null, 0x32370b8f, v11
	v_add_co_u32 v26, null, 0xdaa66d2b, v13
	v_mad_u64_u32 v[9:10], null, 0xcd9e8d57, v0, 0
	v_xor3_b32 v0, v21, v8, v4
	v_dual_mov_b32 v38, v15 :: v_dual_and_b32 v27, 3, v2
	v_add_co_u32 v29, null, 0x78dde6e4, v13
	s_delay_alu instid0(VALU_DEP_3) | instskip(SKIP_3) | instid1(VALU_DEP_3)
	v_mad_u64_u32 v[3:4], null, 0xcd9e8d57, v0, 0
	v_xor3_b32 v8, v22, v10, v6
	v_add_co_u32 v31, null, 0xed9eba14, v11
	v_add_co_u32 v33, null, 0xa9066899, v11
	v_mad_u64_u32 v[5:6], null, 0xd2511f53, v8, 0
	v_xor3_b32 v0, v23, v4, v9
	v_add_co_u32 v34, null, 0x1715609d, v13
	v_add_co_u32 v35, null, 0xb54cda56, v13
	;; [unrolled: 1-line block ×3, first 2 shown]
	v_xor3_b32 v4, v24, v6, v7
	v_mad_u64_u32 v[6:7], null, 0xd2511f53, v0, 0
	s_load_b256 s[4:11], s[0:1], 0x30
	v_add_co_u32 v32, null, 0x5384540f, v13
	s_delay_alu instid0(VALU_DEP_3) | instskip(SKIP_1) | instid1(VALU_DEP_4)
	v_mad_u64_u32 v[8:9], null, 0xcd9e8d57, v4, 0
	v_add_co_u32 v39, null, 0x1fd5c5a3, v11
	v_xor3_b32 v0, v25, v7, v5
	v_add_co_u32 v36, null, 0xf1bbcdc8, v13
	v_add_co_u32 v40, null, 0xdb3d7428, v11
	v_xor3_b32 v7, v26, v9, v3
	s_delay_alu instid0(VALU_DEP_4) | instskip(SKIP_2) | instid1(VALU_DEP_2)
	v_mad_u64_u32 v[2:3], null, 0xcd9e8d57, v0, 0
	s_add_u32 s18, s0, 48
	s_load_b64 s[20:21], s[0:1], 0x148
	v_mad_u64_u32 v[4:5], null, 0xd2511f53, v7, 0
	s_clause 0x1
	s_load_b64 s[22:23], s[0:1], 0xf4
	s_load_b128 s[12:15], s[0:1], 0x138
	s_addc_u32 s19, s1, 0
	v_xor3_b32 v0, v29, v3, v8
	s_waitcnt lgkmcnt(0)
	s_add_i32 s24, s4, -1
	v_mov_b32_e32 v41, v16
	s_cmp_gt_u32 s24, 1
	v_xor3_b32 v3, v31, v5, v6
	v_mad_u64_u32 v[5:6], null, 0xd2511f53, v0, 0
	s_cselect_b32 s11, -1, 0
	s_cmp_lg_u32 s4, 0
	s_delay_alu instid0(VALU_DEP_2) | instskip(SKIP_2) | instid1(VALU_DEP_2)
	v_mad_u64_u32 v[7:8], null, 0xcd9e8d57, v3, 0
	s_cselect_b32 s21, -1, 0
	s_add_u32 s0, s0, 0xf4
	v_xor3_b32 v0, v33, v6, v4
	s_addc_u32 s1, s1, 0
	s_min_u32 s25, s24, 15
	s_cmp_gt_u32 s4, 1
	s_delay_alu instid0(VALU_DEP_2) | instskip(SKIP_3) | instid1(VALU_DEP_2)
	v_xor3_b32 v4, v34, v8, v2
	v_mad_u64_u32 v[2:3], null, 0xcd9e8d57, v0, 0
	s_cselect_b32 s4, -1, 0
	s_add_i32 s25, s25, 1
	v_mad_u64_u32 v[8:9], null, 0xd2511f53, v4, 0
	s_lshl_b32 s31, s28, 1
	s_and_b32 s33, s25, 3
	s_delay_alu instid0(VALU_DEP_2) | instskip(SKIP_3) | instid1(VALU_DEP_2)
	v_xor3_b32 v0, v35, v3, v7
	s_cmp_lg_u32 s24, 2
	s_mov_b32 s30, 0
	s_cselect_b32 s34, -1, 0
	v_xor3_b32 v7, v37, v9, v5
	v_mad_u64_u32 v[3:4], null, 0xd2511f53, v0, 0
	s_and_b32 s35, s25, 28
	s_cmp_lg_u32 s33, 0
	s_delay_alu instid0(VALU_DEP_2) | instskip(SKIP_2) | instid1(VALU_DEP_2)
	v_mad_u64_u32 v[5:6], null, 0xcd9e8d57, v7, 0
	s_mul_i32 s36, s28, 3
	s_cselect_b32 s37, -1, 0
	v_xor3_b32 v0, v39, v4, v8
	s_delay_alu instid0(VALU_DEP_2) | instskip(NEXT) | instid1(VALU_DEP_2)
	v_xor3_b32 v2, v32, v6, v2
	v_mad_u64_u32 v[6:7], null, 0xcd9e8d57, v0, 0
	s_delay_alu instid0(VALU_DEP_2) | instskip(NEXT) | instid1(VALU_DEP_2)
	v_mad_u64_u32 v[8:9], null, 0xd2511f53, v2, 0
	v_xor3_b32 v0, v36, v7, v5
	s_delay_alu instid0(VALU_DEP_2) | instskip(NEXT) | instid1(VALU_DEP_2)
	v_xor3_b32 v2, v40, v9, v3
	v_mad_u64_u32 v[9:10], null, 0xd2511f53, v0, 0
	v_add_nc_u32_e32 v30, 0x96a522ad, v14
	s_delay_alu instid0(VALU_DEP_3) | instskip(NEXT) | instid1(VALU_DEP_3)
	v_mad_u64_u32 v[3:4], null, 0xcd9e8d57, v2, 0
	v_mov_b32_e32 v5, v9
	s_delay_alu instid0(VALU_DEP_2) | instskip(NEXT) | instid1(VALU_DEP_4)
	v_xor3_b32 v2, v4, v6, v28
	v_xor3_b32 v4, v10, v8, v30
	s_branch .LBB3_9
.LBB3_7:                                ;   in Loop: Header=BB3_9 Depth=1
	s_or_b32 exec_lo, exec_lo, s24
	s_delay_alu instid0(VALU_DEP_1)
	v_add_nc_u32_e32 v0, s20, v0
	global_store_b8 v2, v0, s[12:13]
.LBB3_8:                                ;   in Loop: Header=BB3_9 Depth=1
	s_or_b32 exec_lo, exec_lo, s38
	v_add_co_u32 v15, vcc_lo, v15, s29
	v_add_co_ci_u32_e32 v16, vcc_lo, 0, v16, vcc_lo
	v_mov_b32_e32 v9, v17
	v_dual_mov_b32 v2, v6 :: v_dual_mov_b32 v3, v7
	s_delay_alu instid0(VALU_DEP_3) | instskip(NEXT) | instid1(VALU_DEP_3)
	v_cmp_le_i64_e32 vcc_lo, s[2:3], v[15:16]
	v_dual_mov_b32 v4, v8 :: v_dual_mov_b32 v5, v9
	s_waitcnt_vscnt null, 0x0
	s_barrier
	buffer_gl0_inv
	s_or_b32 s30, vcc_lo, s30
	s_delay_alu instid0(SALU_CYCLE_1)
	s_and_not1_b32 exec_lo, exec_lo, s30
	s_cbranch_execz .LBB3_86
.LBB3_9:                                ; =>This Loop Header: Depth=1
                                        ;     Child Loop BB3_24 Depth 2
                                        ;     Child Loop BB3_29 Depth 2
	;; [unrolled: 1-line block ×8, first 2 shown]
	v_add_co_u32 v19, vcc_lo, v19, 1
	s_delay_alu instid0(VALU_DEP_1) | instskip(SKIP_1) | instid1(VALU_DEP_3)
	v_cndmask_b32_e64 v0, 0, 1, vcc_lo
	v_add_co_ci_u32_e32 v20, vcc_lo, 0, v20, vcc_lo
	v_mad_u64_u32 v[6:7], null, 0xd2511f53, v19, 0
	s_mov_b32 s24, exec_lo
	s_delay_alu instid0(VALU_DEP_2) | instskip(SKIP_1) | instid1(VALU_DEP_1)
	v_cmp_eq_u32_e32 vcc_lo, 0, v20
	v_cndmask_b32_e32 v0, 0, v0, vcc_lo
	v_add_nc_u32_e32 v38, v0, v38
	s_delay_alu instid0(VALU_DEP_1) | instskip(SKIP_2) | instid1(VALU_DEP_1)
	v_cmp_eq_u32_e32 vcc_lo, 0, v38
	v_mad_u64_u32 v[8:9], null, 0xcd9e8d57, v38, 0
	v_cndmask_b32_e32 v0, 0, v0, vcc_lo
	v_add_nc_u32_e32 v41, v0, v41
	v_xor_b32_e32 v0, v7, v14
	s_delay_alu instid0(VALU_DEP_4) | instskip(NEXT) | instid1(VALU_DEP_2)
	v_xor3_b32 v7, v9, v13, v20
	v_xor_b32_e32 v0, v41, v0
	s_delay_alu instid0(VALU_DEP_2) | instskip(NEXT) | instid1(VALU_DEP_2)
	v_mad_u64_u32 v[9:10], null, 0xd2511f53, v7, 0
	v_mad_u64_u32 v[11:12], null, 0xcd9e8d57, v0, 0
	s_delay_alu instid0(VALU_DEP_2) | instskip(NEXT) | instid1(VALU_DEP_2)
	v_xor3_b32 v0, v21, v10, v6
	v_xor3_b32 v8, v22, v12, v8
	s_delay_alu instid0(VALU_DEP_2) | instskip(NEXT) | instid1(VALU_DEP_2)
	v_mad_u64_u32 v[6:7], null, 0xcd9e8d57, v0, 0
	v_mad_u64_u32 v[17:18], null, 0xd2511f53, v8, 0
	s_delay_alu instid0(VALU_DEP_2) | instskip(NEXT) | instid1(VALU_DEP_2)
	v_xor3_b32 v0, v23, v7, v11
	v_xor3_b32 v11, v24, v18, v9
	s_delay_alu instid0(VALU_DEP_2) | instskip(NEXT) | instid1(VALU_DEP_2)
	v_mad_u64_u32 v[7:8], null, 0xd2511f53, v0, 0
	v_mad_u64_u32 v[9:10], null, 0xcd9e8d57, v11, 0
	s_delay_alu instid0(VALU_DEP_2) | instskip(NEXT) | instid1(VALU_DEP_2)
	v_xor3_b32 v0, v25, v8, v17
	v_xor3_b32 v6, v26, v10, v6
	s_delay_alu instid0(VALU_DEP_2) | instskip(NEXT) | instid1(VALU_DEP_2)
	v_mad_u64_u32 v[10:11], null, 0xcd9e8d57, v0, 0
	v_mad_u64_u32 v[17:18], null, 0xd2511f53, v6, 0
	s_delay_alu instid0(VALU_DEP_2) | instskip(NEXT) | instid1(VALU_DEP_2)
	v_xor3_b32 v0, v29, v11, v9
	v_xor3_b32 v11, v31, v18, v7
	s_delay_alu instid0(VALU_DEP_2) | instskip(NEXT) | instid1(VALU_DEP_2)
	v_mad_u64_u32 v[6:7], null, 0xd2511f53, v0, 0
	v_mad_u64_u32 v[8:9], null, 0xcd9e8d57, v11, 0
	s_delay_alu instid0(VALU_DEP_2) | instskip(NEXT) | instid1(VALU_DEP_2)
	v_xor3_b32 v0, v33, v7, v17
	v_xor3_b32 v7, v34, v9, v10
	s_delay_alu instid0(VALU_DEP_2) | instskip(NEXT) | instid1(VALU_DEP_2)
	v_mad_u64_u32 v[9:10], null, 0xcd9e8d57, v0, 0
	v_mad_u64_u32 v[11:12], null, 0xd2511f53, v7, 0
	s_delay_alu instid0(VALU_DEP_2) | instskip(NEXT) | instid1(VALU_DEP_2)
	v_xor3_b32 v0, v35, v10, v8
	v_xor3_b32 v8, v37, v12, v6
	s_delay_alu instid0(VALU_DEP_2) | instskip(NEXT) | instid1(VALU_DEP_2)
	v_mad_u64_u32 v[6:7], null, 0xd2511f53, v0, 0
	v_mad_u64_u32 v[17:18], null, 0xcd9e8d57, v8, 0
	s_delay_alu instid0(VALU_DEP_2) | instskip(NEXT) | instid1(VALU_DEP_2)
	v_xor3_b32 v0, v39, v7, v11
	v_xor3_b32 v7, v32, v18, v9
	s_delay_alu instid0(VALU_DEP_2) | instskip(NEXT) | instid1(VALU_DEP_2)
	v_mad_u64_u32 v[9:10], null, 0xcd9e8d57, v0, 0
	v_mad_u64_u32 v[11:12], null, 0xd2511f53, v7, 0
	s_delay_alu instid0(VALU_DEP_2) | instskip(NEXT) | instid1(VALU_DEP_2)
	v_xor3_b32 v0, v36, v10, v17
	v_xor3_b32 v6, v40, v12, v6
	s_delay_alu instid0(VALU_DEP_2) | instskip(NEXT) | instid1(VALU_DEP_2)
	v_mad_u64_u32 v[17:18], null, 0xd2511f53, v0, 0
	v_mad_u64_u32 v[7:8], null, 0xcd9e8d57, v6, 0
	s_delay_alu instid0(VALU_DEP_2) | instskip(NEXT) | instid1(VALU_DEP_2)
	v_xor3_b32 v12, v18, v11, v30
	v_xor3_b32 v6, v8, v9, v28
	s_delay_alu instid0(VALU_DEP_2)
	v_mov_b32_e32 v8, v12
	v_cmpx_lt_i32_e32 1, v27
	s_xor_b32 s24, exec_lo, s24
	s_cbranch_execnz .LBB3_12
; %bb.10:                               ;   in Loop: Header=BB3_9 Depth=1
	s_and_not1_saveexec_b32 s24, s24
	s_cbranch_execnz .LBB3_17
.LBB3_11:                               ;   in Loop: Header=BB3_9 Depth=1
	s_or_b32 exec_lo, exec_lo, s24
	s_delay_alu instid0(SALU_CYCLE_1)
	s_mov_b32 s38, exec_lo
	v_cmpx_gt_i64_e64 s[16:17], v[15:16]
	s_cbranch_execnz .LBB3_20
	s_branch .LBB3_36
.LBB3_12:                               ;   in Loop: Header=BB3_9 Depth=1
	s_mov_b32 s25, exec_lo
	v_cmpx_lt_i32_e32 2, v27
	s_xor_b32 s25, exec_lo, s25
; %bb.13:                               ;   in Loop: Header=BB3_9 Depth=1
	v_dual_mov_b32 v9, v5 :: v_dual_mov_b32 v10, v6
	v_mov_b32_e32 v11, v7
	s_delay_alu instid0(VALU_DEP_2) | instskip(NEXT) | instid1(VALU_DEP_2)
	v_dual_mov_b32 v2, v9 :: v_dual_mov_b32 v3, v10
	v_dual_mov_b32 v4, v11 :: v_dual_mov_b32 v5, v12
; %bb.14:                               ;   in Loop: Header=BB3_9 Depth=1
	s_and_not1_saveexec_b32 s25, s25
; %bb.15:                               ;   in Loop: Header=BB3_9 Depth=1
	s_delay_alu instid0(VALU_DEP_1)
	v_dual_mov_b32 v2, v4 :: v_dual_mov_b32 v3, v5
	v_dual_mov_b32 v4, v6 :: v_dual_mov_b32 v5, v7
; %bb.16:                               ;   in Loop: Header=BB3_9 Depth=1
	s_or_b32 exec_lo, exec_lo, s25
	s_and_not1_saveexec_b32 s24, s24
	s_cbranch_execz .LBB3_11
.LBB3_17:                               ;   in Loop: Header=BB3_9 Depth=1
	s_mov_b32 s25, exec_lo
	v_cmpx_eq_u32_e32 1, v27
; %bb.18:                               ;   in Loop: Header=BB3_9 Depth=1
	v_dual_mov_b32 v2, v3 :: v_dual_mov_b32 v3, v4
	v_dual_mov_b32 v4, v5 :: v_dual_mov_b32 v5, v6
; %bb.19:                               ;   in Loop: Header=BB3_9 Depth=1
	s_or_b32 exec_lo, exec_lo, s25
	s_delay_alu instid0(SALU_CYCLE_1) | instskip(NEXT) | instid1(SALU_CYCLE_1)
	s_or_b32 exec_lo, exec_lo, s24
	s_mov_b32 s38, exec_lo
	v_cmpx_gt_i64_e64 s[16:17], v[15:16]
	s_cbranch_execz .LBB3_36
.LBB3_20:                               ;   in Loop: Header=BB3_9 Depth=1
	s_and_not1_b32 vcc_lo, exec_lo, s11
	s_cbranch_vccnz .LBB3_26
; %bb.21:                               ;   in Loop: Header=BB3_9 Depth=1
	v_mov_b32_e32 v9, 0
	s_and_not1_b32 vcc_lo, exec_lo, s21
	s_cbranch_vccnz .LBB3_30
; %bb.22:                               ;   in Loop: Header=BB3_9 Depth=1
	s_and_not1_b32 vcc_lo, exec_lo, s34
	s_mov_b32 s24, 0
	s_cbranch_vccnz .LBB3_27
; %bb.23:                               ;   in Loop: Header=BB3_9 Depth=1
	v_dual_mov_b32 v9, 0 :: v_dual_mov_b32 v0, v15
	s_mov_b32 s39, 0
	s_mov_b64 s[24:25], s[18:19]
	s_mov_b64 s[26:27], s[0:1]
.LBB3_24:                               ;   Parent Loop BB3_9 Depth=1
                                        ; =>  This Inner Loop Header: Depth=2
	s_clause 0x1
	s_load_b256 s[40:47], s[24:25], 0x4
	s_load_b128 s[48:51], s[24:25], 0x24
	s_load_b128 s[52:55], s[26:27], 0x0
	s_add_u32 s24, s24, 48
	s_addc_u32 s25, s25, 0
	s_add_i32 s39, s39, 4
	s_add_u32 s26, s26, 16
	s_addc_u32 s27, s27, 0
	s_cmp_lg_u32 s35, s39
	s_waitcnt lgkmcnt(0)
	v_mul_hi_u32 v10, s41, v0
	s_delay_alu instid0(VALU_DEP_1) | instskip(NEXT) | instid1(VALU_DEP_1)
	v_add_nc_u32_e32 v10, v0, v10
	v_lshrrev_b32_e32 v10, s42, v10
	s_delay_alu instid0(VALU_DEP_1) | instskip(SKIP_1) | instid1(VALU_DEP_2)
	v_mul_hi_u32 v11, s44, v10
	v_mul_lo_u32 v42, v10, s40
	v_add_nc_u32_e32 v11, v10, v11
	s_delay_alu instid0(VALU_DEP_2) | instskip(NEXT) | instid1(VALU_DEP_2)
	v_sub_nc_u32_e32 v42, v0, v42
	v_lshrrev_b32_e32 v11, s45, v11
	s_delay_alu instid0(VALU_DEP_2) | instskip(NEXT) | instid1(VALU_DEP_2)
	v_mul_lo_u32 v42, v42, s52
	v_mul_hi_u32 v12, s47, v11
	v_mul_lo_u32 v43, v11, s43
	s_delay_alu instid0(VALU_DEP_2) | instskip(NEXT) | instid1(VALU_DEP_2)
	v_add_nc_u32_e32 v12, v11, v12
	v_sub_nc_u32_e32 v10, v10, v43
	s_delay_alu instid0(VALU_DEP_2) | instskip(NEXT) | instid1(VALU_DEP_2)
	v_lshrrev_b32_e32 v12, s48, v12
	v_mul_lo_u32 v10, v10, s53
	s_delay_alu instid0(VALU_DEP_2) | instskip(NEXT) | instid1(VALU_DEP_2)
	v_mul_hi_u32 v18, s50, v12
	v_add3_u32 v9, v42, v9, v10
	s_delay_alu instid0(VALU_DEP_2) | instskip(NEXT) | instid1(VALU_DEP_1)
	v_add_nc_u32_e32 v18, v12, v18
	v_lshrrev_b32_e32 v0, s51, v18
	v_mul_lo_u32 v18, v12, s46
	s_delay_alu instid0(VALU_DEP_2) | instskip(NEXT) | instid1(VALU_DEP_2)
	v_mul_lo_u32 v44, v0, s49
	v_sub_nc_u32_e32 v11, v11, v18
	s_delay_alu instid0(VALU_DEP_2) | instskip(NEXT) | instid1(VALU_DEP_2)
	v_sub_nc_u32_e32 v12, v12, v44
	v_mul_lo_u32 v11, v11, s54
	s_delay_alu instid0(VALU_DEP_2) | instskip(NEXT) | instid1(VALU_DEP_1)
	v_mul_lo_u32 v12, v12, s55
	v_add3_u32 v9, v11, v9, v12
	s_cbranch_scc1 .LBB3_24
; %bb.25:                               ;   in Loop: Header=BB3_9 Depth=1
	s_mov_b32 s24, s35
	s_and_not1_b32 vcc_lo, exec_lo, s37
	s_cbranch_vccz .LBB3_28
	s_branch .LBB3_30
.LBB3_26:                               ;   in Loop: Header=BB3_9 Depth=1
                                        ; implicit-def: $vgpr9
	s_branch .LBB3_31
.LBB3_27:                               ;   in Loop: Header=BB3_9 Depth=1
	v_mov_b32_e32 v0, v15
	s_and_not1_b32 vcc_lo, exec_lo, s37
	s_cbranch_vccnz .LBB3_30
.LBB3_28:                               ;   in Loop: Header=BB3_9 Depth=1
	s_lshl_b32 s25, s24, 2
	s_mul_i32 s26, s24, 12
	s_add_u32 s24, s0, s25
	s_addc_u32 s25, s1, 0
	s_add_u32 s26, s18, s26
	s_addc_u32 s27, s19, 0
	s_mov_b32 s39, s33
	.p2align	6
.LBB3_29:                               ;   Parent Loop BB3_9 Depth=1
                                        ; =>  This Inner Loop Header: Depth=2
	s_clause 0x1
	s_load_b64 s[40:41], s[26:27], 0x4
	s_load_b32 s42, s[26:27], 0xc
	s_add_u32 s26, s26, 12
	s_addc_u32 s27, s27, 0
	s_waitcnt lgkmcnt(0)
	v_mul_hi_u32 v10, s41, v0
	s_load_b32 s41, s[24:25], 0x0
	s_add_u32 s24, s24, 4
	s_addc_u32 s25, s25, 0
	s_add_i32 s39, s39, -1
	s_delay_alu instid0(SALU_CYCLE_1) | instskip(NEXT) | instid1(VALU_DEP_1)
	s_cmp_lg_u32 s39, 0
	v_add_nc_u32_e32 v10, v0, v10
	s_delay_alu instid0(VALU_DEP_1) | instskip(NEXT) | instid1(VALU_DEP_1)
	v_lshrrev_b32_e32 v12, s42, v10
	v_mul_lo_u32 v10, v12, s40
	s_delay_alu instid0(VALU_DEP_1) | instskip(SKIP_1) | instid1(VALU_DEP_1)
	v_sub_nc_u32_e32 v0, v0, v10
	s_waitcnt lgkmcnt(0)
	v_mad_u64_u32 v[10:11], null, v0, s41, v[9:10]
	s_delay_alu instid0(VALU_DEP_1)
	v_dual_mov_b32 v0, v12 :: v_dual_mov_b32 v9, v10
	s_cbranch_scc1 .LBB3_29
.LBB3_30:                               ;   in Loop: Header=BB3_9 Depth=1
	s_cbranch_execnz .LBB3_33
.LBB3_31:                               ;   in Loop: Header=BB3_9 Depth=1
	v_mul_hi_u32 v0, v15, s6
	s_and_not1_b32 vcc_lo, exec_lo, s4
	s_delay_alu instid0(VALU_DEP_1) | instskip(NEXT) | instid1(VALU_DEP_1)
	v_add_nc_u32_e32 v0, v0, v15
	v_lshrrev_b32_e32 v0, s7, v0
	s_delay_alu instid0(VALU_DEP_1) | instskip(NEXT) | instid1(VALU_DEP_1)
	v_mul_lo_u32 v9, v0, s5
	v_sub_nc_u32_e32 v9, v15, v9
	s_delay_alu instid0(VALU_DEP_1)
	v_mul_lo_u32 v9, v9, s22
	s_cbranch_vccnz .LBB3_33
; %bb.32:                               ;   in Loop: Header=BB3_9 Depth=1
	v_mul_hi_u32 v10, s9, v0
	s_delay_alu instid0(VALU_DEP_1) | instskip(NEXT) | instid1(VALU_DEP_1)
	v_add_nc_u32_e32 v10, v0, v10
	v_lshrrev_b32_e32 v10, s10, v10
	s_delay_alu instid0(VALU_DEP_1) | instskip(NEXT) | instid1(VALU_DEP_1)
	v_mul_lo_u32 v10, v10, s8
	v_sub_nc_u32_e32 v0, v0, v10
	s_delay_alu instid0(VALU_DEP_1) | instskip(NEXT) | instid1(VALU_DEP_1)
	v_mad_u64_u32 v[10:11], null, v0, s23, v[9:10]
	v_mov_b32_e32 v9, v10
.LBB3_33:                               ;   in Loop: Header=BB3_9 Depth=1
	v_mov_b32_e32 v0, v2
	s_mov_b32 s24, exec_lo
	s_delay_alu instid0(VALU_DEP_1)
	v_cmpx_le_u64_e64 s[14:15], v[0:1]
	s_cbranch_execz .LBB3_35
; %bb.34:                               ;   in Loop: Header=BB3_9 Depth=1
	v_cvt_f32_u32_e32 v2, s14
	s_sub_i32 s25, 0, s14
	s_delay_alu instid0(VALU_DEP_1) | instskip(SKIP_2) | instid1(VALU_DEP_1)
	v_rcp_iflag_f32_e32 v2, v2
	s_waitcnt_depctr 0xfff
	v_mul_f32_e32 v2, 0x4f7ffffe, v2
	v_cvt_u32_f32_e32 v2, v2
	s_delay_alu instid0(VALU_DEP_1) | instskip(NEXT) | instid1(VALU_DEP_1)
	v_mul_lo_u32 v10, s25, v2
	v_mul_hi_u32 v10, v2, v10
	s_delay_alu instid0(VALU_DEP_1) | instskip(NEXT) | instid1(VALU_DEP_1)
	v_add_nc_u32_e32 v2, v2, v10
	v_mul_hi_u32 v2, v0, v2
	s_delay_alu instid0(VALU_DEP_1) | instskip(NEXT) | instid1(VALU_DEP_1)
	v_mul_lo_u32 v2, v2, s14
	v_sub_nc_u32_e32 v0, v0, v2
	s_delay_alu instid0(VALU_DEP_1) | instskip(SKIP_1) | instid1(VALU_DEP_2)
	v_subrev_nc_u32_e32 v2, s14, v0
	v_cmp_le_u32_e32 vcc_lo, s14, v0
	v_cndmask_b32_e32 v0, v0, v2, vcc_lo
	s_delay_alu instid0(VALU_DEP_1) | instskip(SKIP_1) | instid1(VALU_DEP_2)
	v_subrev_nc_u32_e32 v2, s14, v0
	v_cmp_le_u32_e32 vcc_lo, s14, v0
	v_cndmask_b32_e32 v0, v0, v2, vcc_lo
.LBB3_35:                               ;   in Loop: Header=BB3_9 Depth=1
	s_or_b32 exec_lo, exec_lo, s24
	s_delay_alu instid0(VALU_DEP_1)
	v_add_nc_u32_e32 v0, s20, v0
	global_store_b8 v9, v0, s[12:13]
.LBB3_36:                               ;   in Loop: Header=BB3_9 Depth=1
	s_or_b32 exec_lo, exec_lo, s38
	v_add_co_u32 v9, vcc_lo, v15, s28
	v_add_co_ci_u32_e32 v10, vcc_lo, 0, v16, vcc_lo
	s_mov_b32 s38, exec_lo
	s_delay_alu instid0(VALU_DEP_1)
	v_cmpx_gt_i64_e64 s[16:17], v[9:10]
	s_cbranch_execz .LBB3_53
; %bb.37:                               ;   in Loop: Header=BB3_9 Depth=1
	s_and_not1_b32 vcc_lo, exec_lo, s11
	s_cbranch_vccnz .LBB3_43
; %bb.38:                               ;   in Loop: Header=BB3_9 Depth=1
	v_mov_b32_e32 v2, 0
	s_and_not1_b32 vcc_lo, exec_lo, s21
	s_cbranch_vccnz .LBB3_47
; %bb.39:                               ;   in Loop: Header=BB3_9 Depth=1
	s_and_not1_b32 vcc_lo, exec_lo, s34
	s_mov_b32 s24, 0
	s_cbranch_vccnz .LBB3_44
; %bb.40:                               ;   in Loop: Header=BB3_9 Depth=1
	v_mov_b32_e32 v2, 0
	v_mov_b32_e32 v0, v9
	s_mov_b32 s39, 0
	s_mov_b64 s[24:25], s[18:19]
	s_mov_b64 s[26:27], s[0:1]
.LBB3_41:                               ;   Parent Loop BB3_9 Depth=1
                                        ; =>  This Inner Loop Header: Depth=2
	s_clause 0x1
	s_load_b256 s[40:47], s[24:25], 0x4
	s_load_b128 s[48:51], s[24:25], 0x24
	s_load_b128 s[52:55], s[26:27], 0x0
	s_add_u32 s24, s24, 48
	s_addc_u32 s25, s25, 0
	s_add_i32 s39, s39, 4
	s_add_u32 s26, s26, 16
	s_addc_u32 s27, s27, 0
	s_cmp_eq_u32 s35, s39
	s_waitcnt lgkmcnt(0)
	v_mul_hi_u32 v10, s41, v0
	s_delay_alu instid0(VALU_DEP_1) | instskip(NEXT) | instid1(VALU_DEP_1)
	v_add_nc_u32_e32 v10, v0, v10
	v_lshrrev_b32_e32 v10, s42, v10
	s_delay_alu instid0(VALU_DEP_1) | instskip(SKIP_1) | instid1(VALU_DEP_2)
	v_mul_hi_u32 v11, s44, v10
	v_mul_lo_u32 v42, v10, s40
	v_add_nc_u32_e32 v11, v10, v11
	s_delay_alu instid0(VALU_DEP_2) | instskip(NEXT) | instid1(VALU_DEP_2)
	v_sub_nc_u32_e32 v42, v0, v42
	v_lshrrev_b32_e32 v11, s45, v11
	s_delay_alu instid0(VALU_DEP_2) | instskip(NEXT) | instid1(VALU_DEP_2)
	v_mul_lo_u32 v42, v42, s52
	v_mul_hi_u32 v12, s47, v11
	v_mul_lo_u32 v43, v11, s43
	s_delay_alu instid0(VALU_DEP_2) | instskip(NEXT) | instid1(VALU_DEP_2)
	v_add_nc_u32_e32 v12, v11, v12
	v_sub_nc_u32_e32 v10, v10, v43
	s_delay_alu instid0(VALU_DEP_2) | instskip(NEXT) | instid1(VALU_DEP_2)
	v_lshrrev_b32_e32 v12, s48, v12
	v_mul_lo_u32 v10, v10, s53
	s_delay_alu instid0(VALU_DEP_2) | instskip(NEXT) | instid1(VALU_DEP_2)
	v_mul_hi_u32 v18, s50, v12
	v_add3_u32 v2, v42, v2, v10
	s_delay_alu instid0(VALU_DEP_2) | instskip(NEXT) | instid1(VALU_DEP_1)
	v_add_nc_u32_e32 v18, v12, v18
	v_lshrrev_b32_e32 v0, s51, v18
	v_mul_lo_u32 v18, v12, s46
	s_delay_alu instid0(VALU_DEP_2) | instskip(NEXT) | instid1(VALU_DEP_2)
	v_mul_lo_u32 v44, v0, s49
	v_sub_nc_u32_e32 v11, v11, v18
	s_delay_alu instid0(VALU_DEP_2) | instskip(NEXT) | instid1(VALU_DEP_2)
	v_sub_nc_u32_e32 v12, v12, v44
	v_mul_lo_u32 v11, v11, s54
	s_delay_alu instid0(VALU_DEP_2) | instskip(NEXT) | instid1(VALU_DEP_1)
	v_mul_lo_u32 v12, v12, s55
	v_add3_u32 v2, v11, v2, v12
	s_cbranch_scc0 .LBB3_41
; %bb.42:                               ;   in Loop: Header=BB3_9 Depth=1
	s_mov_b32 s24, s35
	s_and_not1_b32 vcc_lo, exec_lo, s37
	s_cbranch_vccz .LBB3_45
	s_branch .LBB3_47
.LBB3_43:                               ;   in Loop: Header=BB3_9 Depth=1
                                        ; implicit-def: $vgpr2
	s_branch .LBB3_48
.LBB3_44:                               ;   in Loop: Header=BB3_9 Depth=1
	v_mov_b32_e32 v0, v9
	s_and_not1_b32 vcc_lo, exec_lo, s37
	s_cbranch_vccnz .LBB3_47
.LBB3_45:                               ;   in Loop: Header=BB3_9 Depth=1
	s_lshl_b32 s25, s24, 2
	s_mul_i32 s26, s24, 12
	s_add_u32 s24, s0, s25
	s_addc_u32 s25, s1, 0
	s_add_u32 s26, s18, s26
	s_addc_u32 s27, s19, 0
	s_mov_b32 s39, s33
	.p2align	6
.LBB3_46:                               ;   Parent Loop BB3_9 Depth=1
                                        ; =>  This Inner Loop Header: Depth=2
	s_clause 0x1
	s_load_b64 s[40:41], s[26:27], 0x4
	s_load_b32 s42, s[26:27], 0xc
	s_add_u32 s26, s26, 12
	s_addc_u32 s27, s27, 0
	s_waitcnt lgkmcnt(0)
	v_mul_hi_u32 v10, s41, v0
	s_load_b32 s41, s[24:25], 0x0
	s_add_u32 s24, s24, 4
	s_addc_u32 s25, s25, 0
	s_add_i32 s39, s39, -1
	s_delay_alu instid0(SALU_CYCLE_1) | instskip(NEXT) | instid1(VALU_DEP_1)
	s_cmp_lg_u32 s39, 0
	v_add_nc_u32_e32 v10, v0, v10
	s_delay_alu instid0(VALU_DEP_1) | instskip(NEXT) | instid1(VALU_DEP_1)
	v_lshrrev_b32_e32 v12, s42, v10
	v_mul_lo_u32 v10, v12, s40
	s_delay_alu instid0(VALU_DEP_1) | instskip(SKIP_1) | instid1(VALU_DEP_1)
	v_sub_nc_u32_e32 v0, v0, v10
	s_waitcnt lgkmcnt(0)
	v_mad_u64_u32 v[10:11], null, v0, s41, v[2:3]
	v_mov_b32_e32 v0, v12
	s_delay_alu instid0(VALU_DEP_2)
	v_mov_b32_e32 v2, v10
	s_cbranch_scc1 .LBB3_46
.LBB3_47:                               ;   in Loop: Header=BB3_9 Depth=1
	s_cbranch_execnz .LBB3_50
.LBB3_48:                               ;   in Loop: Header=BB3_9 Depth=1
	v_mul_hi_u32 v0, v9, s6
	s_and_not1_b32 vcc_lo, exec_lo, s4
	s_delay_alu instid0(VALU_DEP_1) | instskip(NEXT) | instid1(VALU_DEP_1)
	v_add_nc_u32_e32 v0, v0, v9
	v_lshrrev_b32_e32 v0, s7, v0
	s_delay_alu instid0(VALU_DEP_1) | instskip(NEXT) | instid1(VALU_DEP_1)
	v_mul_lo_u32 v2, v0, s5
	v_sub_nc_u32_e32 v2, v9, v2
	s_delay_alu instid0(VALU_DEP_1)
	v_mul_lo_u32 v2, v2, s22
	s_cbranch_vccnz .LBB3_50
; %bb.49:                               ;   in Loop: Header=BB3_9 Depth=1
	v_mul_hi_u32 v9, s9, v0
	s_delay_alu instid0(VALU_DEP_1) | instskip(NEXT) | instid1(VALU_DEP_1)
	v_add_nc_u32_e32 v9, v0, v9
	v_lshrrev_b32_e32 v9, s10, v9
	s_delay_alu instid0(VALU_DEP_1) | instskip(NEXT) | instid1(VALU_DEP_1)
	v_mul_lo_u32 v9, v9, s8
	v_sub_nc_u32_e32 v0, v0, v9
	s_delay_alu instid0(VALU_DEP_1) | instskip(NEXT) | instid1(VALU_DEP_1)
	v_mad_u64_u32 v[9:10], null, v0, s23, v[2:3]
	v_mov_b32_e32 v2, v9
.LBB3_50:                               ;   in Loop: Header=BB3_9 Depth=1
	v_mov_b32_e32 v0, v3
	s_mov_b32 s24, exec_lo
	s_delay_alu instid0(VALU_DEP_1)
	v_cmpx_le_u64_e64 s[14:15], v[0:1]
	s_cbranch_execz .LBB3_52
; %bb.51:                               ;   in Loop: Header=BB3_9 Depth=1
	v_cvt_f32_u32_e32 v3, s14
	s_sub_i32 s25, 0, s14
	s_delay_alu instid0(VALU_DEP_1) | instskip(SKIP_2) | instid1(VALU_DEP_1)
	v_rcp_iflag_f32_e32 v3, v3
	s_waitcnt_depctr 0xfff
	v_mul_f32_e32 v3, 0x4f7ffffe, v3
	v_cvt_u32_f32_e32 v3, v3
	s_delay_alu instid0(VALU_DEP_1) | instskip(NEXT) | instid1(VALU_DEP_1)
	v_mul_lo_u32 v9, s25, v3
	v_mul_hi_u32 v9, v3, v9
	s_delay_alu instid0(VALU_DEP_1) | instskip(NEXT) | instid1(VALU_DEP_1)
	v_add_nc_u32_e32 v3, v3, v9
	v_mul_hi_u32 v3, v0, v3
	s_delay_alu instid0(VALU_DEP_1) | instskip(NEXT) | instid1(VALU_DEP_1)
	v_mul_lo_u32 v3, v3, s14
	v_sub_nc_u32_e32 v0, v0, v3
	s_delay_alu instid0(VALU_DEP_1) | instskip(SKIP_1) | instid1(VALU_DEP_2)
	v_subrev_nc_u32_e32 v3, s14, v0
	v_cmp_le_u32_e32 vcc_lo, s14, v0
	v_cndmask_b32_e32 v0, v0, v3, vcc_lo
	s_delay_alu instid0(VALU_DEP_1) | instskip(SKIP_1) | instid1(VALU_DEP_2)
	v_subrev_nc_u32_e32 v3, s14, v0
	v_cmp_le_u32_e32 vcc_lo, s14, v0
	v_cndmask_b32_e32 v0, v0, v3, vcc_lo
.LBB3_52:                               ;   in Loop: Header=BB3_9 Depth=1
	s_or_b32 exec_lo, exec_lo, s24
	s_delay_alu instid0(VALU_DEP_1)
	v_add_nc_u32_e32 v0, s20, v0
	global_store_b8 v2, v0, s[12:13]
.LBB3_53:                               ;   in Loop: Header=BB3_9 Depth=1
	s_or_b32 exec_lo, exec_lo, s38
	v_add_co_u32 v9, vcc_lo, v15, s31
	v_add_co_ci_u32_e32 v10, vcc_lo, 0, v16, vcc_lo
	s_mov_b32 s38, exec_lo
	s_delay_alu instid0(VALU_DEP_1)
	v_cmpx_gt_i64_e64 s[16:17], v[9:10]
	s_cbranch_execz .LBB3_70
; %bb.54:                               ;   in Loop: Header=BB3_9 Depth=1
	s_and_not1_b32 vcc_lo, exec_lo, s11
	s_cbranch_vccnz .LBB3_60
; %bb.55:                               ;   in Loop: Header=BB3_9 Depth=1
	v_mov_b32_e32 v2, 0
	s_and_not1_b32 vcc_lo, exec_lo, s21
	s_cbranch_vccnz .LBB3_64
; %bb.56:                               ;   in Loop: Header=BB3_9 Depth=1
	s_and_not1_b32 vcc_lo, exec_lo, s34
	s_mov_b32 s24, 0
	s_cbranch_vccnz .LBB3_61
; %bb.57:                               ;   in Loop: Header=BB3_9 Depth=1
	v_mov_b32_e32 v2, 0
	v_mov_b32_e32 v0, v9
	s_mov_b32 s39, 0
	s_mov_b64 s[24:25], s[18:19]
	s_mov_b64 s[26:27], s[0:1]
.LBB3_58:                               ;   Parent Loop BB3_9 Depth=1
                                        ; =>  This Inner Loop Header: Depth=2
	s_clause 0x1
	s_load_b256 s[40:47], s[24:25], 0x4
	s_load_b128 s[48:51], s[24:25], 0x24
	s_load_b128 s[52:55], s[26:27], 0x0
	s_add_u32 s24, s24, 48
	s_addc_u32 s25, s25, 0
	s_add_i32 s39, s39, 4
	s_add_u32 s26, s26, 16
	s_addc_u32 s27, s27, 0
	s_cmp_eq_u32 s35, s39
	s_waitcnt lgkmcnt(0)
	v_mul_hi_u32 v3, s41, v0
	s_delay_alu instid0(VALU_DEP_1) | instskip(NEXT) | instid1(VALU_DEP_1)
	v_add_nc_u32_e32 v3, v0, v3
	v_lshrrev_b32_e32 v3, s42, v3
	s_delay_alu instid0(VALU_DEP_1) | instskip(SKIP_1) | instid1(VALU_DEP_2)
	v_mul_hi_u32 v10, s44, v3
	v_mul_lo_u32 v18, v3, s40
	v_add_nc_u32_e32 v10, v3, v10
	s_delay_alu instid0(VALU_DEP_2) | instskip(NEXT) | instid1(VALU_DEP_2)
	v_sub_nc_u32_e32 v18, v0, v18
	v_lshrrev_b32_e32 v10, s45, v10
	s_delay_alu instid0(VALU_DEP_2) | instskip(NEXT) | instid1(VALU_DEP_2)
	v_mul_lo_u32 v18, v18, s52
	v_mul_hi_u32 v11, s47, v10
	v_mul_lo_u32 v42, v10, s43
	s_delay_alu instid0(VALU_DEP_2) | instskip(NEXT) | instid1(VALU_DEP_2)
	v_add_nc_u32_e32 v11, v10, v11
	v_sub_nc_u32_e32 v3, v3, v42
	s_delay_alu instid0(VALU_DEP_2) | instskip(NEXT) | instid1(VALU_DEP_2)
	v_lshrrev_b32_e32 v11, s48, v11
	v_mul_lo_u32 v3, v3, s53
	s_delay_alu instid0(VALU_DEP_2) | instskip(NEXT) | instid1(VALU_DEP_2)
	v_mul_hi_u32 v12, s50, v11
	v_add3_u32 v2, v18, v2, v3
	s_delay_alu instid0(VALU_DEP_2) | instskip(NEXT) | instid1(VALU_DEP_1)
	v_add_nc_u32_e32 v12, v11, v12
	v_lshrrev_b32_e32 v0, s51, v12
	v_mul_lo_u32 v12, v11, s46
	s_delay_alu instid0(VALU_DEP_2) | instskip(NEXT) | instid1(VALU_DEP_2)
	v_mul_lo_u32 v43, v0, s49
	v_sub_nc_u32_e32 v10, v10, v12
	s_delay_alu instid0(VALU_DEP_2) | instskip(NEXT) | instid1(VALU_DEP_2)
	v_sub_nc_u32_e32 v11, v11, v43
	v_mul_lo_u32 v10, v10, s54
	s_delay_alu instid0(VALU_DEP_2) | instskip(NEXT) | instid1(VALU_DEP_1)
	v_mul_lo_u32 v11, v11, s55
	v_add3_u32 v2, v10, v2, v11
	s_cbranch_scc0 .LBB3_58
; %bb.59:                               ;   in Loop: Header=BB3_9 Depth=1
	s_mov_b32 s24, s35
	s_and_not1_b32 vcc_lo, exec_lo, s37
	s_cbranch_vccz .LBB3_62
	s_branch .LBB3_64
.LBB3_60:                               ;   in Loop: Header=BB3_9 Depth=1
                                        ; implicit-def: $vgpr2
	s_branch .LBB3_65
.LBB3_61:                               ;   in Loop: Header=BB3_9 Depth=1
	v_mov_b32_e32 v0, v9
	s_and_not1_b32 vcc_lo, exec_lo, s37
	s_cbranch_vccnz .LBB3_64
.LBB3_62:                               ;   in Loop: Header=BB3_9 Depth=1
	s_lshl_b32 s25, s24, 2
	s_mul_i32 s26, s24, 12
	s_add_u32 s24, s0, s25
	s_addc_u32 s25, s1, 0
	s_add_u32 s26, s18, s26
	s_addc_u32 s27, s19, 0
	s_mov_b32 s39, s33
	.p2align	6
.LBB3_63:                               ;   Parent Loop BB3_9 Depth=1
                                        ; =>  This Inner Loop Header: Depth=2
	s_clause 0x1
	s_load_b64 s[40:41], s[26:27], 0x4
	s_load_b32 s42, s[26:27], 0xc
	s_add_u32 s26, s26, 12
	s_addc_u32 s27, s27, 0
	s_waitcnt lgkmcnt(0)
	v_mul_hi_u32 v3, s41, v0
	s_load_b32 s41, s[24:25], 0x0
	s_add_u32 s24, s24, 4
	s_addc_u32 s25, s25, 0
	s_add_i32 s39, s39, -1
	s_delay_alu instid0(SALU_CYCLE_1) | instskip(NEXT) | instid1(VALU_DEP_1)
	s_cmp_lg_u32 s39, 0
	v_add_nc_u32_e32 v3, v0, v3
	s_delay_alu instid0(VALU_DEP_1) | instskip(NEXT) | instid1(VALU_DEP_1)
	v_lshrrev_b32_e32 v3, s42, v3
	v_mul_lo_u32 v10, v3, s40
	s_delay_alu instid0(VALU_DEP_1) | instskip(SKIP_1) | instid1(VALU_DEP_1)
	v_sub_nc_u32_e32 v0, v0, v10
	s_waitcnt lgkmcnt(0)
	v_mad_u64_u32 v[10:11], null, v0, s41, v[2:3]
	v_mov_b32_e32 v0, v3
	s_delay_alu instid0(VALU_DEP_2)
	v_mov_b32_e32 v2, v10
	s_cbranch_scc1 .LBB3_63
.LBB3_64:                               ;   in Loop: Header=BB3_9 Depth=1
	s_cbranch_execnz .LBB3_67
.LBB3_65:                               ;   in Loop: Header=BB3_9 Depth=1
	v_mul_hi_u32 v0, v9, s6
	s_and_not1_b32 vcc_lo, exec_lo, s4
	s_delay_alu instid0(VALU_DEP_1) | instskip(NEXT) | instid1(VALU_DEP_1)
	v_add_nc_u32_e32 v0, v0, v9
	v_lshrrev_b32_e32 v0, s7, v0
	s_delay_alu instid0(VALU_DEP_1) | instskip(NEXT) | instid1(VALU_DEP_1)
	v_mul_lo_u32 v2, v0, s5
	v_sub_nc_u32_e32 v2, v9, v2
	s_delay_alu instid0(VALU_DEP_1)
	v_mul_lo_u32 v2, v2, s22
	s_cbranch_vccnz .LBB3_67
; %bb.66:                               ;   in Loop: Header=BB3_9 Depth=1
	v_mul_hi_u32 v3, s9, v0
	s_delay_alu instid0(VALU_DEP_1) | instskip(NEXT) | instid1(VALU_DEP_1)
	v_add_nc_u32_e32 v3, v0, v3
	v_lshrrev_b32_e32 v3, s10, v3
	s_delay_alu instid0(VALU_DEP_1) | instskip(NEXT) | instid1(VALU_DEP_1)
	v_mul_lo_u32 v3, v3, s8
	v_sub_nc_u32_e32 v0, v0, v3
	s_delay_alu instid0(VALU_DEP_1) | instskip(NEXT) | instid1(VALU_DEP_1)
	v_mad_u64_u32 v[9:10], null, v0, s23, v[2:3]
	v_mov_b32_e32 v2, v9
.LBB3_67:                               ;   in Loop: Header=BB3_9 Depth=1
	v_mov_b32_e32 v0, v4
	s_mov_b32 s24, exec_lo
	s_delay_alu instid0(VALU_DEP_1)
	v_cmpx_le_u64_e64 s[14:15], v[0:1]
	s_cbranch_execz .LBB3_69
; %bb.68:                               ;   in Loop: Header=BB3_9 Depth=1
	v_cvt_f32_u32_e32 v3, s14
	s_sub_i32 s25, 0, s14
	s_delay_alu instid0(VALU_DEP_1) | instskip(SKIP_2) | instid1(VALU_DEP_1)
	v_rcp_iflag_f32_e32 v3, v3
	s_waitcnt_depctr 0xfff
	v_mul_f32_e32 v3, 0x4f7ffffe, v3
	v_cvt_u32_f32_e32 v3, v3
	s_delay_alu instid0(VALU_DEP_1) | instskip(NEXT) | instid1(VALU_DEP_1)
	v_mul_lo_u32 v4, s25, v3
	v_mul_hi_u32 v4, v3, v4
	s_delay_alu instid0(VALU_DEP_1) | instskip(NEXT) | instid1(VALU_DEP_1)
	v_add_nc_u32_e32 v3, v3, v4
	v_mul_hi_u32 v3, v0, v3
	s_delay_alu instid0(VALU_DEP_1) | instskip(NEXT) | instid1(VALU_DEP_1)
	v_mul_lo_u32 v3, v3, s14
	v_sub_nc_u32_e32 v0, v0, v3
	s_delay_alu instid0(VALU_DEP_1) | instskip(SKIP_1) | instid1(VALU_DEP_2)
	v_subrev_nc_u32_e32 v3, s14, v0
	v_cmp_le_u32_e32 vcc_lo, s14, v0
	v_cndmask_b32_e32 v0, v0, v3, vcc_lo
	s_delay_alu instid0(VALU_DEP_1) | instskip(SKIP_1) | instid1(VALU_DEP_2)
	v_subrev_nc_u32_e32 v3, s14, v0
	v_cmp_le_u32_e32 vcc_lo, s14, v0
	v_cndmask_b32_e32 v0, v0, v3, vcc_lo
.LBB3_69:                               ;   in Loop: Header=BB3_9 Depth=1
	s_or_b32 exec_lo, exec_lo, s24
	s_delay_alu instid0(VALU_DEP_1)
	v_add_nc_u32_e32 v0, s20, v0
	global_store_b8 v2, v0, s[12:13]
.LBB3_70:                               ;   in Loop: Header=BB3_9 Depth=1
	s_or_b32 exec_lo, exec_lo, s38
	v_add_co_u32 v3, vcc_lo, v15, s36
	v_add_co_ci_u32_e32 v4, vcc_lo, 0, v16, vcc_lo
	s_mov_b32 s38, exec_lo
	s_delay_alu instid0(VALU_DEP_1)
	v_cmpx_gt_i64_e64 s[16:17], v[3:4]
	s_cbranch_execz .LBB3_8
; %bb.71:                               ;   in Loop: Header=BB3_9 Depth=1
	s_and_not1_b32 vcc_lo, exec_lo, s11
	s_cbranch_vccnz .LBB3_77
; %bb.72:                               ;   in Loop: Header=BB3_9 Depth=1
	v_mov_b32_e32 v2, 0
	s_and_not1_b32 vcc_lo, exec_lo, s21
	s_cbranch_vccnz .LBB3_81
; %bb.73:                               ;   in Loop: Header=BB3_9 Depth=1
	s_and_not1_b32 vcc_lo, exec_lo, s34
	s_mov_b32 s24, 0
	s_cbranch_vccnz .LBB3_78
; %bb.74:                               ;   in Loop: Header=BB3_9 Depth=1
	v_mov_b32_e32 v2, 0
	v_mov_b32_e32 v0, v3
	s_mov_b32 s39, 0
	s_mov_b64 s[24:25], s[18:19]
	s_mov_b64 s[26:27], s[0:1]
.LBB3_75:                               ;   Parent Loop BB3_9 Depth=1
                                        ; =>  This Inner Loop Header: Depth=2
	s_clause 0x1
	s_load_b256 s[40:47], s[24:25], 0x4
	s_load_b128 s[48:51], s[24:25], 0x24
	s_load_b128 s[52:55], s[26:27], 0x0
	s_add_u32 s24, s24, 48
	s_addc_u32 s25, s25, 0
	s_add_i32 s39, s39, 4
	s_add_u32 s26, s26, 16
	s_addc_u32 s27, s27, 0
	s_cmp_eq_u32 s35, s39
	s_waitcnt lgkmcnt(0)
	v_mul_hi_u32 v4, s41, v0
	s_delay_alu instid0(VALU_DEP_1) | instskip(NEXT) | instid1(VALU_DEP_1)
	v_add_nc_u32_e32 v4, v0, v4
	v_lshrrev_b32_e32 v4, s42, v4
	s_delay_alu instid0(VALU_DEP_1) | instskip(SKIP_1) | instid1(VALU_DEP_2)
	v_mul_hi_u32 v9, s44, v4
	v_mul_lo_u32 v12, v4, s40
	v_add_nc_u32_e32 v9, v4, v9
	s_delay_alu instid0(VALU_DEP_2) | instskip(NEXT) | instid1(VALU_DEP_2)
	v_sub_nc_u32_e32 v12, v0, v12
	v_lshrrev_b32_e32 v9, s45, v9
	s_delay_alu instid0(VALU_DEP_2) | instskip(NEXT) | instid1(VALU_DEP_2)
	v_mul_lo_u32 v12, v12, s52
	v_mul_hi_u32 v10, s47, v9
	v_mul_lo_u32 v18, v9, s43
	s_delay_alu instid0(VALU_DEP_2) | instskip(NEXT) | instid1(VALU_DEP_2)
	v_add_nc_u32_e32 v10, v9, v10
	v_sub_nc_u32_e32 v4, v4, v18
	s_delay_alu instid0(VALU_DEP_2) | instskip(NEXT) | instid1(VALU_DEP_2)
	v_lshrrev_b32_e32 v10, s48, v10
	v_mul_lo_u32 v4, v4, s53
	s_delay_alu instid0(VALU_DEP_2) | instskip(NEXT) | instid1(VALU_DEP_2)
	v_mul_hi_u32 v11, s50, v10
	v_add3_u32 v2, v12, v2, v4
	s_delay_alu instid0(VALU_DEP_2) | instskip(NEXT) | instid1(VALU_DEP_1)
	v_add_nc_u32_e32 v11, v10, v11
	v_lshrrev_b32_e32 v0, s51, v11
	v_mul_lo_u32 v11, v10, s46
	s_delay_alu instid0(VALU_DEP_2) | instskip(NEXT) | instid1(VALU_DEP_2)
	v_mul_lo_u32 v42, v0, s49
	v_sub_nc_u32_e32 v9, v9, v11
	s_delay_alu instid0(VALU_DEP_2) | instskip(NEXT) | instid1(VALU_DEP_2)
	v_sub_nc_u32_e32 v10, v10, v42
	v_mul_lo_u32 v9, v9, s54
	s_delay_alu instid0(VALU_DEP_2) | instskip(NEXT) | instid1(VALU_DEP_1)
	v_mul_lo_u32 v10, v10, s55
	v_add3_u32 v2, v9, v2, v10
	s_cbranch_scc0 .LBB3_75
; %bb.76:                               ;   in Loop: Header=BB3_9 Depth=1
	s_mov_b32 s24, s35
	s_and_not1_b32 vcc_lo, exec_lo, s37
	s_cbranch_vccz .LBB3_79
	s_branch .LBB3_81
.LBB3_77:                               ;   in Loop: Header=BB3_9 Depth=1
                                        ; implicit-def: $vgpr2
	s_branch .LBB3_82
.LBB3_78:                               ;   in Loop: Header=BB3_9 Depth=1
	v_mov_b32_e32 v0, v3
	s_and_not1_b32 vcc_lo, exec_lo, s37
	s_cbranch_vccnz .LBB3_81
.LBB3_79:                               ;   in Loop: Header=BB3_9 Depth=1
	s_lshl_b32 s25, s24, 2
	s_mul_i32 s26, s24, 12
	s_add_u32 s24, s0, s25
	s_addc_u32 s25, s1, 0
	s_add_u32 s26, s18, s26
	s_addc_u32 s27, s19, 0
	s_mov_b32 s39, s33
	.p2align	6
.LBB3_80:                               ;   Parent Loop BB3_9 Depth=1
                                        ; =>  This Inner Loop Header: Depth=2
	s_clause 0x1
	s_load_b64 s[40:41], s[26:27], 0x4
	s_load_b32 s42, s[26:27], 0xc
	s_add_u32 s26, s26, 12
	s_addc_u32 s27, s27, 0
	s_waitcnt lgkmcnt(0)
	v_mul_hi_u32 v4, s41, v0
	s_load_b32 s41, s[24:25], 0x0
	s_add_u32 s24, s24, 4
	s_addc_u32 s25, s25, 0
	s_add_i32 s39, s39, -1
	s_delay_alu instid0(SALU_CYCLE_1) | instskip(NEXT) | instid1(VALU_DEP_1)
	s_cmp_lg_u32 s39, 0
	v_add_nc_u32_e32 v4, v0, v4
	s_delay_alu instid0(VALU_DEP_1) | instskip(NEXT) | instid1(VALU_DEP_1)
	v_lshrrev_b32_e32 v4, s42, v4
	v_mul_lo_u32 v9, v4, s40
	s_delay_alu instid0(VALU_DEP_1) | instskip(SKIP_1) | instid1(VALU_DEP_1)
	v_sub_nc_u32_e32 v0, v0, v9
	s_waitcnt lgkmcnt(0)
	v_mad_u64_u32 v[9:10], null, v0, s41, v[2:3]
	v_mov_b32_e32 v0, v4
	s_delay_alu instid0(VALU_DEP_2)
	v_mov_b32_e32 v2, v9
	s_cbranch_scc1 .LBB3_80
.LBB3_81:                               ;   in Loop: Header=BB3_9 Depth=1
	s_cbranch_execnz .LBB3_84
.LBB3_82:                               ;   in Loop: Header=BB3_9 Depth=1
	v_mul_hi_u32 v0, v3, s6
	s_and_not1_b32 vcc_lo, exec_lo, s4
	s_delay_alu instid0(VALU_DEP_1) | instskip(NEXT) | instid1(VALU_DEP_1)
	v_add_nc_u32_e32 v0, v0, v3
	v_lshrrev_b32_e32 v0, s7, v0
	s_delay_alu instid0(VALU_DEP_1) | instskip(NEXT) | instid1(VALU_DEP_1)
	v_mul_lo_u32 v2, v0, s5
	v_sub_nc_u32_e32 v2, v3, v2
	s_delay_alu instid0(VALU_DEP_1)
	v_mul_lo_u32 v2, v2, s22
	s_cbranch_vccnz .LBB3_84
; %bb.83:                               ;   in Loop: Header=BB3_9 Depth=1
	v_mul_hi_u32 v3, s9, v0
	s_delay_alu instid0(VALU_DEP_1) | instskip(NEXT) | instid1(VALU_DEP_1)
	v_add_nc_u32_e32 v3, v0, v3
	v_lshrrev_b32_e32 v3, s10, v3
	s_delay_alu instid0(VALU_DEP_1) | instskip(NEXT) | instid1(VALU_DEP_1)
	v_mul_lo_u32 v3, v3, s8
	v_sub_nc_u32_e32 v0, v0, v3
	s_delay_alu instid0(VALU_DEP_1) | instskip(NEXT) | instid1(VALU_DEP_1)
	v_mad_u64_u32 v[3:4], null, v0, s23, v[2:3]
	v_mov_b32_e32 v2, v3
.LBB3_84:                               ;   in Loop: Header=BB3_9 Depth=1
	v_mov_b32_e32 v0, v5
	s_mov_b32 s24, exec_lo
	s_delay_alu instid0(VALU_DEP_1)
	v_cmpx_le_u64_e64 s[14:15], v[0:1]
	s_cbranch_execz .LBB3_7
; %bb.85:                               ;   in Loop: Header=BB3_9 Depth=1
	v_cvt_f32_u32_e32 v3, s14
	s_sub_i32 s25, 0, s14
	s_delay_alu instid0(VALU_DEP_1) | instskip(SKIP_2) | instid1(VALU_DEP_1)
	v_rcp_iflag_f32_e32 v3, v3
	s_waitcnt_depctr 0xfff
	v_mul_f32_e32 v3, 0x4f7ffffe, v3
	v_cvt_u32_f32_e32 v3, v3
	s_delay_alu instid0(VALU_DEP_1) | instskip(NEXT) | instid1(VALU_DEP_1)
	v_mul_lo_u32 v4, s25, v3
	v_mul_hi_u32 v4, v3, v4
	s_delay_alu instid0(VALU_DEP_1) | instskip(NEXT) | instid1(VALU_DEP_1)
	v_add_nc_u32_e32 v3, v3, v4
	v_mul_hi_u32 v3, v0, v3
	s_delay_alu instid0(VALU_DEP_1) | instskip(NEXT) | instid1(VALU_DEP_1)
	v_mul_lo_u32 v3, v3, s14
	v_sub_nc_u32_e32 v0, v0, v3
	s_delay_alu instid0(VALU_DEP_1) | instskip(SKIP_1) | instid1(VALU_DEP_2)
	v_subrev_nc_u32_e32 v3, s14, v0
	v_cmp_le_u32_e32 vcc_lo, s14, v0
	v_cndmask_b32_e32 v0, v0, v3, vcc_lo
	s_delay_alu instid0(VALU_DEP_1) | instskip(SKIP_1) | instid1(VALU_DEP_2)
	v_subrev_nc_u32_e32 v3, s14, v0
	v_cmp_le_u32_e32 vcc_lo, s14, v0
	v_cndmask_b32_e32 v0, v0, v3, vcc_lo
	s_branch .LBB3_7
.LBB3_86:
	s_endpgm
.LBB3_87:
                                        ; implicit-def: $sgpr2_sgpr3
	s_branch .LBB3_4
	.section	.rodata,"a",@progbits
	.p2align	6, 0x0
	.amdhsa_kernel _ZN2at6native12_GLOBAL__N_143distribution_elementwise_grid_stride_kernelIjLi4EZZZNS0_9templates4cuda21random_from_to_kernelIPNS_17CUDAGeneratorImplEEEvRNS_18TensorIteratorBaseEmlT_ENKUlvE_clEvENKUlvE_clEvEUlP25hiprandStatePhilox4_32_10E0_ZNS1_27distribution_nullary_kernelIhj15HIP_vector_typeIjLj4EES7_SF_ZZZNS5_IS7_EEvS9_mlSA_ENKSB_clEvENKSC_clEvEUljE_EEvS9_T2_RKT3_T4_EUlijE0_EEvlNS_15PhiloxCudaStateET1_SK_
		.amdhsa_group_segment_fixed_size 0
		.amdhsa_private_segment_fixed_size 0
		.amdhsa_kernarg_size 592
		.amdhsa_user_sgpr_count 15
		.amdhsa_user_sgpr_dispatch_ptr 0
		.amdhsa_user_sgpr_queue_ptr 0
		.amdhsa_user_sgpr_kernarg_segment_ptr 1
		.amdhsa_user_sgpr_dispatch_id 0
		.amdhsa_user_sgpr_private_segment_size 0
		.amdhsa_wavefront_size32 1
		.amdhsa_uses_dynamic_stack 0
		.amdhsa_enable_private_segment 0
		.amdhsa_system_sgpr_workgroup_id_x 1
		.amdhsa_system_sgpr_workgroup_id_y 0
		.amdhsa_system_sgpr_workgroup_id_z 0
		.amdhsa_system_sgpr_workgroup_info 0
		.amdhsa_system_vgpr_workitem_id 0
		.amdhsa_next_free_vgpr 45
		.amdhsa_next_free_sgpr 56
		.amdhsa_reserve_vcc 1
		.amdhsa_float_round_mode_32 0
		.amdhsa_float_round_mode_16_64 0
		.amdhsa_float_denorm_mode_32 3
		.amdhsa_float_denorm_mode_16_64 3
		.amdhsa_dx10_clamp 1
		.amdhsa_ieee_mode 1
		.amdhsa_fp16_overflow 0
		.amdhsa_workgroup_processor_mode 1
		.amdhsa_memory_ordered 1
		.amdhsa_forward_progress 0
		.amdhsa_shared_vgpr_count 0
		.amdhsa_exception_fp_ieee_invalid_op 0
		.amdhsa_exception_fp_denorm_src 0
		.amdhsa_exception_fp_ieee_div_zero 0
		.amdhsa_exception_fp_ieee_overflow 0
		.amdhsa_exception_fp_ieee_underflow 0
		.amdhsa_exception_fp_ieee_inexact 0
		.amdhsa_exception_int_div_zero 0
	.end_amdhsa_kernel
	.section	.text._ZN2at6native12_GLOBAL__N_143distribution_elementwise_grid_stride_kernelIjLi4EZZZNS0_9templates4cuda21random_from_to_kernelIPNS_17CUDAGeneratorImplEEEvRNS_18TensorIteratorBaseEmlT_ENKUlvE_clEvENKUlvE_clEvEUlP25hiprandStatePhilox4_32_10E0_ZNS1_27distribution_nullary_kernelIhj15HIP_vector_typeIjLj4EES7_SF_ZZZNS5_IS7_EEvS9_mlSA_ENKSB_clEvENKSC_clEvEUljE_EEvS9_T2_RKT3_T4_EUlijE0_EEvlNS_15PhiloxCudaStateET1_SK_,"axG",@progbits,_ZN2at6native12_GLOBAL__N_143distribution_elementwise_grid_stride_kernelIjLi4EZZZNS0_9templates4cuda21random_from_to_kernelIPNS_17CUDAGeneratorImplEEEvRNS_18TensorIteratorBaseEmlT_ENKUlvE_clEvENKUlvE_clEvEUlP25hiprandStatePhilox4_32_10E0_ZNS1_27distribution_nullary_kernelIhj15HIP_vector_typeIjLj4EES7_SF_ZZZNS5_IS7_EEvS9_mlSA_ENKSB_clEvENKSC_clEvEUljE_EEvS9_T2_RKT3_T4_EUlijE0_EEvlNS_15PhiloxCudaStateET1_SK_,comdat
.Lfunc_end3:
	.size	_ZN2at6native12_GLOBAL__N_143distribution_elementwise_grid_stride_kernelIjLi4EZZZNS0_9templates4cuda21random_from_to_kernelIPNS_17CUDAGeneratorImplEEEvRNS_18TensorIteratorBaseEmlT_ENKUlvE_clEvENKUlvE_clEvEUlP25hiprandStatePhilox4_32_10E0_ZNS1_27distribution_nullary_kernelIhj15HIP_vector_typeIjLj4EES7_SF_ZZZNS5_IS7_EEvS9_mlSA_ENKSB_clEvENKSC_clEvEUljE_EEvS9_T2_RKT3_T4_EUlijE0_EEvlNS_15PhiloxCudaStateET1_SK_, .Lfunc_end3-_ZN2at6native12_GLOBAL__N_143distribution_elementwise_grid_stride_kernelIjLi4EZZZNS0_9templates4cuda21random_from_to_kernelIPNS_17CUDAGeneratorImplEEEvRNS_18TensorIteratorBaseEmlT_ENKUlvE_clEvENKUlvE_clEvEUlP25hiprandStatePhilox4_32_10E0_ZNS1_27distribution_nullary_kernelIhj15HIP_vector_typeIjLj4EES7_SF_ZZZNS5_IS7_EEvS9_mlSA_ENKSB_clEvENKSC_clEvEUljE_EEvS9_T2_RKT3_T4_EUlijE0_EEvlNS_15PhiloxCudaStateET1_SK_
                                        ; -- End function
	.section	.AMDGPU.csdata,"",@progbits
; Kernel info:
; codeLenInByte = 5748
; NumSgprs: 58
; NumVgprs: 45
; ScratchSize: 0
; MemoryBound: 0
; FloatMode: 240
; IeeeMode: 1
; LDSByteSize: 0 bytes/workgroup (compile time only)
; SGPRBlocks: 7
; VGPRBlocks: 5
; NumSGPRsForWavesPerEU: 58
; NumVGPRsForWavesPerEU: 45
; Occupancy: 16
; WaveLimiterHint : 1
; COMPUTE_PGM_RSRC2:SCRATCH_EN: 0
; COMPUTE_PGM_RSRC2:USER_SGPR: 15
; COMPUTE_PGM_RSRC2:TRAP_HANDLER: 0
; COMPUTE_PGM_RSRC2:TGID_X_EN: 1
; COMPUTE_PGM_RSRC2:TGID_Y_EN: 0
; COMPUTE_PGM_RSRC2:TGID_Z_EN: 0
; COMPUTE_PGM_RSRC2:TIDIG_COMP_CNT: 0
	.section	.text._ZN2at6native12_GLOBAL__N_143distribution_elementwise_grid_stride_kernelImLi2EZZZNS0_9templates4cuda21random_from_to_kernelIPNS_17CUDAGeneratorImplEEEvRNS_18TensorIteratorBaseEmlT_ENKUlvE_clEvENKUlvE0_clEvEUlP25hiprandStatePhilox4_32_10E_ZNS1_27distribution_nullary_kernelIam15HIP_vector_typeIyLj2EES7_SF_ZZZNS5_IS7_EEvS9_mlSA_ENKSB_clEvENKSC_clEvEUlmE_EEvS9_T2_RKT3_T4_EUlimE_EEvlNS_15PhiloxCudaStateET1_SK_,"axG",@progbits,_ZN2at6native12_GLOBAL__N_143distribution_elementwise_grid_stride_kernelImLi2EZZZNS0_9templates4cuda21random_from_to_kernelIPNS_17CUDAGeneratorImplEEEvRNS_18TensorIteratorBaseEmlT_ENKUlvE_clEvENKUlvE0_clEvEUlP25hiprandStatePhilox4_32_10E_ZNS1_27distribution_nullary_kernelIam15HIP_vector_typeIyLj2EES7_SF_ZZZNS5_IS7_EEvS9_mlSA_ENKSB_clEvENKSC_clEvEUlmE_EEvS9_T2_RKT3_T4_EUlimE_EEvlNS_15PhiloxCudaStateET1_SK_,comdat
	.globl	_ZN2at6native12_GLOBAL__N_143distribution_elementwise_grid_stride_kernelImLi2EZZZNS0_9templates4cuda21random_from_to_kernelIPNS_17CUDAGeneratorImplEEEvRNS_18TensorIteratorBaseEmlT_ENKUlvE_clEvENKUlvE0_clEvEUlP25hiprandStatePhilox4_32_10E_ZNS1_27distribution_nullary_kernelIam15HIP_vector_typeIyLj2EES7_SF_ZZZNS5_IS7_EEvS9_mlSA_ENKSB_clEvENKSC_clEvEUlmE_EEvS9_T2_RKT3_T4_EUlimE_EEvlNS_15PhiloxCudaStateET1_SK_ ; -- Begin function _ZN2at6native12_GLOBAL__N_143distribution_elementwise_grid_stride_kernelImLi2EZZZNS0_9templates4cuda21random_from_to_kernelIPNS_17CUDAGeneratorImplEEEvRNS_18TensorIteratorBaseEmlT_ENKUlvE_clEvENKUlvE0_clEvEUlP25hiprandStatePhilox4_32_10E_ZNS1_27distribution_nullary_kernelIam15HIP_vector_typeIyLj2EES7_SF_ZZZNS5_IS7_EEvS9_mlSA_ENKSB_clEvENKSC_clEvEUlmE_EEvS9_T2_RKT3_T4_EUlimE_EEvlNS_15PhiloxCudaStateET1_SK_
	.p2align	8
	.type	_ZN2at6native12_GLOBAL__N_143distribution_elementwise_grid_stride_kernelImLi2EZZZNS0_9templates4cuda21random_from_to_kernelIPNS_17CUDAGeneratorImplEEEvRNS_18TensorIteratorBaseEmlT_ENKUlvE_clEvENKUlvE0_clEvEUlP25hiprandStatePhilox4_32_10E_ZNS1_27distribution_nullary_kernelIam15HIP_vector_typeIyLj2EES7_SF_ZZZNS5_IS7_EEvS9_mlSA_ENKSB_clEvENKSC_clEvEUlmE_EEvS9_T2_RKT3_T4_EUlimE_EEvlNS_15PhiloxCudaStateET1_SK_,@function
_ZN2at6native12_GLOBAL__N_143distribution_elementwise_grid_stride_kernelImLi2EZZZNS0_9templates4cuda21random_from_to_kernelIPNS_17CUDAGeneratorImplEEEvRNS_18TensorIteratorBaseEmlT_ENKUlvE_clEvENKUlvE0_clEvEUlP25hiprandStatePhilox4_32_10E_ZNS1_27distribution_nullary_kernelIam15HIP_vector_typeIyLj2EES7_SF_ZZZNS5_IS7_EEvS9_mlSA_ENKSB_clEvENKSC_clEvEUlmE_EEvS9_T2_RKT3_T4_EUlimE_EEvlNS_15PhiloxCudaStateET1_SK_: ; @_ZN2at6native12_GLOBAL__N_143distribution_elementwise_grid_stride_kernelImLi2EZZZNS0_9templates4cuda21random_from_to_kernelIPNS_17CUDAGeneratorImplEEEvRNS_18TensorIteratorBaseEmlT_ENKUlvE_clEvENKUlvE0_clEvEUlP25hiprandStatePhilox4_32_10E_ZNS1_27distribution_nullary_kernelIam15HIP_vector_typeIyLj2EES7_SF_ZZZNS5_IS7_EEvS9_mlSA_ENKSB_clEvENKSC_clEvEUlmE_EEvS9_T2_RKT3_T4_EUlimE_EEvlNS_15PhiloxCudaStateET1_SK_
; %bb.0:
	s_clause 0x2
	s_load_b64 s[8:9], s[0:1], 0x10
	s_load_b128 s[4:7], s[0:1], 0x0
	s_load_b32 s2, s[0:1], 0x20
	s_waitcnt lgkmcnt(0)
	v_dual_mov_b32 v2, s8 :: v_dual_mov_b32 v3, s9
	v_dual_mov_b32 v12, s7 :: v_dual_mov_b32 v11, s6
	s_bitcmp0_b32 s2, 0
	s_mov_b32 s2, 0
	s_cbranch_scc1 .LBB4_2
; %bb.1:
	v_dual_mov_b32 v1, s8 :: v_dual_mov_b32 v2, s9
	v_dual_mov_b32 v4, s6 :: v_dual_mov_b32 v5, s7
	s_load_b64 s[6:7], s[0:1], 0x18
	flat_load_b64 v[2:3], v[1:2]
	flat_load_b64 v[11:12], v[4:5]
	s_waitcnt vmcnt(1) lgkmcnt(0)
	v_add_co_u32 v2, vcc_lo, v2, s6
	v_add_co_ci_u32_e32 v3, vcc_lo, s7, v3, vcc_lo
.LBB4_2:
	s_clause 0x1
	s_load_b32 s3, s[0:1], 0x5c
	s_load_b32 s16, s[0:1], 0x50
	s_waitcnt lgkmcnt(0)
	s_and_b32 s14, s3, 0xffff
	s_add_u32 s6, s4, -1
	s_mul_i32 s12, s16, s14
	s_addc_u32 s3, s5, -1
	s_lshl_b32 s13, s12, 1
	s_cmp_lg_u64 s[2:3], 0
	s_cbranch_scc0 .LBB4_31
; %bb.3:
	v_cvt_f32_ubyte0_e32 v1, 0
	v_cvt_f32_u32_e32 v4, s13
	s_sub_u32 s8, 0, s13
	s_subb_u32 s9, 0, 0
	s_delay_alu instid0(VALU_DEP_1) | instskip(NEXT) | instid1(VALU_DEP_1)
	v_fmamk_f32 v1, v1, 0x4f800000, v4
	v_rcp_f32_e32 v1, v1
	s_waitcnt_depctr 0xfff
	v_mul_f32_e32 v1, 0x5f7ffffc, v1
	s_delay_alu instid0(VALU_DEP_1) | instskip(NEXT) | instid1(VALU_DEP_1)
	v_mul_f32_e32 v4, 0x2f800000, v1
	v_trunc_f32_e32 v4, v4
	s_delay_alu instid0(VALU_DEP_1) | instskip(SKIP_1) | instid1(VALU_DEP_2)
	v_fmamk_f32 v1, v4, 0xcf800000, v1
	v_cvt_u32_f32_e32 v4, v4
	v_cvt_u32_f32_e32 v1, v1
	s_delay_alu instid0(VALU_DEP_2) | instskip(NEXT) | instid1(VALU_DEP_2)
	v_readfirstlane_b32 s2, v4
	v_readfirstlane_b32 s7, v1
	s_delay_alu instid0(VALU_DEP_2) | instskip(NEXT) | instid1(VALU_DEP_1)
	s_mul_i32 s10, s8, s2
	s_mul_hi_u32 s17, s8, s7
	s_mul_i32 s11, s9, s7
	s_add_i32 s10, s17, s10
	s_mul_i32 s18, s8, s7
	s_add_i32 s10, s10, s11
	s_mul_hi_u32 s17, s7, s18
	s_mul_hi_u32 s19, s2, s18
	s_mul_i32 s11, s2, s18
	s_mul_hi_u32 s18, s7, s10
	s_mul_i32 s7, s7, s10
	s_mul_hi_u32 s20, s2, s10
	s_add_u32 s7, s17, s7
	s_addc_u32 s17, 0, s18
	s_add_u32 s7, s7, s11
	s_mul_i32 s10, s2, s10
	s_addc_u32 s7, s17, s19
	s_addc_u32 s11, s20, 0
	s_add_u32 s7, s7, s10
	s_addc_u32 s10, 0, s11
	v_add_co_u32 v1, s7, v1, s7
	s_delay_alu instid0(VALU_DEP_1) | instskip(SKIP_1) | instid1(VALU_DEP_1)
	s_cmp_lg_u32 s7, 0
	s_addc_u32 s2, s2, s10
	v_readfirstlane_b32 s7, v1
	s_mul_i32 s10, s8, s2
	s_delay_alu instid0(VALU_DEP_1)
	s_mul_hi_u32 s11, s8, s7
	s_mul_i32 s9, s9, s7
	s_add_i32 s10, s11, s10
	s_mul_i32 s8, s8, s7
	s_add_i32 s10, s10, s9
	s_mul_hi_u32 s11, s2, s8
	s_mul_i32 s17, s2, s8
	s_mul_hi_u32 s8, s7, s8
	s_mul_hi_u32 s18, s7, s10
	s_mul_i32 s7, s7, s10
	s_mul_hi_u32 s9, s2, s10
	s_add_u32 s7, s8, s7
	s_addc_u32 s8, 0, s18
	s_add_u32 s7, s7, s17
	s_mul_i32 s10, s2, s10
	s_addc_u32 s7, s8, s11
	s_addc_u32 s8, s9, 0
	s_add_u32 s7, s7, s10
	s_addc_u32 s8, 0, s8
	v_add_co_u32 v1, s7, v1, s7
	s_delay_alu instid0(VALU_DEP_1) | instskip(SKIP_2) | instid1(VALU_DEP_1)
	s_cmp_lg_u32 s7, 0
	s_addc_u32 s7, s2, s8
	s_ashr_i32 s8, s3, 31
	v_readfirstlane_b32 s10, v1
	s_add_u32 s2, s6, s8
	s_mov_b32 s9, s8
	s_addc_u32 s3, s3, s8
	s_delay_alu instid0(SALU_CYCLE_1) | instskip(NEXT) | instid1(SALU_CYCLE_1)
	s_xor_b64 s[2:3], s[2:3], s[8:9]
	s_mul_i32 s17, s2, s7
	s_mul_hi_u32 s18, s2, s10
	s_mul_hi_u32 s11, s2, s7
	s_mul_hi_u32 s20, s3, s10
	s_mul_i32 s10, s3, s10
	s_add_u32 s17, s18, s17
	s_addc_u32 s11, 0, s11
	s_mul_hi_u32 s19, s3, s7
	s_add_u32 s10, s17, s10
	s_mul_i32 s7, s3, s7
	s_addc_u32 s10, s11, s20
	s_addc_u32 s11, s19, 0
	s_add_u32 s7, s10, s7
	s_addc_u32 s10, 0, s11
	s_mul_i32 s17, s13, s7
	s_add_u32 s11, s7, 1
	v_sub_co_u32 v1, s2, s2, s17
	s_mul_hi_u32 s17, s13, s7
	s_addc_u32 s18, s10, 0
	s_mul_i32 s19, s13, s10
	s_delay_alu instid0(VALU_DEP_1)
	v_sub_co_u32 v4, s20, v1, s13
	s_add_u32 s21, s7, 2
	s_addc_u32 s22, s10, 0
	s_add_i32 s17, s17, s19
	s_cmp_lg_u32 s2, 0
	v_readfirstlane_b32 s2, v4
	s_subb_u32 s3, s3, s17
	s_cmp_lg_u32 s20, 0
	s_subb_u32 s17, s3, 0
	s_delay_alu instid0(VALU_DEP_1) | instskip(SKIP_4) | instid1(SALU_CYCLE_1)
	s_cmp_ge_u32 s2, s13
	s_cselect_b32 s2, -1, 0
	s_cmp_eq_u32 s17, 0
	v_readfirstlane_b32 s17, v1
	s_cselect_b32 s2, s2, -1
	s_cmp_lg_u32 s2, 0
	s_cselect_b32 s2, s21, s11
	s_cselect_b32 s11, s22, s18
	s_cmp_ge_u32 s17, s13
	s_cselect_b32 s17, -1, 0
	s_cmp_eq_u32 s3, 0
	s_cselect_b32 s3, s17, -1
	s_delay_alu instid0(SALU_CYCLE_1) | instskip(SKIP_2) | instid1(SALU_CYCLE_1)
	s_cmp_lg_u32 s3, 0
	s_cselect_b32 s3, s11, s10
	s_cselect_b32 s2, s2, s7
	s_xor_b64 s[2:3], s[2:3], s[8:9]
	s_delay_alu instid0(SALU_CYCLE_1)
	s_sub_u32 s2, s2, s8
	s_subb_u32 s3, s3, s8
	s_cbranch_execnz .LBB4_5
.LBB4_4:
	v_cvt_f32_u32_e32 v1, s13
	s_sub_i32 s3, 0, s13
	s_delay_alu instid0(VALU_DEP_1) | instskip(SKIP_2) | instid1(VALU_DEP_1)
	v_rcp_iflag_f32_e32 v1, v1
	s_waitcnt_depctr 0xfff
	v_mul_f32_e32 v1, 0x4f7ffffe, v1
	v_cvt_u32_f32_e32 v1, v1
	s_delay_alu instid0(VALU_DEP_1) | instskip(NEXT) | instid1(VALU_DEP_1)
	v_readfirstlane_b32 s2, v1
	s_mul_i32 s3, s3, s2
	s_delay_alu instid0(SALU_CYCLE_1) | instskip(NEXT) | instid1(SALU_CYCLE_1)
	s_mul_hi_u32 s3, s2, s3
	s_add_i32 s2, s2, s3
	s_delay_alu instid0(SALU_CYCLE_1) | instskip(NEXT) | instid1(SALU_CYCLE_1)
	s_mul_hi_u32 s2, s6, s2
	s_mul_i32 s3, s2, s13
	s_delay_alu instid0(SALU_CYCLE_1)
	s_sub_i32 s3, s6, s3
	s_add_i32 s6, s2, 1
	s_sub_i32 s7, s3, s13
	s_cmp_ge_u32 s3, s13
	s_cselect_b32 s2, s6, s2
	s_cselect_b32 s3, s7, s3
	s_add_i32 s6, s2, 1
	s_cmp_ge_u32 s3, s13
	s_mov_b32 s3, 0
	s_cselect_b32 s2, s6, s2
.LBB4_5:
	v_mov_b32_e32 v13, 0
	s_add_u32 s2, s2, 1
	s_addc_u32 s3, s3, 0
	s_mul_hi_u32 s6, s16, s14
	s_mul_hi_u32 s7, s12, s2
	v_mov_b32_e32 v1, v13
	s_mul_i32 s3, s12, s3
	s_mul_i32 s6, s6, s2
	s_add_i32 s3, s7, s3
	s_mul_i32 s2, s12, s2
	v_mad_u64_u32 v[15:16], null, s14, s15, v[0:1]
	s_add_i32 s3, s3, s6
	s_mov_b32 s6, exec_lo
	s_lshl_b64 s[2:3], s[2:3], 1
	s_delay_alu instid0(VALU_DEP_1) | instid1(SALU_CYCLE_1)
	v_cmpx_gt_i64_e64 s[2:3], v[15:16]
	s_cbranch_execz .LBB4_30
; %bb.6:
	v_alignbit_b32 v19, v3, v2, 2
	v_mad_u64_u32 v[6:7], null, 0xcd9e8d57, v15, 0
	v_lshrrev_b32_e32 v20, 2, v3
	s_waitcnt vmcnt(0)
	v_dual_mov_b32 v14, v12 :: v_dual_and_b32 v35, 3, v2
	v_mad_u64_u32 v[4:5], null, 0xd2511f53, v19, 0
	v_add_co_u32 v22, null, 0x9e3779b9, v11
	v_xor3_b32 v3, v11, v7, v20
	s_delay_alu instid0(VALU_DEP_4) | instskip(SKIP_2) | instid1(VALU_DEP_4)
	v_add_co_u32 v21, null, 0xbb67ae85, v14
	v_add_co_u32 v23, null, 0x3c6ef372, v11
	v_xor_b32_e32 v1, v5, v12
	v_mad_u64_u32 v[7:8], null, 0xd2511f53, v3, 0
	v_add_co_u32 v24, null, 0x76cf5d0a, v14
	s_delay_alu instid0(VALU_DEP_3) | instskip(SKIP_2) | instid1(VALU_DEP_3)
	v_xor_b32_e32 v1, v1, v16
	v_add_co_u32 v25, null, 0x32370b8f, v14
	v_add_co_u32 v26, null, 0xdaa66d2b, v11
	v_mad_u64_u32 v[9:10], null, 0xcd9e8d57, v1, 0
	v_xor3_b32 v1, v21, v8, v4
	v_add_co_u32 v27, null, 0x78dde6e4, v11
	v_add_co_u32 v28, null, 0xed9eba14, v14
	s_delay_alu instid0(VALU_DEP_3) | instskip(SKIP_3) | instid1(VALU_DEP_3)
	v_mad_u64_u32 v[3:4], null, 0xcd9e8d57, v1, 0
	v_xor3_b32 v8, v22, v10, v6
	v_add_co_u32 v29, null, 0xa9066899, v14
	v_add_co_u32 v30, null, 0x1715609d, v11
	v_mad_u64_u32 v[5:6], null, 0xd2511f53, v8, 0
	v_xor3_b32 v1, v23, v4, v9
	v_add_co_u32 v31, null, 0xb54cda56, v11
	v_add_co_u32 v32, null, 0x646e171e, v14
	;; [unrolled: 1-line block ×3, first 2 shown]
	v_xor3_b32 v4, v24, v6, v7
	v_mad_u64_u32 v[6:7], null, 0xd2511f53, v1, 0
	v_add_co_u32 v34, null, 0x5384540f, v11
	s_delay_alu instid0(VALU_DEP_3)
	v_mad_u64_u32 v[8:9], null, 0xcd9e8d57, v4, 0
	s_clause 0x2
	s_load_b64 s[6:7], s[0:1], 0x30
	s_load_b32 s17, s[0:1], 0x38
	s_load_b128 s[8:11], s[0:1], 0x40
	v_add_co_u32 v37, null, 0xf1bbcdc8, v11
	v_xor3_b32 v1, v25, v7, v5
	v_add_co_u32 v38, null, 0xdb3d7428, v14
	v_xor3_b32 v5, v26, v9, v3
	v_dual_mov_b32 v40, v15 :: v_dual_add_nc_u32 v39, 0x96a522ad, v12
	s_delay_alu instid0(VALU_DEP_4) | instskip(NEXT) | instid1(VALU_DEP_3)
	v_mad_u64_u32 v[3:4], null, 0xcd9e8d57, v1, 0
	v_mad_u64_u32 v[9:10], null, 0xd2511f53, v5, 0
	v_mov_b32_e32 v43, v16
	s_mov_b32 s1, 0
	s_delay_alu instid0(VALU_DEP_3) | instskip(NEXT) | instid1(VALU_DEP_3)
	v_xor3_b32 v1, v27, v4, v8
	v_xor3_b32 v8, v28, v10, v6
	s_waitcnt lgkmcnt(0)
	s_mul_i32 s0, s16, s17
	s_delay_alu instid0(VALU_DEP_2) | instskip(NEXT) | instid1(VALU_DEP_2)
	v_mad_u64_u32 v[4:5], null, 0xd2511f53, v1, 0
	v_mad_u64_u32 v[6:7], null, 0xcd9e8d57, v8, 0
	s_mul_i32 s0, s0, s14
	s_delay_alu instid0(SALU_CYCLE_1) | instskip(NEXT) | instid1(VALU_DEP_2)
	s_lshl_b32 s11, s0, 1
	v_xor3_b32 v1, v29, v5, v9
	s_delay_alu instid0(VALU_DEP_2) | instskip(NEXT) | instid1(VALU_DEP_2)
	v_xor3_b32 v3, v30, v7, v3
	v_mad_u64_u32 v[7:8], null, 0xcd9e8d57, v1, 0
	s_delay_alu instid0(VALU_DEP_2) | instskip(NEXT) | instid1(VALU_DEP_2)
	v_mad_u64_u32 v[9:10], null, 0xd2511f53, v3, 0
	v_xor3_b32 v1, v31, v8, v6
	s_delay_alu instid0(VALU_DEP_2) | instskip(NEXT) | instid1(VALU_DEP_2)
	v_xor3_b32 v8, v32, v10, v4
	v_mad_u64_u32 v[3:4], null, 0xd2511f53, v1, 0
	s_delay_alu instid0(VALU_DEP_2) | instskip(NEXT) | instid1(VALU_DEP_2)
	v_mad_u64_u32 v[5:6], null, 0xcd9e8d57, v8, 0
	v_xor3_b32 v1, v33, v4, v9
	s_delay_alu instid0(VALU_DEP_2) | instskip(NEXT) | instid1(VALU_DEP_2)
	v_xor3_b32 v2, v34, v6, v7
	v_mad_u64_u32 v[6:7], null, 0xcd9e8d57, v1, 0
	s_delay_alu instid0(VALU_DEP_2) | instskip(SKIP_2) | instid1(VALU_DEP_3)
	v_mad_u64_u32 v[8:9], null, 0xd2511f53, v2, 0
	v_mad_u64_u32 v[17:18], null, s15, s14, v[0:1]
	s_add_i32 s15, s15, s16
	v_xor3_b32 v1, v37, v7, v5
	s_delay_alu instid0(VALU_DEP_3) | instskip(NEXT) | instid1(VALU_DEP_3)
	v_xor3_b32 v7, v38, v9, v3
	v_mul_lo_u32 v41, s17, v17
	s_delay_alu instid0(VALU_DEP_3) | instskip(SKIP_1) | instid1(VALU_DEP_4)
	v_mad_u64_u32 v[3:4], null, s15, s14, v[0:1]
	v_mad_u64_u32 v[4:5], null, 0xd2511f53, v1, 0
	;; [unrolled: 1-line block ×3, first 2 shown]
	v_add_nc_u32_e32 v36, 0x8ff34781, v11
	s_mov_b32 s14, 0
	s_delay_alu instid0(VALU_DEP_4) | instskip(NEXT) | instid1(VALU_DEP_4)
	v_mul_lo_u32 v42, s17, v3
	v_mov_b32_e32 v3, v4
	s_delay_alu instid0(VALU_DEP_3)
	v_xor3_b32 v0, v2, v6, v36
	v_xor3_b32 v2, v5, v8, v39
	s_branch .LBB4_9
.LBB4_7:                                ;   in Loop: Header=BB4_9 Depth=1
	s_or_b32 exec_lo, exec_lo, s0
	v_add_nc_u32_e32 v0, s14, v42
	s_delay_alu instid0(VALU_DEP_2) | instskip(NEXT) | instid1(VALU_DEP_2)
	v_add_nc_u32_e32 v2, s10, v7
	v_ashrrev_i32_e32 v1, 31, v0
	v_add_co_u32 v0, vcc_lo, s6, v0
	s_delay_alu instid0(VALU_DEP_2)
	v_add_co_ci_u32_e32 v1, vcc_lo, s7, v1, vcc_lo
	global_store_b8 v[0:1], v2, off
.LBB4_8:                                ;   in Loop: Header=BB4_9 Depth=1
	s_or_b32 exec_lo, exec_lo, s15
	v_add_co_u32 v15, vcc_lo, v15, s13
	v_add_co_ci_u32_e32 v16, vcc_lo, 0, v16, vcc_lo
	v_mov_b32_e32 v7, v17
	v_dual_mov_b32 v0, v4 :: v_dual_mov_b32 v1, v5
	s_delay_alu instid0(VALU_DEP_3) | instskip(NEXT) | instid1(VALU_DEP_3)
	v_cmp_le_i64_e32 vcc_lo, s[2:3], v[15:16]
	v_dual_mov_b32 v2, v6 :: v_dual_mov_b32 v3, v7
	s_add_i32 s14, s14, s11
	s_waitcnt_vscnt null, 0x0
	s_barrier
	s_or_b32 s1, vcc_lo, s1
	buffer_gl0_inv
	s_and_not1_b32 exec_lo, exec_lo, s1
	s_cbranch_execz .LBB4_30
.LBB4_9:                                ; =>This Inner Loop Header: Depth=1
	v_add_co_u32 v19, vcc_lo, v19, 1
	s_delay_alu instid0(VALU_DEP_1) | instskip(SKIP_2) | instid1(VALU_DEP_1)
	v_cndmask_b32_e64 v4, 0, 1, vcc_lo
	v_add_co_ci_u32_e32 v20, vcc_lo, 0, v20, vcc_lo
	s_mov_b32 s0, exec_lo
	v_cmp_eq_u32_e32 vcc_lo, 0, v20
	s_delay_alu instid0(VALU_DEP_3) | instskip(NEXT) | instid1(VALU_DEP_1)
	v_cndmask_b32_e32 v4, 0, v4, vcc_lo
	v_add_nc_u32_e32 v40, v4, v40
	s_delay_alu instid0(VALU_DEP_1) | instskip(SKIP_2) | instid1(VALU_DEP_2)
	v_cmp_eq_u32_e32 vcc_lo, 0, v40
	v_mad_u64_u32 v[6:7], null, 0xcd9e8d57, v40, 0
	v_cndmask_b32_e32 v4, 0, v4, vcc_lo
	v_xor3_b32 v9, v7, v11, v20
	s_delay_alu instid0(VALU_DEP_2) | instskip(SKIP_1) | instid1(VALU_DEP_3)
	v_add_nc_u32_e32 v43, v4, v43
	v_mad_u64_u32 v[4:5], null, 0xd2511f53, v19, 0
	v_mad_u64_u32 v[7:8], null, 0xd2511f53, v9, 0
	s_delay_alu instid0(VALU_DEP_2) | instskip(NEXT) | instid1(VALU_DEP_2)
	v_xor_b32_e32 v5, v5, v12
	v_xor3_b32 v8, v21, v8, v4
	s_delay_alu instid0(VALU_DEP_2) | instskip(NEXT) | instid1(VALU_DEP_1)
	v_xor_b32_e32 v5, v43, v5
	v_mad_u64_u32 v[9:10], null, 0xcd9e8d57, v5, 0
	s_delay_alu instid0(VALU_DEP_3) | instskip(NEXT) | instid1(VALU_DEP_2)
	v_mad_u64_u32 v[4:5], null, 0xcd9e8d57, v8, 0
	v_xor3_b32 v6, v22, v10, v6
	s_delay_alu instid0(VALU_DEP_2) | instskip(NEXT) | instid1(VALU_DEP_2)
	v_xor3_b32 v8, v23, v5, v9
	v_mad_u64_u32 v[17:18], null, 0xd2511f53, v6, 0
	s_delay_alu instid0(VALU_DEP_2) | instskip(NEXT) | instid1(VALU_DEP_2)
	v_mad_u64_u32 v[5:6], null, 0xd2511f53, v8, 0
	v_xor3_b32 v9, v24, v18, v7
	s_delay_alu instid0(VALU_DEP_2) | instskip(NEXT) | instid1(VALU_DEP_2)
	v_xor3_b32 v6, v25, v6, v17
	v_mad_u64_u32 v[7:8], null, 0xcd9e8d57, v9, 0
	s_delay_alu instid0(VALU_DEP_1) | instskip(NEXT) | instid1(VALU_DEP_3)
	v_xor3_b32 v4, v26, v8, v4
	v_mad_u64_u32 v[8:9], null, 0xcd9e8d57, v6, 0
	s_delay_alu instid0(VALU_DEP_2) | instskip(NEXT) | instid1(VALU_DEP_2)
	v_mad_u64_u32 v[17:18], null, 0xd2511f53, v4, 0
	v_xor3_b32 v6, v27, v9, v7
	s_delay_alu instid0(VALU_DEP_2) | instskip(NEXT) | instid1(VALU_DEP_2)
	v_xor3_b32 v9, v28, v18, v5
	v_mad_u64_u32 v[4:5], null, 0xd2511f53, v6, 0
	s_delay_alu instid0(VALU_DEP_2) | instskip(NEXT) | instid1(VALU_DEP_2)
	v_mad_u64_u32 v[6:7], null, 0xcd9e8d57, v9, 0
	v_xor3_b32 v5, v29, v5, v17
	s_delay_alu instid0(VALU_DEP_2) | instskip(NEXT) | instid1(VALU_DEP_2)
	;; [unrolled: 6-line block ×6, first 2 shown]
	v_xor3_b32 v4, v6, v7, v36
	v_mov_b32_e32 v6, v10
	v_cmpx_lt_i32_e32 1, v35
	s_xor_b32 s0, exec_lo, s0
	s_cbranch_execnz .LBB4_12
; %bb.10:                               ;   in Loop: Header=BB4_9 Depth=1
	s_and_not1_saveexec_b32 s0, s0
	s_cbranch_execnz .LBB4_17
.LBB4_11:                               ;   in Loop: Header=BB4_9 Depth=1
	s_or_b32 exec_lo, exec_lo, s0
	s_delay_alu instid0(SALU_CYCLE_1)
	s_mov_b32 s15, exec_lo
	v_cmpx_gt_i64_e64 s[4:5], v[15:16]
	s_cbranch_execnz .LBB4_20
	s_branch .LBB4_25
.LBB4_12:                               ;   in Loop: Header=BB4_9 Depth=1
	s_mov_b32 s15, exec_lo
	v_cmpx_lt_i32_e32 2, v35
	s_xor_b32 s15, exec_lo, s15
; %bb.13:                               ;   in Loop: Header=BB4_9 Depth=1
	v_dual_mov_b32 v7, v3 :: v_dual_mov_b32 v8, v4
	v_mov_b32_e32 v9, v5
	s_delay_alu instid0(VALU_DEP_2) | instskip(NEXT) | instid1(VALU_DEP_2)
	v_dual_mov_b32 v0, v7 :: v_dual_mov_b32 v1, v8
	v_dual_mov_b32 v2, v9 :: v_dual_mov_b32 v3, v10
; %bb.14:                               ;   in Loop: Header=BB4_9 Depth=1
	s_and_not1_saveexec_b32 s15, s15
; %bb.15:                               ;   in Loop: Header=BB4_9 Depth=1
	s_delay_alu instid0(VALU_DEP_1)
	v_dual_mov_b32 v0, v2 :: v_dual_mov_b32 v1, v3
	v_dual_mov_b32 v2, v4 :: v_dual_mov_b32 v3, v5
; %bb.16:                               ;   in Loop: Header=BB4_9 Depth=1
	s_or_b32 exec_lo, exec_lo, s15
	s_and_not1_saveexec_b32 s0, s0
	s_cbranch_execz .LBB4_11
.LBB4_17:                               ;   in Loop: Header=BB4_9 Depth=1
	s_mov_b32 s15, exec_lo
	v_cmpx_eq_u32_e32 1, v35
; %bb.18:                               ;   in Loop: Header=BB4_9 Depth=1
	v_dual_mov_b32 v0, v1 :: v_dual_mov_b32 v1, v2
	v_dual_mov_b32 v2, v3 :: v_dual_mov_b32 v3, v4
; %bb.19:                               ;   in Loop: Header=BB4_9 Depth=1
	s_or_b32 exec_lo, exec_lo, s15
	s_delay_alu instid0(SALU_CYCLE_1) | instskip(NEXT) | instid1(SALU_CYCLE_1)
	s_or_b32 exec_lo, exec_lo, s0
	s_mov_b32 s15, exec_lo
	v_cmpx_gt_i64_e64 s[4:5], v[15:16]
	s_cbranch_execz .LBB4_25
.LBB4_20:                               ;   in Loop: Header=BB4_9 Depth=1
	v_or_b32_e32 v14, s9, v0
                                        ; implicit-def: $vgpr7_vgpr8
	s_mov_b32 s0, exec_lo
	s_delay_alu instid0(VALU_DEP_1)
	v_cmpx_ne_u64_e32 0, v[13:14]
	s_xor_b32 s16, exec_lo, s0
	s_cbranch_execz .LBB4_22
; %bb.21:                               ;   in Loop: Header=BB4_9 Depth=1
	v_cvt_f32_u32_e32 v7, s8
	v_cvt_f32_u32_e32 v8, s9
	s_sub_u32 s0, 0, s8
	s_subb_u32 s17, 0, s9
	s_delay_alu instid0(VALU_DEP_1) | instskip(NEXT) | instid1(VALU_DEP_1)
	v_fmac_f32_e32 v7, 0x4f800000, v8
	v_rcp_f32_e32 v7, v7
	s_waitcnt_depctr 0xfff
	v_mul_f32_e32 v7, 0x5f7ffffc, v7
	s_delay_alu instid0(VALU_DEP_1) | instskip(NEXT) | instid1(VALU_DEP_1)
	v_mul_f32_e32 v8, 0x2f800000, v7
	v_trunc_f32_e32 v8, v8
	s_delay_alu instid0(VALU_DEP_1) | instskip(SKIP_1) | instid1(VALU_DEP_2)
	v_fmac_f32_e32 v7, 0xcf800000, v8
	v_cvt_u32_f32_e32 v8, v8
	v_cvt_u32_f32_e32 v7, v7
	s_delay_alu instid0(VALU_DEP_2) | instskip(NEXT) | instid1(VALU_DEP_2)
	v_mul_lo_u32 v9, s0, v8
	v_mul_hi_u32 v10, s0, v7
	v_mul_lo_u32 v14, s17, v7
	s_delay_alu instid0(VALU_DEP_2) | instskip(SKIP_1) | instid1(VALU_DEP_2)
	v_add_nc_u32_e32 v9, v10, v9
	v_mul_lo_u32 v10, s0, v7
	v_add_nc_u32_e32 v9, v9, v14
	s_delay_alu instid0(VALU_DEP_2) | instskip(NEXT) | instid1(VALU_DEP_2)
	v_mul_hi_u32 v14, v7, v10
	v_mul_lo_u32 v18, v7, v9
	v_mul_hi_u32 v44, v7, v9
	v_mul_hi_u32 v45, v8, v10
	v_mul_lo_u32 v10, v8, v10
	v_mul_hi_u32 v46, v8, v9
	v_mul_lo_u32 v9, v8, v9
	v_add_co_u32 v14, vcc_lo, v14, v18
	v_add_co_ci_u32_e32 v18, vcc_lo, 0, v44, vcc_lo
	s_delay_alu instid0(VALU_DEP_2) | instskip(NEXT) | instid1(VALU_DEP_2)
	v_add_co_u32 v10, vcc_lo, v14, v10
	v_add_co_ci_u32_e32 v10, vcc_lo, v18, v45, vcc_lo
	v_add_co_ci_u32_e32 v14, vcc_lo, 0, v46, vcc_lo
	s_delay_alu instid0(VALU_DEP_2) | instskip(NEXT) | instid1(VALU_DEP_2)
	v_add_co_u32 v9, vcc_lo, v10, v9
	v_add_co_ci_u32_e32 v10, vcc_lo, 0, v14, vcc_lo
	s_delay_alu instid0(VALU_DEP_2) | instskip(NEXT) | instid1(VALU_DEP_2)
	v_add_co_u32 v7, vcc_lo, v7, v9
	v_add_co_ci_u32_e32 v8, vcc_lo, v8, v10, vcc_lo
	s_delay_alu instid0(VALU_DEP_2) | instskip(SKIP_1) | instid1(VALU_DEP_3)
	v_mul_hi_u32 v9, s0, v7
	v_mul_lo_u32 v14, s17, v7
	v_mul_lo_u32 v10, s0, v8
	s_delay_alu instid0(VALU_DEP_1) | instskip(SKIP_1) | instid1(VALU_DEP_2)
	v_add_nc_u32_e32 v9, v9, v10
	v_mul_lo_u32 v10, s0, v7
	v_add_nc_u32_e32 v9, v9, v14
	s_delay_alu instid0(VALU_DEP_2) | instskip(NEXT) | instid1(VALU_DEP_2)
	v_mul_hi_u32 v14, v7, v10
	v_mul_lo_u32 v18, v7, v9
	v_mul_hi_u32 v44, v7, v9
	v_mul_hi_u32 v45, v8, v10
	v_mul_lo_u32 v10, v8, v10
	v_mul_hi_u32 v46, v8, v9
	v_mul_lo_u32 v9, v8, v9
	v_add_co_u32 v14, vcc_lo, v14, v18
	v_add_co_ci_u32_e32 v18, vcc_lo, 0, v44, vcc_lo
	s_delay_alu instid0(VALU_DEP_2) | instskip(NEXT) | instid1(VALU_DEP_2)
	v_add_co_u32 v10, vcc_lo, v14, v10
	v_add_co_ci_u32_e32 v10, vcc_lo, v18, v45, vcc_lo
	v_add_co_ci_u32_e32 v14, vcc_lo, 0, v46, vcc_lo
	s_delay_alu instid0(VALU_DEP_2) | instskip(NEXT) | instid1(VALU_DEP_2)
	v_add_co_u32 v9, vcc_lo, v10, v9
	v_add_co_ci_u32_e32 v10, vcc_lo, 0, v14, vcc_lo
	s_delay_alu instid0(VALU_DEP_2) | instskip(NEXT) | instid1(VALU_DEP_2)
	v_add_co_u32 v14, vcc_lo, v7, v9
	v_add_co_ci_u32_e32 v18, vcc_lo, v8, v10, vcc_lo
	s_delay_alu instid0(VALU_DEP_2) | instskip(SKIP_1) | instid1(VALU_DEP_3)
	v_mul_hi_u32 v46, v1, v14
	v_mad_u64_u32 v[9:10], null, v0, v14, 0
	v_mad_u64_u32 v[7:8], null, v1, v18, 0
	;; [unrolled: 1-line block ×3, first 2 shown]
	s_delay_alu instid0(VALU_DEP_2) | instskip(NEXT) | instid1(VALU_DEP_3)
	v_add_co_u32 v7, vcc_lo, v46, v7
	v_add_co_ci_u32_e32 v8, vcc_lo, 0, v8, vcc_lo
	s_delay_alu instid0(VALU_DEP_2) | instskip(NEXT) | instid1(VALU_DEP_2)
	v_add_co_u32 v7, vcc_lo, v7, v9
	v_add_co_ci_u32_e32 v7, vcc_lo, v8, v10, vcc_lo
	v_add_co_ci_u32_e32 v8, vcc_lo, 0, v45, vcc_lo
	s_delay_alu instid0(VALU_DEP_2) | instskip(NEXT) | instid1(VALU_DEP_2)
	v_add_co_u32 v9, vcc_lo, v7, v44
	v_add_co_ci_u32_e32 v10, vcc_lo, 0, v8, vcc_lo
	s_delay_alu instid0(VALU_DEP_2) | instskip(SKIP_1) | instid1(VALU_DEP_3)
	v_mul_lo_u32 v14, s9, v9
	v_mad_u64_u32 v[7:8], null, s8, v9, 0
	v_mul_lo_u32 v9, s8, v10
	s_delay_alu instid0(VALU_DEP_2) | instskip(NEXT) | instid1(VALU_DEP_2)
	v_sub_co_u32 v7, vcc_lo, v1, v7
	v_add3_u32 v8, v8, v9, v14
	s_delay_alu instid0(VALU_DEP_1) | instskip(NEXT) | instid1(VALU_DEP_1)
	v_sub_nc_u32_e32 v9, v0, v8
	v_subrev_co_ci_u32_e64 v9, s0, s9, v9, vcc_lo
	s_delay_alu instid0(VALU_DEP_4) | instskip(SKIP_1) | instid1(VALU_DEP_3)
	v_sub_co_u32 v10, s0, v7, s8
	v_sub_co_ci_u32_e32 v0, vcc_lo, v0, v8, vcc_lo
	v_subrev_co_ci_u32_e64 v9, s0, 0, v9, s0
	s_delay_alu instid0(VALU_DEP_3) | instskip(SKIP_1) | instid1(VALU_DEP_3)
	v_cmp_le_u32_e32 vcc_lo, s8, v10
	v_cndmask_b32_e64 v8, 0, -1, vcc_lo
	v_cmp_le_u32_e32 vcc_lo, s9, v9
	v_cndmask_b32_e64 v14, 0, -1, vcc_lo
	;; [unrolled: 2-line block ×4, first 2 shown]
	v_cmp_eq_u32_e32 vcc_lo, s9, v9
	v_cndmask_b32_e32 v8, v14, v8, vcc_lo
	v_sub_co_u32 v9, vcc_lo, v10, s8
	v_cmp_eq_u32_e32 vcc_lo, s9, v0
	v_cndmask_b32_e32 v0, v44, v18, vcc_lo
	s_delay_alu instid0(VALU_DEP_4) | instskip(NEXT) | instid1(VALU_DEP_4)
	v_cmp_ne_u32_e32 vcc_lo, 0, v8
	v_cndmask_b32_e32 v8, v10, v9, vcc_lo
	s_delay_alu instid0(VALU_DEP_3) | instskip(NEXT) | instid1(VALU_DEP_2)
	v_cmp_ne_u32_e32 vcc_lo, 0, v0
	v_cndmask_b32_e32 v7, v7, v8, vcc_lo
.LBB4_22:                               ;   in Loop: Header=BB4_9 Depth=1
	s_and_not1_saveexec_b32 s0, s16
	s_cbranch_execz .LBB4_24
; %bb.23:                               ;   in Loop: Header=BB4_9 Depth=1
	v_cvt_f32_u32_e32 v0, s8
	s_sub_i32 s16, 0, s8
	s_delay_alu instid0(VALU_DEP_1) | instskip(SKIP_2) | instid1(VALU_DEP_1)
	v_rcp_iflag_f32_e32 v0, v0
	s_waitcnt_depctr 0xfff
	v_mul_f32_e32 v0, 0x4f7ffffe, v0
	v_cvt_u32_f32_e32 v0, v0
	s_delay_alu instid0(VALU_DEP_1) | instskip(NEXT) | instid1(VALU_DEP_1)
	v_mul_lo_u32 v7, s16, v0
	v_mul_hi_u32 v7, v0, v7
	s_delay_alu instid0(VALU_DEP_1) | instskip(NEXT) | instid1(VALU_DEP_1)
	v_add_nc_u32_e32 v0, v0, v7
	v_mul_hi_u32 v0, v1, v0
	s_delay_alu instid0(VALU_DEP_1) | instskip(NEXT) | instid1(VALU_DEP_1)
	v_mul_lo_u32 v0, v0, s8
	v_sub_nc_u32_e32 v0, v1, v0
	s_delay_alu instid0(VALU_DEP_1) | instskip(SKIP_1) | instid1(VALU_DEP_2)
	v_subrev_nc_u32_e32 v1, s8, v0
	v_cmp_le_u32_e32 vcc_lo, s8, v0
	v_cndmask_b32_e32 v0, v0, v1, vcc_lo
	s_delay_alu instid0(VALU_DEP_1) | instskip(SKIP_1) | instid1(VALU_DEP_2)
	v_subrev_nc_u32_e32 v1, s8, v0
	v_cmp_le_u32_e32 vcc_lo, s8, v0
	v_cndmask_b32_e32 v7, v0, v1, vcc_lo
.LBB4_24:                               ;   in Loop: Header=BB4_9 Depth=1
	s_or_b32 exec_lo, exec_lo, s0
	v_add_nc_u32_e32 v0, s14, v41
	s_delay_alu instid0(VALU_DEP_2) | instskip(NEXT) | instid1(VALU_DEP_2)
	v_add_nc_u32_e32 v7, s10, v7
	v_ashrrev_i32_e32 v1, 31, v0
	v_add_co_u32 v0, vcc_lo, s6, v0
	s_delay_alu instid0(VALU_DEP_2)
	v_add_co_ci_u32_e32 v1, vcc_lo, s7, v1, vcc_lo
	global_store_b8 v[0:1], v7, off
.LBB4_25:                               ;   in Loop: Header=BB4_9 Depth=1
	s_or_b32 exec_lo, exec_lo, s15
	v_add_co_u32 v0, vcc_lo, s12, v15
	v_add_co_ci_u32_e32 v1, vcc_lo, 0, v16, vcc_lo
	s_mov_b32 s15, exec_lo
	s_delay_alu instid0(VALU_DEP_1)
	v_cmpx_gt_i64_e64 s[4:5], v[0:1]
	s_cbranch_execz .LBB4_8
; %bb.26:                               ;   in Loop: Header=BB4_9 Depth=1
	v_or_b32_e32 v14, s9, v2
                                        ; implicit-def: $vgpr7_vgpr8
	s_mov_b32 s0, exec_lo
	s_delay_alu instid0(VALU_DEP_1)
	v_cmpx_ne_u64_e32 0, v[13:14]
	s_xor_b32 s16, exec_lo, s0
	s_cbranch_execz .LBB4_28
; %bb.27:                               ;   in Loop: Header=BB4_9 Depth=1
	v_cvt_f32_u32_e32 v0, s8
	v_cvt_f32_u32_e32 v1, s9
	s_sub_u32 s0, 0, s8
	s_subb_u32 s17, 0, s9
	s_delay_alu instid0(VALU_DEP_1) | instskip(NEXT) | instid1(VALU_DEP_1)
	v_fmac_f32_e32 v0, 0x4f800000, v1
	v_rcp_f32_e32 v0, v0
	s_waitcnt_depctr 0xfff
	v_mul_f32_e32 v0, 0x5f7ffffc, v0
	s_delay_alu instid0(VALU_DEP_1) | instskip(NEXT) | instid1(VALU_DEP_1)
	v_mul_f32_e32 v1, 0x2f800000, v0
	v_trunc_f32_e32 v1, v1
	s_delay_alu instid0(VALU_DEP_1) | instskip(SKIP_1) | instid1(VALU_DEP_2)
	v_fmac_f32_e32 v0, 0xcf800000, v1
	v_cvt_u32_f32_e32 v1, v1
	v_cvt_u32_f32_e32 v0, v0
	s_delay_alu instid0(VALU_DEP_2) | instskip(NEXT) | instid1(VALU_DEP_2)
	v_mul_lo_u32 v7, s0, v1
	v_mul_hi_u32 v8, s0, v0
	v_mul_lo_u32 v9, s17, v0
	s_delay_alu instid0(VALU_DEP_2) | instskip(SKIP_1) | instid1(VALU_DEP_2)
	v_add_nc_u32_e32 v7, v8, v7
	v_mul_lo_u32 v8, s0, v0
	v_add_nc_u32_e32 v7, v7, v9
	s_delay_alu instid0(VALU_DEP_2) | instskip(NEXT) | instid1(VALU_DEP_2)
	v_mul_hi_u32 v9, v0, v8
	v_mul_lo_u32 v10, v0, v7
	v_mul_hi_u32 v14, v0, v7
	v_mul_hi_u32 v18, v1, v8
	v_mul_lo_u32 v8, v1, v8
	v_mul_hi_u32 v44, v1, v7
	v_mul_lo_u32 v7, v1, v7
	v_add_co_u32 v9, vcc_lo, v9, v10
	v_add_co_ci_u32_e32 v10, vcc_lo, 0, v14, vcc_lo
	s_delay_alu instid0(VALU_DEP_2) | instskip(NEXT) | instid1(VALU_DEP_2)
	v_add_co_u32 v8, vcc_lo, v9, v8
	v_add_co_ci_u32_e32 v8, vcc_lo, v10, v18, vcc_lo
	v_add_co_ci_u32_e32 v9, vcc_lo, 0, v44, vcc_lo
	s_delay_alu instid0(VALU_DEP_2) | instskip(NEXT) | instid1(VALU_DEP_2)
	v_add_co_u32 v7, vcc_lo, v8, v7
	v_add_co_ci_u32_e32 v8, vcc_lo, 0, v9, vcc_lo
	s_delay_alu instid0(VALU_DEP_2) | instskip(NEXT) | instid1(VALU_DEP_2)
	v_add_co_u32 v0, vcc_lo, v0, v7
	v_add_co_ci_u32_e32 v1, vcc_lo, v1, v8, vcc_lo
	s_delay_alu instid0(VALU_DEP_2) | instskip(SKIP_1) | instid1(VALU_DEP_3)
	v_mul_hi_u32 v7, s0, v0
	v_mul_lo_u32 v9, s17, v0
	v_mul_lo_u32 v8, s0, v1
	s_delay_alu instid0(VALU_DEP_1) | instskip(SKIP_1) | instid1(VALU_DEP_2)
	v_add_nc_u32_e32 v7, v7, v8
	v_mul_lo_u32 v8, s0, v0
	v_add_nc_u32_e32 v7, v7, v9
	s_delay_alu instid0(VALU_DEP_2) | instskip(NEXT) | instid1(VALU_DEP_2)
	v_mul_hi_u32 v9, v0, v8
	v_mul_lo_u32 v10, v0, v7
	v_mul_hi_u32 v14, v0, v7
	v_mul_hi_u32 v18, v1, v8
	v_mul_lo_u32 v8, v1, v8
	v_mul_hi_u32 v44, v1, v7
	v_mul_lo_u32 v7, v1, v7
	v_add_co_u32 v9, vcc_lo, v9, v10
	v_add_co_ci_u32_e32 v10, vcc_lo, 0, v14, vcc_lo
	s_delay_alu instid0(VALU_DEP_2) | instskip(NEXT) | instid1(VALU_DEP_2)
	v_add_co_u32 v8, vcc_lo, v9, v8
	v_add_co_ci_u32_e32 v8, vcc_lo, v10, v18, vcc_lo
	v_add_co_ci_u32_e32 v9, vcc_lo, 0, v44, vcc_lo
	s_delay_alu instid0(VALU_DEP_2) | instskip(NEXT) | instid1(VALU_DEP_2)
	v_add_co_u32 v7, vcc_lo, v8, v7
	v_add_co_ci_u32_e32 v8, vcc_lo, 0, v9, vcc_lo
	s_delay_alu instid0(VALU_DEP_2) | instskip(NEXT) | instid1(VALU_DEP_2)
	v_add_co_u32 v9, vcc_lo, v0, v7
	v_add_co_ci_u32_e32 v14, vcc_lo, v1, v8, vcc_lo
	s_delay_alu instid0(VALU_DEP_2) | instskip(SKIP_1) | instid1(VALU_DEP_3)
	v_mul_hi_u32 v18, v3, v9
	v_mad_u64_u32 v[7:8], null, v2, v9, 0
	v_mad_u64_u32 v[0:1], null, v3, v14, 0
	v_mad_u64_u32 v[9:10], null, v2, v14, 0
	s_delay_alu instid0(VALU_DEP_2) | instskip(NEXT) | instid1(VALU_DEP_3)
	v_add_co_u32 v0, vcc_lo, v18, v0
	v_add_co_ci_u32_e32 v1, vcc_lo, 0, v1, vcc_lo
	s_delay_alu instid0(VALU_DEP_2) | instskip(NEXT) | instid1(VALU_DEP_2)
	v_add_co_u32 v0, vcc_lo, v0, v7
	v_add_co_ci_u32_e32 v0, vcc_lo, v1, v8, vcc_lo
	v_add_co_ci_u32_e32 v1, vcc_lo, 0, v10, vcc_lo
	s_delay_alu instid0(VALU_DEP_2) | instskip(NEXT) | instid1(VALU_DEP_2)
	v_add_co_u32 v7, vcc_lo, v0, v9
	v_add_co_ci_u32_e32 v8, vcc_lo, 0, v1, vcc_lo
	s_delay_alu instid0(VALU_DEP_2) | instskip(SKIP_1) | instid1(VALU_DEP_3)
	v_mul_lo_u32 v9, s9, v7
	v_mad_u64_u32 v[0:1], null, s8, v7, 0
	v_mul_lo_u32 v7, s8, v8
	s_delay_alu instid0(VALU_DEP_2) | instskip(NEXT) | instid1(VALU_DEP_2)
	v_sub_co_u32 v0, vcc_lo, v3, v0
	v_add3_u32 v1, v1, v7, v9
	s_delay_alu instid0(VALU_DEP_1) | instskip(NEXT) | instid1(VALU_DEP_1)
	v_sub_nc_u32_e32 v7, v2, v1
	v_subrev_co_ci_u32_e64 v3, s0, s9, v7, vcc_lo
	s_delay_alu instid0(VALU_DEP_4) | instskip(SKIP_1) | instid1(VALU_DEP_3)
	v_sub_co_u32 v7, s0, v0, s8
	v_sub_co_ci_u32_e32 v1, vcc_lo, v2, v1, vcc_lo
	v_subrev_co_ci_u32_e64 v3, s0, 0, v3, s0
	s_delay_alu instid0(VALU_DEP_3) | instskip(SKIP_1) | instid1(VALU_DEP_3)
	v_cmp_le_u32_e32 vcc_lo, s8, v7
	v_cndmask_b32_e64 v2, 0, -1, vcc_lo
	v_cmp_le_u32_e32 vcc_lo, s9, v3
	v_cndmask_b32_e64 v8, 0, -1, vcc_lo
	v_cmp_le_u32_e32 vcc_lo, s8, v0
	v_cndmask_b32_e64 v9, 0, -1, vcc_lo
	v_cmp_le_u32_e32 vcc_lo, s9, v1
	v_cndmask_b32_e64 v10, 0, -1, vcc_lo
	v_cmp_eq_u32_e32 vcc_lo, s9, v3
	v_cndmask_b32_e32 v2, v8, v2, vcc_lo
	v_sub_co_u32 v3, vcc_lo, v7, s8
	v_cmp_eq_u32_e32 vcc_lo, s9, v1
	v_cndmask_b32_e32 v1, v10, v9, vcc_lo
	s_delay_alu instid0(VALU_DEP_4) | instskip(NEXT) | instid1(VALU_DEP_4)
	v_cmp_ne_u32_e32 vcc_lo, 0, v2
	v_cndmask_b32_e32 v2, v7, v3, vcc_lo
	s_delay_alu instid0(VALU_DEP_3) | instskip(NEXT) | instid1(VALU_DEP_2)
	v_cmp_ne_u32_e32 vcc_lo, 0, v1
	v_cndmask_b32_e32 v7, v0, v2, vcc_lo
                                        ; implicit-def: $vgpr0_vgpr1_vgpr2_vgpr3
.LBB4_28:                               ;   in Loop: Header=BB4_9 Depth=1
	s_and_not1_saveexec_b32 s0, s16
	s_cbranch_execz .LBB4_7
; %bb.29:                               ;   in Loop: Header=BB4_9 Depth=1
	v_cvt_f32_u32_e32 v0, s8
	s_sub_i32 s16, 0, s8
	s_delay_alu instid0(VALU_DEP_1) | instskip(SKIP_2) | instid1(VALU_DEP_1)
	v_rcp_iflag_f32_e32 v0, v0
	s_waitcnt_depctr 0xfff
	v_mul_f32_e32 v0, 0x4f7ffffe, v0
	v_cvt_u32_f32_e32 v0, v0
	s_delay_alu instid0(VALU_DEP_1) | instskip(NEXT) | instid1(VALU_DEP_1)
	v_mul_lo_u32 v1, s16, v0
	v_mul_hi_u32 v1, v0, v1
	s_delay_alu instid0(VALU_DEP_1) | instskip(NEXT) | instid1(VALU_DEP_1)
	v_add_nc_u32_e32 v0, v0, v1
	v_mul_hi_u32 v0, v3, v0
	s_delay_alu instid0(VALU_DEP_1) | instskip(NEXT) | instid1(VALU_DEP_1)
	v_mul_lo_u32 v0, v0, s8
	v_sub_nc_u32_e32 v0, v3, v0
	s_delay_alu instid0(VALU_DEP_1) | instskip(SKIP_1) | instid1(VALU_DEP_2)
	v_subrev_nc_u32_e32 v1, s8, v0
	v_cmp_le_u32_e32 vcc_lo, s8, v0
	v_cndmask_b32_e32 v0, v0, v1, vcc_lo
	s_delay_alu instid0(VALU_DEP_1) | instskip(SKIP_1) | instid1(VALU_DEP_2)
	v_subrev_nc_u32_e32 v1, s8, v0
	v_cmp_le_u32_e32 vcc_lo, s8, v0
	v_cndmask_b32_e32 v7, v0, v1, vcc_lo
	s_branch .LBB4_7
.LBB4_30:
	s_endpgm
.LBB4_31:
                                        ; implicit-def: $sgpr2_sgpr3
	s_branch .LBB4_4
	.section	.rodata,"a",@progbits
	.p2align	6, 0x0
	.amdhsa_kernel _ZN2at6native12_GLOBAL__N_143distribution_elementwise_grid_stride_kernelImLi2EZZZNS0_9templates4cuda21random_from_to_kernelIPNS_17CUDAGeneratorImplEEEvRNS_18TensorIteratorBaseEmlT_ENKUlvE_clEvENKUlvE0_clEvEUlP25hiprandStatePhilox4_32_10E_ZNS1_27distribution_nullary_kernelIam15HIP_vector_typeIyLj2EES7_SF_ZZZNS5_IS7_EEvS9_mlSA_ENKSB_clEvENKSC_clEvEUlmE_EEvS9_T2_RKT3_T4_EUlimE_EEvlNS_15PhiloxCudaStateET1_SK_
		.amdhsa_group_segment_fixed_size 0
		.amdhsa_private_segment_fixed_size 0
		.amdhsa_kernarg_size 336
		.amdhsa_user_sgpr_count 15
		.amdhsa_user_sgpr_dispatch_ptr 0
		.amdhsa_user_sgpr_queue_ptr 0
		.amdhsa_user_sgpr_kernarg_segment_ptr 1
		.amdhsa_user_sgpr_dispatch_id 0
		.amdhsa_user_sgpr_private_segment_size 0
		.amdhsa_wavefront_size32 1
		.amdhsa_uses_dynamic_stack 0
		.amdhsa_enable_private_segment 0
		.amdhsa_system_sgpr_workgroup_id_x 1
		.amdhsa_system_sgpr_workgroup_id_y 0
		.amdhsa_system_sgpr_workgroup_id_z 0
		.amdhsa_system_sgpr_workgroup_info 0
		.amdhsa_system_vgpr_workitem_id 0
		.amdhsa_next_free_vgpr 47
		.amdhsa_next_free_sgpr 23
		.amdhsa_reserve_vcc 1
		.amdhsa_float_round_mode_32 0
		.amdhsa_float_round_mode_16_64 0
		.amdhsa_float_denorm_mode_32 3
		.amdhsa_float_denorm_mode_16_64 3
		.amdhsa_dx10_clamp 1
		.amdhsa_ieee_mode 1
		.amdhsa_fp16_overflow 0
		.amdhsa_workgroup_processor_mode 1
		.amdhsa_memory_ordered 1
		.amdhsa_forward_progress 0
		.amdhsa_shared_vgpr_count 0
		.amdhsa_exception_fp_ieee_invalid_op 0
		.amdhsa_exception_fp_denorm_src 0
		.amdhsa_exception_fp_ieee_div_zero 0
		.amdhsa_exception_fp_ieee_overflow 0
		.amdhsa_exception_fp_ieee_underflow 0
		.amdhsa_exception_fp_ieee_inexact 0
		.amdhsa_exception_int_div_zero 0
	.end_amdhsa_kernel
	.section	.text._ZN2at6native12_GLOBAL__N_143distribution_elementwise_grid_stride_kernelImLi2EZZZNS0_9templates4cuda21random_from_to_kernelIPNS_17CUDAGeneratorImplEEEvRNS_18TensorIteratorBaseEmlT_ENKUlvE_clEvENKUlvE0_clEvEUlP25hiprandStatePhilox4_32_10E_ZNS1_27distribution_nullary_kernelIam15HIP_vector_typeIyLj2EES7_SF_ZZZNS5_IS7_EEvS9_mlSA_ENKSB_clEvENKSC_clEvEUlmE_EEvS9_T2_RKT3_T4_EUlimE_EEvlNS_15PhiloxCudaStateET1_SK_,"axG",@progbits,_ZN2at6native12_GLOBAL__N_143distribution_elementwise_grid_stride_kernelImLi2EZZZNS0_9templates4cuda21random_from_to_kernelIPNS_17CUDAGeneratorImplEEEvRNS_18TensorIteratorBaseEmlT_ENKUlvE_clEvENKUlvE0_clEvEUlP25hiprandStatePhilox4_32_10E_ZNS1_27distribution_nullary_kernelIam15HIP_vector_typeIyLj2EES7_SF_ZZZNS5_IS7_EEvS9_mlSA_ENKSB_clEvENKSC_clEvEUlmE_EEvS9_T2_RKT3_T4_EUlimE_EEvlNS_15PhiloxCudaStateET1_SK_,comdat
.Lfunc_end4:
	.size	_ZN2at6native12_GLOBAL__N_143distribution_elementwise_grid_stride_kernelImLi2EZZZNS0_9templates4cuda21random_from_to_kernelIPNS_17CUDAGeneratorImplEEEvRNS_18TensorIteratorBaseEmlT_ENKUlvE_clEvENKUlvE0_clEvEUlP25hiprandStatePhilox4_32_10E_ZNS1_27distribution_nullary_kernelIam15HIP_vector_typeIyLj2EES7_SF_ZZZNS5_IS7_EEvS9_mlSA_ENKSB_clEvENKSC_clEvEUlmE_EEvS9_T2_RKT3_T4_EUlimE_EEvlNS_15PhiloxCudaStateET1_SK_, .Lfunc_end4-_ZN2at6native12_GLOBAL__N_143distribution_elementwise_grid_stride_kernelImLi2EZZZNS0_9templates4cuda21random_from_to_kernelIPNS_17CUDAGeneratorImplEEEvRNS_18TensorIteratorBaseEmlT_ENKUlvE_clEvENKUlvE0_clEvEUlP25hiprandStatePhilox4_32_10E_ZNS1_27distribution_nullary_kernelIam15HIP_vector_typeIyLj2EES7_SF_ZZZNS5_IS7_EEvS9_mlSA_ENKSB_clEvENKSC_clEvEUlmE_EEvS9_T2_RKT3_T4_EUlimE_EEvlNS_15PhiloxCudaStateET1_SK_
                                        ; -- End function
	.section	.AMDGPU.csdata,"",@progbits
; Kernel info:
; codeLenInByte = 4348
; NumSgprs: 25
; NumVgprs: 47
; ScratchSize: 0
; MemoryBound: 0
; FloatMode: 240
; IeeeMode: 1
; LDSByteSize: 0 bytes/workgroup (compile time only)
; SGPRBlocks: 3
; VGPRBlocks: 5
; NumSGPRsForWavesPerEU: 25
; NumVGPRsForWavesPerEU: 47
; Occupancy: 16
; WaveLimiterHint : 0
; COMPUTE_PGM_RSRC2:SCRATCH_EN: 0
; COMPUTE_PGM_RSRC2:USER_SGPR: 15
; COMPUTE_PGM_RSRC2:TRAP_HANDLER: 0
; COMPUTE_PGM_RSRC2:TGID_X_EN: 1
; COMPUTE_PGM_RSRC2:TGID_Y_EN: 0
; COMPUTE_PGM_RSRC2:TGID_Z_EN: 0
; COMPUTE_PGM_RSRC2:TIDIG_COMP_CNT: 0
	.section	.text._ZN2at6native12_GLOBAL__N_143distribution_elementwise_grid_stride_kernelImLi2EZZZNS0_9templates4cuda21random_from_to_kernelIPNS_17CUDAGeneratorImplEEEvRNS_18TensorIteratorBaseEmlT_ENKUlvE_clEvENKUlvE0_clEvEUlP25hiprandStatePhilox4_32_10E_ZNS1_27distribution_nullary_kernelIam15HIP_vector_typeIyLj2EES7_SF_ZZZNS5_IS7_EEvS9_mlSA_ENKSB_clEvENKSC_clEvEUlmE_EEvS9_T2_RKT3_T4_EUlimE0_EEvlNS_15PhiloxCudaStateET1_SK_,"axG",@progbits,_ZN2at6native12_GLOBAL__N_143distribution_elementwise_grid_stride_kernelImLi2EZZZNS0_9templates4cuda21random_from_to_kernelIPNS_17CUDAGeneratorImplEEEvRNS_18TensorIteratorBaseEmlT_ENKUlvE_clEvENKUlvE0_clEvEUlP25hiprandStatePhilox4_32_10E_ZNS1_27distribution_nullary_kernelIam15HIP_vector_typeIyLj2EES7_SF_ZZZNS5_IS7_EEvS9_mlSA_ENKSB_clEvENKSC_clEvEUlmE_EEvS9_T2_RKT3_T4_EUlimE0_EEvlNS_15PhiloxCudaStateET1_SK_,comdat
	.globl	_ZN2at6native12_GLOBAL__N_143distribution_elementwise_grid_stride_kernelImLi2EZZZNS0_9templates4cuda21random_from_to_kernelIPNS_17CUDAGeneratorImplEEEvRNS_18TensorIteratorBaseEmlT_ENKUlvE_clEvENKUlvE0_clEvEUlP25hiprandStatePhilox4_32_10E_ZNS1_27distribution_nullary_kernelIam15HIP_vector_typeIyLj2EES7_SF_ZZZNS5_IS7_EEvS9_mlSA_ENKSB_clEvENKSC_clEvEUlmE_EEvS9_T2_RKT3_T4_EUlimE0_EEvlNS_15PhiloxCudaStateET1_SK_ ; -- Begin function _ZN2at6native12_GLOBAL__N_143distribution_elementwise_grid_stride_kernelImLi2EZZZNS0_9templates4cuda21random_from_to_kernelIPNS_17CUDAGeneratorImplEEEvRNS_18TensorIteratorBaseEmlT_ENKUlvE_clEvENKUlvE0_clEvEUlP25hiprandStatePhilox4_32_10E_ZNS1_27distribution_nullary_kernelIam15HIP_vector_typeIyLj2EES7_SF_ZZZNS5_IS7_EEvS9_mlSA_ENKSB_clEvENKSC_clEvEUlmE_EEvS9_T2_RKT3_T4_EUlimE0_EEvlNS_15PhiloxCudaStateET1_SK_
	.p2align	8
	.type	_ZN2at6native12_GLOBAL__N_143distribution_elementwise_grid_stride_kernelImLi2EZZZNS0_9templates4cuda21random_from_to_kernelIPNS_17CUDAGeneratorImplEEEvRNS_18TensorIteratorBaseEmlT_ENKUlvE_clEvENKUlvE0_clEvEUlP25hiprandStatePhilox4_32_10E_ZNS1_27distribution_nullary_kernelIam15HIP_vector_typeIyLj2EES7_SF_ZZZNS5_IS7_EEvS9_mlSA_ENKSB_clEvENKSC_clEvEUlmE_EEvS9_T2_RKT3_T4_EUlimE0_EEvlNS_15PhiloxCudaStateET1_SK_,@function
_ZN2at6native12_GLOBAL__N_143distribution_elementwise_grid_stride_kernelImLi2EZZZNS0_9templates4cuda21random_from_to_kernelIPNS_17CUDAGeneratorImplEEEvRNS_18TensorIteratorBaseEmlT_ENKUlvE_clEvENKUlvE0_clEvEUlP25hiprandStatePhilox4_32_10E_ZNS1_27distribution_nullary_kernelIam15HIP_vector_typeIyLj2EES7_SF_ZZZNS5_IS7_EEvS9_mlSA_ENKSB_clEvENKSC_clEvEUlmE_EEvS9_T2_RKT3_T4_EUlimE0_EEvlNS_15PhiloxCudaStateET1_SK_: ; @_ZN2at6native12_GLOBAL__N_143distribution_elementwise_grid_stride_kernelImLi2EZZZNS0_9templates4cuda21random_from_to_kernelIPNS_17CUDAGeneratorImplEEEvRNS_18TensorIteratorBaseEmlT_ENKUlvE_clEvENKUlvE0_clEvEUlP25hiprandStatePhilox4_32_10E_ZNS1_27distribution_nullary_kernelIam15HIP_vector_typeIyLj2EES7_SF_ZZZNS5_IS7_EEvS9_mlSA_ENKSB_clEvENKSC_clEvEUlmE_EEvS9_T2_RKT3_T4_EUlimE0_EEvlNS_15PhiloxCudaStateET1_SK_
; %bb.0:
	s_clause 0x2
	s_load_b64 s[4:5], s[0:1], 0x10
	s_load_b128 s[16:19], s[0:1], 0x0
	s_load_b32 s2, s[0:1], 0x20
	s_waitcnt lgkmcnt(0)
	v_dual_mov_b32 v2, s4 :: v_dual_mov_b32 v3, s5
	v_dual_mov_b32 v11, s18 :: v_dual_mov_b32 v12, s19
	s_bitcmp0_b32 s2, 0
	s_mov_b32 s2, 0
	s_cbranch_scc1 .LBB5_2
; %bb.1:
	v_dual_mov_b32 v1, s4 :: v_dual_mov_b32 v2, s5
	v_dual_mov_b32 v4, s18 :: v_dual_mov_b32 v5, s19
	s_load_b64 s[4:5], s[0:1], 0x18
	flat_load_b64 v[2:3], v[1:2]
	flat_load_b64 v[11:12], v[4:5]
	s_waitcnt vmcnt(1) lgkmcnt(0)
	v_add_co_u32 v2, vcc_lo, v2, s4
	v_add_co_ci_u32_e32 v3, vcc_lo, s5, v3, vcc_lo
.LBB5_2:
	s_clause 0x1
	s_load_b32 s3, s[0:1], 0x15c
	s_load_b32 s5, s[0:1], 0x150
	s_waitcnt lgkmcnt(0)
	s_and_b32 s4, s3, 0xffff
	s_add_u32 s6, s16, -1
	s_mul_i32 s28, s5, s4
	s_addc_u32 s3, s17, -1
	s_lshl_b32 s29, s28, 1
	s_cmp_lg_u64 s[2:3], 0
	s_cbranch_scc0 .LBB5_57
; %bb.3:
	v_cvt_f32_ubyte0_e32 v1, 0
	v_cvt_f32_u32_e32 v4, s29
	s_sub_u32 s8, 0, s29
	s_subb_u32 s9, 0, 0
	s_delay_alu instid0(VALU_DEP_1) | instskip(NEXT) | instid1(VALU_DEP_1)
	v_fmamk_f32 v1, v1, 0x4f800000, v4
	v_rcp_f32_e32 v1, v1
	s_waitcnt_depctr 0xfff
	v_mul_f32_e32 v1, 0x5f7ffffc, v1
	s_delay_alu instid0(VALU_DEP_1) | instskip(NEXT) | instid1(VALU_DEP_1)
	v_mul_f32_e32 v4, 0x2f800000, v1
	v_trunc_f32_e32 v4, v4
	s_delay_alu instid0(VALU_DEP_1) | instskip(SKIP_1) | instid1(VALU_DEP_2)
	v_fmamk_f32 v1, v4, 0xcf800000, v1
	v_cvt_u32_f32_e32 v4, v4
	v_cvt_u32_f32_e32 v1, v1
	s_delay_alu instid0(VALU_DEP_2) | instskip(NEXT) | instid1(VALU_DEP_2)
	v_readfirstlane_b32 s2, v4
	v_readfirstlane_b32 s7, v1
	s_delay_alu instid0(VALU_DEP_2) | instskip(NEXT) | instid1(VALU_DEP_1)
	s_mul_i32 s10, s8, s2
	s_mul_hi_u32 s12, s8, s7
	s_mul_i32 s11, s9, s7
	s_add_i32 s10, s12, s10
	s_mul_i32 s13, s8, s7
	s_add_i32 s10, s10, s11
	s_mul_hi_u32 s12, s7, s13
	s_mul_hi_u32 s14, s2, s13
	s_mul_i32 s11, s2, s13
	s_mul_hi_u32 s13, s7, s10
	s_mul_i32 s7, s7, s10
	s_mul_hi_u32 s18, s2, s10
	s_add_u32 s7, s12, s7
	s_addc_u32 s12, 0, s13
	s_add_u32 s7, s7, s11
	s_mul_i32 s10, s2, s10
	s_addc_u32 s7, s12, s14
	s_addc_u32 s11, s18, 0
	s_add_u32 s7, s7, s10
	s_addc_u32 s10, 0, s11
	v_add_co_u32 v1, s7, v1, s7
	s_delay_alu instid0(VALU_DEP_1) | instskip(SKIP_1) | instid1(VALU_DEP_1)
	s_cmp_lg_u32 s7, 0
	s_addc_u32 s2, s2, s10
	v_readfirstlane_b32 s7, v1
	s_mul_i32 s10, s8, s2
	s_delay_alu instid0(VALU_DEP_1)
	s_mul_hi_u32 s11, s8, s7
	s_mul_i32 s9, s9, s7
	s_add_i32 s10, s11, s10
	s_mul_i32 s8, s8, s7
	s_add_i32 s10, s10, s9
	s_mul_hi_u32 s11, s2, s8
	s_mul_i32 s12, s2, s8
	s_mul_hi_u32 s8, s7, s8
	s_mul_hi_u32 s13, s7, s10
	s_mul_i32 s7, s7, s10
	s_mul_hi_u32 s9, s2, s10
	s_add_u32 s7, s8, s7
	s_addc_u32 s8, 0, s13
	s_add_u32 s7, s7, s12
	s_mul_i32 s10, s2, s10
	s_addc_u32 s7, s8, s11
	s_addc_u32 s8, s9, 0
	s_add_u32 s7, s7, s10
	s_addc_u32 s8, 0, s8
	v_add_co_u32 v1, s7, v1, s7
	s_delay_alu instid0(VALU_DEP_1) | instskip(SKIP_2) | instid1(VALU_DEP_1)
	s_cmp_lg_u32 s7, 0
	s_addc_u32 s7, s2, s8
	s_ashr_i32 s8, s3, 31
	v_readfirstlane_b32 s10, v1
	s_add_u32 s2, s6, s8
	s_mov_b32 s9, s8
	s_addc_u32 s3, s3, s8
	s_delay_alu instid0(SALU_CYCLE_1) | instskip(NEXT) | instid1(SALU_CYCLE_1)
	s_xor_b64 s[2:3], s[2:3], s[8:9]
	s_mul_i32 s12, s2, s7
	s_mul_hi_u32 s13, s2, s10
	s_mul_hi_u32 s11, s2, s7
	;; [unrolled: 1-line block ×3, first 2 shown]
	s_mul_i32 s10, s3, s10
	s_add_u32 s12, s13, s12
	s_addc_u32 s11, 0, s11
	s_mul_hi_u32 s14, s3, s7
	s_add_u32 s10, s12, s10
	s_mul_i32 s7, s3, s7
	s_addc_u32 s10, s11, s18
	s_addc_u32 s11, s14, 0
	s_add_u32 s7, s10, s7
	s_addc_u32 s10, 0, s11
	s_mul_i32 s12, s29, s7
	s_add_u32 s11, s7, 1
	v_sub_co_u32 v1, s2, s2, s12
	s_mul_hi_u32 s12, s29, s7
	s_addc_u32 s13, s10, 0
	s_mul_i32 s14, s29, s10
	s_delay_alu instid0(VALU_DEP_1)
	v_sub_co_u32 v4, s18, v1, s29
	s_add_u32 s19, s7, 2
	s_addc_u32 s20, s10, 0
	s_add_i32 s12, s12, s14
	s_cmp_lg_u32 s2, 0
	v_readfirstlane_b32 s2, v4
	s_subb_u32 s3, s3, s12
	s_cmp_lg_u32 s18, 0
	s_subb_u32 s12, s3, 0
	s_delay_alu instid0(VALU_DEP_1) | instskip(SKIP_4) | instid1(SALU_CYCLE_1)
	s_cmp_ge_u32 s2, s29
	s_cselect_b32 s2, -1, 0
	s_cmp_eq_u32 s12, 0
	v_readfirstlane_b32 s12, v1
	s_cselect_b32 s2, s2, -1
	s_cmp_lg_u32 s2, 0
	s_cselect_b32 s2, s19, s11
	s_cselect_b32 s11, s20, s13
	s_cmp_ge_u32 s12, s29
	s_cselect_b32 s12, -1, 0
	s_cmp_eq_u32 s3, 0
	s_cselect_b32 s3, s12, -1
	s_delay_alu instid0(SALU_CYCLE_1) | instskip(SKIP_2) | instid1(SALU_CYCLE_1)
	s_cmp_lg_u32 s3, 0
	s_cselect_b32 s3, s11, s10
	s_cselect_b32 s2, s2, s7
	s_xor_b64 s[2:3], s[2:3], s[8:9]
	s_delay_alu instid0(SALU_CYCLE_1)
	s_sub_u32 s2, s2, s8
	s_subb_u32 s3, s3, s8
	s_cbranch_execnz .LBB5_5
.LBB5_4:
	v_cvt_f32_u32_e32 v1, s29
	s_sub_i32 s3, 0, s29
	s_delay_alu instid0(VALU_DEP_1) | instskip(SKIP_2) | instid1(VALU_DEP_1)
	v_rcp_iflag_f32_e32 v1, v1
	s_waitcnt_depctr 0xfff
	v_mul_f32_e32 v1, 0x4f7ffffe, v1
	v_cvt_u32_f32_e32 v1, v1
	s_delay_alu instid0(VALU_DEP_1) | instskip(NEXT) | instid1(VALU_DEP_1)
	v_readfirstlane_b32 s2, v1
	s_mul_i32 s3, s3, s2
	s_delay_alu instid0(SALU_CYCLE_1) | instskip(NEXT) | instid1(SALU_CYCLE_1)
	s_mul_hi_u32 s3, s2, s3
	s_add_i32 s2, s2, s3
	s_delay_alu instid0(SALU_CYCLE_1) | instskip(NEXT) | instid1(SALU_CYCLE_1)
	s_mul_hi_u32 s2, s6, s2
	s_mul_i32 s3, s2, s29
	s_delay_alu instid0(SALU_CYCLE_1)
	s_sub_i32 s3, s6, s3
	s_add_i32 s6, s2, 1
	s_sub_i32 s7, s3, s29
	s_cmp_ge_u32 s3, s29
	s_cselect_b32 s2, s6, s2
	s_cselect_b32 s3, s7, s3
	s_add_i32 s6, s2, 1
	s_cmp_ge_u32 s3, s29
	s_mov_b32 s3, 0
	s_cselect_b32 s2, s6, s2
.LBB5_5:
	v_mov_b32_e32 v13, 0
	s_add_u32 s2, s2, 1
	s_addc_u32 s3, s3, 0
	s_mul_hi_u32 s5, s5, s4
	s_mul_hi_u32 s6, s28, s2
	v_mov_b32_e32 v1, v13
	s_mul_i32 s3, s28, s3
	s_mul_i32 s5, s5, s2
	s_add_i32 s3, s6, s3
	s_mul_i32 s2, s28, s2
	v_mad_u64_u32 v[15:16], null, s4, s15, v[0:1]
	s_add_i32 s3, s3, s5
	s_mov_b32 s4, exec_lo
	s_lshl_b64 s[2:3], s[2:3], 1
	s_delay_alu instid0(VALU_DEP_1) | instid1(SALU_CYCLE_1)
	v_cmpx_gt_i64_e64 s[2:3], v[15:16]
	s_cbranch_execz .LBB5_56
; %bb.6:
	v_alignbit_b32 v19, v3, v2, 2
	v_mad_u64_u32 v[4:5], null, 0xcd9e8d57, v15, 0
	v_lshrrev_b32_e32 v20, 2, v3
	s_waitcnt vmcnt(0)
	v_dual_mov_b32 v9, v12 :: v_dual_add_nc_u32 v30, 0x8ff34781, v11
	v_mad_u64_u32 v[0:1], null, 0xd2511f53, v19, 0
	v_add_co_u32 v22, null, 0x9e3779b9, v11
	v_xor3_b32 v3, v11, v5, v20
	s_delay_alu instid0(VALU_DEP_4) | instskip(SKIP_2) | instid1(VALU_DEP_4)
	v_add_co_u32 v21, null, 0xbb67ae85, v9
	v_add_co_u32 v23, null, 0x3c6ef372, v11
	v_xor_b32_e32 v1, v1, v12
	v_mad_u64_u32 v[5:6], null, 0xd2511f53, v3, 0
	v_add_co_u32 v24, null, 0x76cf5d0a, v9
	s_delay_alu instid0(VALU_DEP_3) | instskip(SKIP_2) | instid1(VALU_DEP_3)
	v_xor_b32_e32 v1, v1, v16
	v_add_co_u32 v25, null, 0x32370b8f, v9
	v_add_co_u32 v26, null, 0xdaa66d2b, v11
	v_mad_u64_u32 v[7:8], null, 0xcd9e8d57, v1, 0
	v_xor3_b32 v3, v21, v6, v0
	v_add_co_u32 v27, null, 0x78dde6e4, v11
	v_add_co_u32 v28, null, 0xed9eba14, v9
	s_delay_alu instid0(VALU_DEP_3) | instskip(SKIP_3) | instid1(VALU_DEP_3)
	v_mad_u64_u32 v[0:1], null, 0xcd9e8d57, v3, 0
	v_xor3_b32 v6, v22, v8, v4
	v_dual_mov_b32 v40, v15 :: v_dual_and_b32 v29, 3, v2
	v_add_co_u32 v31, null, 0xa9066899, v9
	v_mad_u64_u32 v[3:4], null, 0xd2511f53, v6, 0
	v_xor3_b32 v1, v23, v1, v7
	v_add_co_u32 v32, null, 0x1715609d, v11
	v_add_co_u32 v34, null, 0xb54cda56, v11
	;; [unrolled: 1-line block ×3, first 2 shown]
	v_xor3_b32 v8, v24, v4, v5
	v_mad_u64_u32 v[4:5], null, 0xd2511f53, v1, 0
	s_load_b256 s[4:11], s[0:1], 0x30
	v_add_co_u32 v33, null, 0x5384540f, v11
	s_delay_alu instid0(VALU_DEP_3) | instskip(SKIP_1) | instid1(VALU_DEP_4)
	v_mad_u64_u32 v[6:7], null, 0xcd9e8d57, v8, 0
	v_add_co_u32 v37, null, 0x1fd5c5a3, v9
	v_xor3_b32 v3, v25, v5, v3
	v_add_co_u32 v35, null, 0xf1bbcdc8, v11
	v_add_co_u32 v38, null, 0xdb3d7428, v9
	v_xor3_b32 v5, v26, v7, v0
	s_delay_alu instid0(VALU_DEP_4) | instskip(SKIP_2) | instid1(VALU_DEP_2)
	v_mad_u64_u32 v[0:1], null, 0xcd9e8d57, v3, 0
	s_add_u32 s18, s0, 48
	s_load_b64 s[20:21], s[0:1], 0x148
	v_mad_u64_u32 v[7:8], null, 0xd2511f53, v5, 0
	s_clause 0x1
	s_load_b64 s[22:23], s[0:1], 0xf4
	s_load_b128 s[12:15], s[0:1], 0x138
	s_addc_u32 s19, s1, 0
	v_xor3_b32 v3, v27, v1, v6
	s_waitcnt lgkmcnt(0)
	s_add_i32 s26, s4, -1
	v_add_nc_u32_e32 v39, 0x96a522ad, v12
	s_cmp_gt_u32 s26, 1
	v_xor3_b32 v5, v28, v8, v4
	v_mad_u64_u32 v[1:2], null, 0xd2511f53, v3, 0
	s_cselect_b32 s11, -1, 0
	s_cmp_lg_u32 s4, 0
	s_delay_alu instid0(VALU_DEP_2) | instskip(SKIP_2) | instid1(VALU_DEP_2)
	v_mad_u64_u32 v[3:4], null, 0xcd9e8d57, v5, 0
	s_cselect_b32 s21, -1, 0
	s_add_u32 s24, s0, 0xf4
	v_xor3_b32 v2, v31, v2, v7
	s_addc_u32 s25, s1, 0
	s_min_u32 s0, s26, 15
	s_cmp_gt_u32 s4, 1
	s_delay_alu instid0(VALU_DEP_2) | instskip(SKIP_3) | instid1(VALU_DEP_2)
	v_xor3_b32 v0, v32, v4, v0
	v_mad_u64_u32 v[4:5], null, 0xcd9e8d57, v2, 0
	s_cselect_b32 s4, -1, 0
	s_add_i32 s0, s0, 1
	v_mad_u64_u32 v[6:7], null, 0xd2511f53, v0, 0
	s_and_b32 s31, s0, 3
	s_cmp_lg_u32 s26, 2
	s_delay_alu instid0(VALU_DEP_2) | instskip(SKIP_3) | instid1(VALU_DEP_3)
	v_xor3_b32 v2, v34, v5, v3
	s_cselect_b32 s33, -1, 0
	s_and_b32 s34, s0, 28
	v_mov_b32_e32 v41, v16
	v_xor3_b32 v5, v36, v7, v1
	v_mad_u64_u32 v[0:1], null, 0xd2511f53, v2, 0
	s_cmp_lg_u32 s31, 0
	s_mov_b32 s30, 0
	s_delay_alu instid0(VALU_DEP_2) | instskip(SKIP_1) | instid1(VALU_DEP_2)
	v_mad_u64_u32 v[2:3], null, 0xcd9e8d57, v5, 0
	s_cselect_b32 s35, -1, 0
	v_xor3_b32 v1, v37, v1, v6
	s_delay_alu instid0(VALU_DEP_2) | instskip(NEXT) | instid1(VALU_DEP_2)
	v_xor3_b32 v3, v33, v3, v4
	v_mad_u64_u32 v[4:5], null, 0xcd9e8d57, v1, 0
	s_delay_alu instid0(VALU_DEP_2) | instskip(NEXT) | instid1(VALU_DEP_2)
	v_mad_u64_u32 v[6:7], null, 0xd2511f53, v3, 0
	v_xor3_b32 v1, v35, v5, v2
	s_delay_alu instid0(VALU_DEP_2) | instskip(NEXT) | instid1(VALU_DEP_2)
	v_xor3_b32 v0, v38, v7, v0
	v_mad_u64_u32 v[7:8], null, 0xd2511f53, v1, 0
	s_delay_alu instid0(VALU_DEP_2) | instskip(NEXT) | instid1(VALU_DEP_2)
	v_mad_u64_u32 v[1:2], null, 0xcd9e8d57, v0, 0
	v_mov_b32_e32 v3, v7
	s_delay_alu instid0(VALU_DEP_2) | instskip(NEXT) | instid1(VALU_DEP_4)
	v_xor3_b32 v0, v2, v4, v30
	v_xor3_b32 v2, v8, v6, v39
	s_branch .LBB5_9
.LBB5_7:                                ;   in Loop: Header=BB5_9 Depth=1
	s_or_b32 exec_lo, exec_lo, s0
	s_delay_alu instid0(VALU_DEP_1)
	v_add_nc_u32_e32 v0, s20, v8
	global_store_b8 v7, v0, s[12:13]
.LBB5_8:                                ;   in Loop: Header=BB5_9 Depth=1
	s_or_b32 exec_lo, exec_lo, s36
	v_add_co_u32 v15, vcc_lo, v15, s29
	v_add_co_ci_u32_e32 v16, vcc_lo, 0, v16, vcc_lo
	v_mov_b32_e32 v7, v17
	v_dual_mov_b32 v0, v4 :: v_dual_mov_b32 v1, v5
	s_delay_alu instid0(VALU_DEP_3) | instskip(NEXT) | instid1(VALU_DEP_3)
	v_cmp_le_i64_e32 vcc_lo, s[2:3], v[15:16]
	v_dual_mov_b32 v2, v6 :: v_dual_mov_b32 v3, v7
	s_waitcnt_vscnt null, 0x0
	s_barrier
	buffer_gl0_inv
	s_or_b32 s30, vcc_lo, s30
	s_delay_alu instid0(SALU_CYCLE_1)
	s_and_not1_b32 exec_lo, exec_lo, s30
	s_cbranch_execz .LBB5_56
.LBB5_9:                                ; =>This Loop Header: Depth=1
                                        ;     Child Loop BB5_24 Depth 2
                                        ;     Child Loop BB5_29 Depth 2
                                        ;     Child Loop BB5_43 Depth 2
                                        ;     Child Loop BB5_48 Depth 2
	v_add_co_u32 v19, vcc_lo, v19, 1
	s_delay_alu instid0(VALU_DEP_1) | instskip(SKIP_2) | instid1(VALU_DEP_1)
	v_cndmask_b32_e64 v4, 0, 1, vcc_lo
	v_add_co_ci_u32_e32 v20, vcc_lo, 0, v20, vcc_lo
	s_mov_b32 s0, exec_lo
	v_cmp_eq_u32_e32 vcc_lo, 0, v20
	s_delay_alu instid0(VALU_DEP_3) | instskip(NEXT) | instid1(VALU_DEP_1)
	v_cndmask_b32_e32 v4, 0, v4, vcc_lo
	v_add_nc_u32_e32 v40, v4, v40
	s_delay_alu instid0(VALU_DEP_1) | instskip(SKIP_2) | instid1(VALU_DEP_2)
	v_cmp_eq_u32_e32 vcc_lo, 0, v40
	v_mad_u64_u32 v[6:7], null, 0xcd9e8d57, v40, 0
	v_cndmask_b32_e32 v4, 0, v4, vcc_lo
	v_xor3_b32 v9, v7, v11, v20
	s_delay_alu instid0(VALU_DEP_2) | instskip(SKIP_1) | instid1(VALU_DEP_3)
	v_add_nc_u32_e32 v41, v4, v41
	v_mad_u64_u32 v[4:5], null, 0xd2511f53, v19, 0
	v_mad_u64_u32 v[7:8], null, 0xd2511f53, v9, 0
	s_delay_alu instid0(VALU_DEP_2) | instskip(NEXT) | instid1(VALU_DEP_2)
	v_xor_b32_e32 v5, v5, v12
	v_xor3_b32 v8, v21, v8, v4
	s_delay_alu instid0(VALU_DEP_2) | instskip(NEXT) | instid1(VALU_DEP_1)
	v_xor_b32_e32 v5, v41, v5
	v_mad_u64_u32 v[9:10], null, 0xcd9e8d57, v5, 0
	s_delay_alu instid0(VALU_DEP_3) | instskip(NEXT) | instid1(VALU_DEP_2)
	v_mad_u64_u32 v[4:5], null, 0xcd9e8d57, v8, 0
	v_xor3_b32 v6, v22, v10, v6
	s_delay_alu instid0(VALU_DEP_2) | instskip(NEXT) | instid1(VALU_DEP_2)
	v_xor3_b32 v8, v23, v5, v9
	v_mad_u64_u32 v[17:18], null, 0xd2511f53, v6, 0
	s_delay_alu instid0(VALU_DEP_2) | instskip(NEXT) | instid1(VALU_DEP_2)
	v_mad_u64_u32 v[5:6], null, 0xd2511f53, v8, 0
	v_xor3_b32 v9, v24, v18, v7
	s_delay_alu instid0(VALU_DEP_2) | instskip(NEXT) | instid1(VALU_DEP_2)
	v_xor3_b32 v6, v25, v6, v17
	v_mad_u64_u32 v[7:8], null, 0xcd9e8d57, v9, 0
	s_delay_alu instid0(VALU_DEP_1) | instskip(NEXT) | instid1(VALU_DEP_3)
	v_xor3_b32 v4, v26, v8, v4
	v_mad_u64_u32 v[8:9], null, 0xcd9e8d57, v6, 0
	s_delay_alu instid0(VALU_DEP_2) | instskip(NEXT) | instid1(VALU_DEP_2)
	v_mad_u64_u32 v[17:18], null, 0xd2511f53, v4, 0
	v_xor3_b32 v6, v27, v9, v7
	s_delay_alu instid0(VALU_DEP_2) | instskip(NEXT) | instid1(VALU_DEP_2)
	v_xor3_b32 v9, v28, v18, v5
	v_mad_u64_u32 v[4:5], null, 0xd2511f53, v6, 0
	s_delay_alu instid0(VALU_DEP_2) | instskip(NEXT) | instid1(VALU_DEP_2)
	v_mad_u64_u32 v[6:7], null, 0xcd9e8d57, v9, 0
	v_xor3_b32 v5, v31, v5, v17
	s_delay_alu instid0(VALU_DEP_2) | instskip(NEXT) | instid1(VALU_DEP_2)
	;; [unrolled: 6-line block ×6, first 2 shown]
	v_xor3_b32 v4, v6, v7, v30
	v_mov_b32_e32 v6, v10
	v_cmpx_lt_i32_e32 1, v29
	s_xor_b32 s0, exec_lo, s0
	s_cbranch_execnz .LBB5_12
; %bb.10:                               ;   in Loop: Header=BB5_9 Depth=1
	s_and_not1_saveexec_b32 s0, s0
	s_cbranch_execnz .LBB5_17
.LBB5_11:                               ;   in Loop: Header=BB5_9 Depth=1
	s_or_b32 exec_lo, exec_lo, s0
	s_delay_alu instid0(SALU_CYCLE_1)
	s_mov_b32 s36, exec_lo
	v_cmpx_gt_i64_e64 s[16:17], v[15:16]
	s_cbranch_execnz .LBB5_20
	s_branch .LBB5_38
.LBB5_12:                               ;   in Loop: Header=BB5_9 Depth=1
	s_mov_b32 s1, exec_lo
	v_cmpx_lt_i32_e32 2, v29
	s_xor_b32 s1, exec_lo, s1
; %bb.13:                               ;   in Loop: Header=BB5_9 Depth=1
	v_dual_mov_b32 v7, v3 :: v_dual_mov_b32 v8, v4
	v_mov_b32_e32 v9, v5
	s_delay_alu instid0(VALU_DEP_2) | instskip(NEXT) | instid1(VALU_DEP_2)
	v_dual_mov_b32 v0, v7 :: v_dual_mov_b32 v1, v8
	v_dual_mov_b32 v2, v9 :: v_dual_mov_b32 v3, v10
; %bb.14:                               ;   in Loop: Header=BB5_9 Depth=1
	s_and_not1_saveexec_b32 s1, s1
; %bb.15:                               ;   in Loop: Header=BB5_9 Depth=1
	s_delay_alu instid0(VALU_DEP_1)
	v_dual_mov_b32 v0, v2 :: v_dual_mov_b32 v1, v3
	v_dual_mov_b32 v2, v4 :: v_dual_mov_b32 v3, v5
; %bb.16:                               ;   in Loop: Header=BB5_9 Depth=1
	s_or_b32 exec_lo, exec_lo, s1
	s_and_not1_saveexec_b32 s0, s0
	s_cbranch_execz .LBB5_11
.LBB5_17:                               ;   in Loop: Header=BB5_9 Depth=1
	s_mov_b32 s1, exec_lo
	v_cmpx_eq_u32_e32 1, v29
; %bb.18:                               ;   in Loop: Header=BB5_9 Depth=1
	v_dual_mov_b32 v0, v1 :: v_dual_mov_b32 v1, v2
	v_dual_mov_b32 v2, v3 :: v_dual_mov_b32 v3, v4
; %bb.19:                               ;   in Loop: Header=BB5_9 Depth=1
	s_or_b32 exec_lo, exec_lo, s1
	s_delay_alu instid0(SALU_CYCLE_1) | instskip(NEXT) | instid1(SALU_CYCLE_1)
	s_or_b32 exec_lo, exec_lo, s0
	s_mov_b32 s36, exec_lo
	v_cmpx_gt_i64_e64 s[16:17], v[15:16]
	s_cbranch_execz .LBB5_38
.LBB5_20:                               ;   in Loop: Header=BB5_9 Depth=1
	s_and_not1_b32 vcc_lo, exec_lo, s11
	s_cbranch_vccnz .LBB5_26
; %bb.21:                               ;   in Loop: Header=BB5_9 Depth=1
	v_mov_b32_e32 v7, 0
	s_and_not1_b32 vcc_lo, exec_lo, s21
	s_cbranch_vccnz .LBB5_30
; %bb.22:                               ;   in Loop: Header=BB5_9 Depth=1
	s_and_not1_b32 vcc_lo, exec_lo, s33
	s_mov_b32 s0, 0
	s_cbranch_vccnz .LBB5_27
; %bb.23:                               ;   in Loop: Header=BB5_9 Depth=1
	v_dual_mov_b32 v7, 0 :: v_dual_mov_b32 v8, v15
	s_mov_b32 s37, 0
	s_mov_b64 s[0:1], s[18:19]
	s_mov_b64 s[26:27], s[24:25]
.LBB5_24:                               ;   Parent Loop BB5_9 Depth=1
                                        ; =>  This Inner Loop Header: Depth=2
	s_clause 0x1
	s_load_b256 s[40:47], s[0:1], 0x4
	s_load_b128 s[48:51], s[0:1], 0x24
	s_load_b128 s[52:55], s[26:27], 0x0
	s_add_u32 s0, s0, 48
	s_addc_u32 s1, s1, 0
	s_add_i32 s37, s37, 4
	s_add_u32 s26, s26, 16
	s_addc_u32 s27, s27, 0
	s_cmp_lg_u32 s34, s37
	s_waitcnt lgkmcnt(0)
	v_mul_hi_u32 v9, s41, v8
	s_delay_alu instid0(VALU_DEP_1) | instskip(NEXT) | instid1(VALU_DEP_1)
	v_add_nc_u32_e32 v9, v8, v9
	v_lshrrev_b32_e32 v9, s42, v9
	s_delay_alu instid0(VALU_DEP_1) | instskip(SKIP_1) | instid1(VALU_DEP_2)
	v_mul_hi_u32 v10, s44, v9
	v_mul_lo_u32 v42, v9, s40
	v_add_nc_u32_e32 v10, v9, v10
	s_delay_alu instid0(VALU_DEP_2) | instskip(NEXT) | instid1(VALU_DEP_2)
	v_sub_nc_u32_e32 v42, v8, v42
	v_lshrrev_b32_e32 v10, s45, v10
	s_delay_alu instid0(VALU_DEP_2) | instskip(NEXT) | instid1(VALU_DEP_2)
	v_mul_lo_u32 v42, v42, s52
	v_mul_hi_u32 v14, s47, v10
	v_mul_lo_u32 v43, v10, s43
	s_delay_alu instid0(VALU_DEP_2) | instskip(NEXT) | instid1(VALU_DEP_2)
	v_add_nc_u32_e32 v14, v10, v14
	v_sub_nc_u32_e32 v9, v9, v43
	s_delay_alu instid0(VALU_DEP_2) | instskip(NEXT) | instid1(VALU_DEP_2)
	v_lshrrev_b32_e32 v14, s48, v14
	v_mul_lo_u32 v9, v9, s53
	s_delay_alu instid0(VALU_DEP_2) | instskip(NEXT) | instid1(VALU_DEP_2)
	v_mul_hi_u32 v18, s50, v14
	v_add3_u32 v7, v42, v7, v9
	s_delay_alu instid0(VALU_DEP_2) | instskip(NEXT) | instid1(VALU_DEP_1)
	v_add_nc_u32_e32 v18, v14, v18
	v_lshrrev_b32_e32 v8, s51, v18
	v_mul_lo_u32 v18, v14, s46
	s_delay_alu instid0(VALU_DEP_2) | instskip(NEXT) | instid1(VALU_DEP_2)
	v_mul_lo_u32 v44, v8, s49
	v_sub_nc_u32_e32 v10, v10, v18
	s_delay_alu instid0(VALU_DEP_2) | instskip(NEXT) | instid1(VALU_DEP_2)
	v_sub_nc_u32_e32 v14, v14, v44
	v_mul_lo_u32 v10, v10, s54
	s_delay_alu instid0(VALU_DEP_2) | instskip(NEXT) | instid1(VALU_DEP_1)
	v_mul_lo_u32 v14, v14, s55
	v_add3_u32 v7, v10, v7, v14
	s_cbranch_scc1 .LBB5_24
; %bb.25:                               ;   in Loop: Header=BB5_9 Depth=1
	s_mov_b32 s0, s34
	s_and_not1_b32 vcc_lo, exec_lo, s35
	s_cbranch_vccz .LBB5_28
	s_branch .LBB5_30
.LBB5_26:                               ;   in Loop: Header=BB5_9 Depth=1
                                        ; implicit-def: $vgpr7
	s_branch .LBB5_31
.LBB5_27:                               ;   in Loop: Header=BB5_9 Depth=1
	v_mov_b32_e32 v8, v15
	s_and_not1_b32 vcc_lo, exec_lo, s35
	s_cbranch_vccnz .LBB5_30
.LBB5_28:                               ;   in Loop: Header=BB5_9 Depth=1
	s_lshl_b32 s1, s0, 2
	s_mul_i32 s26, s0, 12
	s_add_u32 s0, s24, s1
	s_addc_u32 s1, s25, 0
	s_add_u32 s26, s18, s26
	s_addc_u32 s27, s19, 0
	s_mov_b32 s37, s31
	.p2align	6
.LBB5_29:                               ;   Parent Loop BB5_9 Depth=1
                                        ; =>  This Inner Loop Header: Depth=2
	s_clause 0x1
	s_load_b64 s[38:39], s[26:27], 0x4
	s_load_b32 s40, s[26:27], 0xc
	s_add_u32 s26, s26, 12
	s_addc_u32 s27, s27, 0
	s_waitcnt lgkmcnt(0)
	v_mul_hi_u32 v9, s39, v8
	s_load_b32 s39, s[0:1], 0x0
	s_add_u32 s0, s0, 4
	s_addc_u32 s1, s1, 0
	s_add_i32 s37, s37, -1
	s_delay_alu instid0(SALU_CYCLE_1) | instskip(NEXT) | instid1(VALU_DEP_1)
	s_cmp_lg_u32 s37, 0
	v_add_nc_u32_e32 v9, v8, v9
	s_delay_alu instid0(VALU_DEP_1) | instskip(NEXT) | instid1(VALU_DEP_1)
	v_lshrrev_b32_e32 v14, s40, v9
	v_mul_lo_u32 v9, v14, s38
	s_delay_alu instid0(VALU_DEP_1) | instskip(SKIP_1) | instid1(VALU_DEP_1)
	v_sub_nc_u32_e32 v8, v8, v9
	s_waitcnt lgkmcnt(0)
	v_mad_u64_u32 v[9:10], null, v8, s39, v[7:8]
	s_delay_alu instid0(VALU_DEP_1)
	v_dual_mov_b32 v8, v14 :: v_dual_mov_b32 v7, v9
	s_cbranch_scc1 .LBB5_29
.LBB5_30:                               ;   in Loop: Header=BB5_9 Depth=1
	s_cbranch_execnz .LBB5_33
.LBB5_31:                               ;   in Loop: Header=BB5_9 Depth=1
	v_mul_hi_u32 v7, v15, s6
	s_and_not1_b32 vcc_lo, exec_lo, s4
	s_delay_alu instid0(VALU_DEP_1) | instskip(NEXT) | instid1(VALU_DEP_1)
	v_add_nc_u32_e32 v7, v7, v15
	v_lshrrev_b32_e32 v8, s7, v7
	s_delay_alu instid0(VALU_DEP_1) | instskip(NEXT) | instid1(VALU_DEP_1)
	v_mul_lo_u32 v7, v8, s5
	v_sub_nc_u32_e32 v7, v15, v7
	s_delay_alu instid0(VALU_DEP_1)
	v_mul_lo_u32 v7, v7, s22
	s_cbranch_vccnz .LBB5_33
; %bb.32:                               ;   in Loop: Header=BB5_9 Depth=1
	v_mul_hi_u32 v9, s9, v8
	s_delay_alu instid0(VALU_DEP_1) | instskip(NEXT) | instid1(VALU_DEP_1)
	v_add_nc_u32_e32 v9, v8, v9
	v_lshrrev_b32_e32 v9, s10, v9
	s_delay_alu instid0(VALU_DEP_1) | instskip(NEXT) | instid1(VALU_DEP_1)
	v_mul_lo_u32 v9, v9, s8
	v_sub_nc_u32_e32 v10, v8, v9
	s_delay_alu instid0(VALU_DEP_1) | instskip(NEXT) | instid1(VALU_DEP_1)
	v_mad_u64_u32 v[8:9], null, v10, s23, v[7:8]
	v_mov_b32_e32 v7, v8
.LBB5_33:                               ;   in Loop: Header=BB5_9 Depth=1
	v_or_b32_e32 v14, s15, v0
                                        ; implicit-def: $vgpr8_vgpr9
	s_mov_b32 s0, exec_lo
	s_delay_alu instid0(VALU_DEP_1)
	v_cmpx_ne_u64_e32 0, v[13:14]
	s_xor_b32 s1, exec_lo, s0
	s_cbranch_execz .LBB5_35
; %bb.34:                               ;   in Loop: Header=BB5_9 Depth=1
	v_cvt_f32_u32_e32 v8, s14
	v_cvt_f32_u32_e32 v9, s15
	s_sub_u32 s0, 0, s14
	s_subb_u32 s26, 0, s15
	s_delay_alu instid0(VALU_DEP_1) | instskip(NEXT) | instid1(VALU_DEP_1)
	v_fmac_f32_e32 v8, 0x4f800000, v9
	v_rcp_f32_e32 v8, v8
	s_waitcnt_depctr 0xfff
	v_mul_f32_e32 v8, 0x5f7ffffc, v8
	s_delay_alu instid0(VALU_DEP_1) | instskip(NEXT) | instid1(VALU_DEP_1)
	v_mul_f32_e32 v9, 0x2f800000, v8
	v_trunc_f32_e32 v9, v9
	s_delay_alu instid0(VALU_DEP_1) | instskip(SKIP_1) | instid1(VALU_DEP_2)
	v_fmac_f32_e32 v8, 0xcf800000, v9
	v_cvt_u32_f32_e32 v9, v9
	v_cvt_u32_f32_e32 v8, v8
	s_delay_alu instid0(VALU_DEP_2) | instskip(NEXT) | instid1(VALU_DEP_2)
	v_mul_lo_u32 v10, s0, v9
	v_mul_hi_u32 v14, s0, v8
	v_mul_lo_u32 v18, s26, v8
	s_delay_alu instid0(VALU_DEP_2) | instskip(SKIP_1) | instid1(VALU_DEP_2)
	v_add_nc_u32_e32 v10, v14, v10
	v_mul_lo_u32 v14, s0, v8
	v_add_nc_u32_e32 v10, v10, v18
	s_delay_alu instid0(VALU_DEP_2) | instskip(NEXT) | instid1(VALU_DEP_2)
	v_mul_hi_u32 v18, v8, v14
	v_mul_lo_u32 v42, v8, v10
	v_mul_hi_u32 v43, v8, v10
	v_mul_hi_u32 v44, v9, v14
	v_mul_lo_u32 v14, v9, v14
	v_mul_hi_u32 v45, v9, v10
	v_mul_lo_u32 v10, v9, v10
	v_add_co_u32 v18, vcc_lo, v18, v42
	v_add_co_ci_u32_e32 v42, vcc_lo, 0, v43, vcc_lo
	s_delay_alu instid0(VALU_DEP_2) | instskip(NEXT) | instid1(VALU_DEP_2)
	v_add_co_u32 v14, vcc_lo, v18, v14
	v_add_co_ci_u32_e32 v14, vcc_lo, v42, v44, vcc_lo
	v_add_co_ci_u32_e32 v18, vcc_lo, 0, v45, vcc_lo
	s_delay_alu instid0(VALU_DEP_2) | instskip(NEXT) | instid1(VALU_DEP_2)
	v_add_co_u32 v10, vcc_lo, v14, v10
	v_add_co_ci_u32_e32 v14, vcc_lo, 0, v18, vcc_lo
	s_delay_alu instid0(VALU_DEP_2) | instskip(NEXT) | instid1(VALU_DEP_2)
	v_add_co_u32 v8, vcc_lo, v8, v10
	v_add_co_ci_u32_e32 v9, vcc_lo, v9, v14, vcc_lo
	s_delay_alu instid0(VALU_DEP_2) | instskip(SKIP_1) | instid1(VALU_DEP_3)
	v_mul_hi_u32 v10, s0, v8
	v_mul_lo_u32 v18, s26, v8
	v_mul_lo_u32 v14, s0, v9
	s_delay_alu instid0(VALU_DEP_1) | instskip(SKIP_1) | instid1(VALU_DEP_2)
	v_add_nc_u32_e32 v10, v10, v14
	v_mul_lo_u32 v14, s0, v8
	v_add_nc_u32_e32 v10, v10, v18
	s_delay_alu instid0(VALU_DEP_2) | instskip(NEXT) | instid1(VALU_DEP_2)
	v_mul_hi_u32 v18, v8, v14
	v_mul_lo_u32 v42, v8, v10
	v_mul_hi_u32 v43, v8, v10
	v_mul_hi_u32 v44, v9, v14
	v_mul_lo_u32 v14, v9, v14
	v_mul_hi_u32 v45, v9, v10
	v_mul_lo_u32 v10, v9, v10
	v_add_co_u32 v18, vcc_lo, v18, v42
	v_add_co_ci_u32_e32 v42, vcc_lo, 0, v43, vcc_lo
	s_delay_alu instid0(VALU_DEP_2) | instskip(NEXT) | instid1(VALU_DEP_2)
	v_add_co_u32 v14, vcc_lo, v18, v14
	v_add_co_ci_u32_e32 v14, vcc_lo, v42, v44, vcc_lo
	v_add_co_ci_u32_e32 v18, vcc_lo, 0, v45, vcc_lo
	s_delay_alu instid0(VALU_DEP_2) | instskip(NEXT) | instid1(VALU_DEP_2)
	v_add_co_u32 v10, vcc_lo, v14, v10
	v_add_co_ci_u32_e32 v14, vcc_lo, 0, v18, vcc_lo
	s_delay_alu instid0(VALU_DEP_2) | instskip(NEXT) | instid1(VALU_DEP_2)
	v_add_co_u32 v10, vcc_lo, v8, v10
	v_add_co_ci_u32_e32 v14, vcc_lo, v9, v14, vcc_lo
	s_delay_alu instid0(VALU_DEP_2) | instskip(SKIP_1) | instid1(VALU_DEP_3)
	v_mul_hi_u32 v18, v1, v10
	v_mad_u64_u32 v[42:43], null, v0, v10, 0
	v_mad_u64_u32 v[8:9], null, v1, v14, 0
	;; [unrolled: 1-line block ×3, first 2 shown]
	s_delay_alu instid0(VALU_DEP_2) | instskip(NEXT) | instid1(VALU_DEP_3)
	v_add_co_u32 v8, vcc_lo, v18, v8
	v_add_co_ci_u32_e32 v9, vcc_lo, 0, v9, vcc_lo
	s_delay_alu instid0(VALU_DEP_2) | instskip(NEXT) | instid1(VALU_DEP_2)
	v_add_co_u32 v8, vcc_lo, v8, v42
	v_add_co_ci_u32_e32 v8, vcc_lo, v9, v43, vcc_lo
	v_add_co_ci_u32_e32 v9, vcc_lo, 0, v45, vcc_lo
	s_delay_alu instid0(VALU_DEP_2) | instskip(NEXT) | instid1(VALU_DEP_2)
	v_add_co_u32 v10, vcc_lo, v8, v44
	v_add_co_ci_u32_e32 v14, vcc_lo, 0, v9, vcc_lo
	s_delay_alu instid0(VALU_DEP_2) | instskip(SKIP_1) | instid1(VALU_DEP_3)
	v_mul_lo_u32 v18, s15, v10
	v_mad_u64_u32 v[8:9], null, s14, v10, 0
	v_mul_lo_u32 v10, s14, v14
	s_delay_alu instid0(VALU_DEP_2) | instskip(NEXT) | instid1(VALU_DEP_2)
	v_sub_co_u32 v8, vcc_lo, v1, v8
	v_add3_u32 v9, v9, v10, v18
	s_delay_alu instid0(VALU_DEP_1) | instskip(NEXT) | instid1(VALU_DEP_1)
	v_sub_nc_u32_e32 v10, v0, v9
	v_subrev_co_ci_u32_e64 v10, s0, s15, v10, vcc_lo
	s_delay_alu instid0(VALU_DEP_4) | instskip(SKIP_1) | instid1(VALU_DEP_3)
	v_sub_co_u32 v14, s0, v8, s14
	v_sub_co_ci_u32_e32 v0, vcc_lo, v0, v9, vcc_lo
	v_subrev_co_ci_u32_e64 v10, s0, 0, v10, s0
	s_delay_alu instid0(VALU_DEP_3) | instskip(SKIP_1) | instid1(VALU_DEP_3)
	v_cmp_le_u32_e32 vcc_lo, s14, v14
	v_cndmask_b32_e64 v9, 0, -1, vcc_lo
	v_cmp_le_u32_e32 vcc_lo, s15, v10
	v_cndmask_b32_e64 v18, 0, -1, vcc_lo
	;; [unrolled: 2-line block ×4, first 2 shown]
	v_cmp_eq_u32_e32 vcc_lo, s15, v10
	v_cndmask_b32_e32 v9, v18, v9, vcc_lo
	v_sub_co_u32 v10, vcc_lo, v14, s14
	v_cmp_eq_u32_e32 vcc_lo, s15, v0
	v_cndmask_b32_e32 v0, v43, v42, vcc_lo
	s_delay_alu instid0(VALU_DEP_4) | instskip(NEXT) | instid1(VALU_DEP_4)
	v_cmp_ne_u32_e32 vcc_lo, 0, v9
	v_cndmask_b32_e32 v9, v14, v10, vcc_lo
	s_delay_alu instid0(VALU_DEP_3) | instskip(NEXT) | instid1(VALU_DEP_2)
	v_cmp_ne_u32_e32 vcc_lo, 0, v0
	v_cndmask_b32_e32 v8, v8, v9, vcc_lo
.LBB5_35:                               ;   in Loop: Header=BB5_9 Depth=1
	s_and_not1_saveexec_b32 s0, s1
	s_cbranch_execz .LBB5_37
; %bb.36:                               ;   in Loop: Header=BB5_9 Depth=1
	v_cvt_f32_u32_e32 v0, s14
	s_sub_i32 s1, 0, s14
	s_delay_alu instid0(VALU_DEP_1) | instskip(SKIP_2) | instid1(VALU_DEP_1)
	v_rcp_iflag_f32_e32 v0, v0
	s_waitcnt_depctr 0xfff
	v_mul_f32_e32 v0, 0x4f7ffffe, v0
	v_cvt_u32_f32_e32 v0, v0
	s_delay_alu instid0(VALU_DEP_1) | instskip(NEXT) | instid1(VALU_DEP_1)
	v_mul_lo_u32 v8, s1, v0
	v_mul_hi_u32 v8, v0, v8
	s_delay_alu instid0(VALU_DEP_1) | instskip(NEXT) | instid1(VALU_DEP_1)
	v_add_nc_u32_e32 v0, v0, v8
	v_mul_hi_u32 v0, v1, v0
	s_delay_alu instid0(VALU_DEP_1) | instskip(NEXT) | instid1(VALU_DEP_1)
	v_mul_lo_u32 v0, v0, s14
	v_sub_nc_u32_e32 v0, v1, v0
	s_delay_alu instid0(VALU_DEP_1) | instskip(SKIP_1) | instid1(VALU_DEP_2)
	v_subrev_nc_u32_e32 v1, s14, v0
	v_cmp_le_u32_e32 vcc_lo, s14, v0
	v_cndmask_b32_e32 v0, v0, v1, vcc_lo
	s_delay_alu instid0(VALU_DEP_1) | instskip(SKIP_1) | instid1(VALU_DEP_2)
	v_subrev_nc_u32_e32 v1, s14, v0
	v_cmp_le_u32_e32 vcc_lo, s14, v0
	v_cndmask_b32_e32 v8, v0, v1, vcc_lo
.LBB5_37:                               ;   in Loop: Header=BB5_9 Depth=1
	s_or_b32 exec_lo, exec_lo, s0
	s_delay_alu instid0(VALU_DEP_1)
	v_add_nc_u32_e32 v0, s20, v8
	global_store_b8 v7, v0, s[12:13]
.LBB5_38:                               ;   in Loop: Header=BB5_9 Depth=1
	s_or_b32 exec_lo, exec_lo, s36
	v_add_co_u32 v0, vcc_lo, v15, s28
	v_add_co_ci_u32_e32 v1, vcc_lo, 0, v16, vcc_lo
	s_mov_b32 s36, exec_lo
	s_delay_alu instid0(VALU_DEP_1)
	v_cmpx_gt_i64_e64 s[16:17], v[0:1]
	s_cbranch_execz .LBB5_8
; %bb.39:                               ;   in Loop: Header=BB5_9 Depth=1
	s_and_not1_b32 vcc_lo, exec_lo, s11
	s_cbranch_vccnz .LBB5_45
; %bb.40:                               ;   in Loop: Header=BB5_9 Depth=1
	v_mov_b32_e32 v7, 0
	s_and_not1_b32 vcc_lo, exec_lo, s21
	s_cbranch_vccnz .LBB5_49
; %bb.41:                               ;   in Loop: Header=BB5_9 Depth=1
	s_and_not1_b32 vcc_lo, exec_lo, s33
	s_mov_b32 s0, 0
	s_cbranch_vccnz .LBB5_46
; %bb.42:                               ;   in Loop: Header=BB5_9 Depth=1
	v_mov_b32_e32 v7, 0
	v_mov_b32_e32 v1, v0
	s_mov_b32 s37, 0
	s_mov_b64 s[0:1], s[18:19]
	s_mov_b64 s[26:27], s[24:25]
.LBB5_43:                               ;   Parent Loop BB5_9 Depth=1
                                        ; =>  This Inner Loop Header: Depth=2
	s_clause 0x1
	s_load_b256 s[40:47], s[0:1], 0x4
	s_load_b128 s[48:51], s[0:1], 0x24
	s_load_b128 s[52:55], s[26:27], 0x0
	s_add_u32 s0, s0, 48
	s_addc_u32 s1, s1, 0
	s_add_i32 s37, s37, 4
	s_add_u32 s26, s26, 16
	s_addc_u32 s27, s27, 0
	s_cmp_eq_u32 s34, s37
	s_waitcnt lgkmcnt(0)
	v_mul_hi_u32 v8, s41, v1
	s_delay_alu instid0(VALU_DEP_1) | instskip(NEXT) | instid1(VALU_DEP_1)
	v_add_nc_u32_e32 v8, v1, v8
	v_lshrrev_b32_e32 v8, s42, v8
	s_delay_alu instid0(VALU_DEP_1) | instskip(SKIP_1) | instid1(VALU_DEP_2)
	v_mul_hi_u32 v9, s44, v8
	v_mul_lo_u32 v18, v8, s40
	v_add_nc_u32_e32 v9, v8, v9
	s_delay_alu instid0(VALU_DEP_2) | instskip(NEXT) | instid1(VALU_DEP_2)
	v_sub_nc_u32_e32 v18, v1, v18
	v_lshrrev_b32_e32 v9, s45, v9
	s_delay_alu instid0(VALU_DEP_2) | instskip(NEXT) | instid1(VALU_DEP_2)
	v_mul_lo_u32 v18, v18, s52
	v_mul_hi_u32 v10, s47, v9
	v_mul_lo_u32 v42, v9, s43
	s_delay_alu instid0(VALU_DEP_2) | instskip(NEXT) | instid1(VALU_DEP_2)
	v_add_nc_u32_e32 v10, v9, v10
	v_sub_nc_u32_e32 v8, v8, v42
	s_delay_alu instid0(VALU_DEP_2) | instskip(NEXT) | instid1(VALU_DEP_2)
	v_lshrrev_b32_e32 v10, s48, v10
	v_mul_lo_u32 v8, v8, s53
	s_delay_alu instid0(VALU_DEP_2) | instskip(NEXT) | instid1(VALU_DEP_2)
	v_mul_hi_u32 v14, s50, v10
	v_add3_u32 v7, v18, v7, v8
	s_delay_alu instid0(VALU_DEP_2) | instskip(NEXT) | instid1(VALU_DEP_1)
	v_add_nc_u32_e32 v14, v10, v14
	v_lshrrev_b32_e32 v1, s51, v14
	v_mul_lo_u32 v14, v10, s46
	s_delay_alu instid0(VALU_DEP_2) | instskip(NEXT) | instid1(VALU_DEP_2)
	v_mul_lo_u32 v43, v1, s49
	v_sub_nc_u32_e32 v9, v9, v14
	s_delay_alu instid0(VALU_DEP_2) | instskip(NEXT) | instid1(VALU_DEP_2)
	v_sub_nc_u32_e32 v10, v10, v43
	v_mul_lo_u32 v9, v9, s54
	s_delay_alu instid0(VALU_DEP_2) | instskip(NEXT) | instid1(VALU_DEP_1)
	v_mul_lo_u32 v10, v10, s55
	v_add3_u32 v7, v9, v7, v10
	s_cbranch_scc0 .LBB5_43
; %bb.44:                               ;   in Loop: Header=BB5_9 Depth=1
	s_mov_b32 s0, s34
	s_and_not1_b32 vcc_lo, exec_lo, s35
	s_cbranch_vccz .LBB5_47
	s_branch .LBB5_49
.LBB5_45:                               ;   in Loop: Header=BB5_9 Depth=1
                                        ; implicit-def: $vgpr7
	s_branch .LBB5_50
.LBB5_46:                               ;   in Loop: Header=BB5_9 Depth=1
	v_mov_b32_e32 v1, v0
	s_and_not1_b32 vcc_lo, exec_lo, s35
	s_cbranch_vccnz .LBB5_49
.LBB5_47:                               ;   in Loop: Header=BB5_9 Depth=1
	s_lshl_b32 s1, s0, 2
	s_mul_i32 s26, s0, 12
	s_add_u32 s0, s24, s1
	s_addc_u32 s1, s25, 0
	s_add_u32 s26, s18, s26
	s_addc_u32 s27, s19, 0
	s_mov_b32 s37, s31
	.p2align	6
.LBB5_48:                               ;   Parent Loop BB5_9 Depth=1
                                        ; =>  This Inner Loop Header: Depth=2
	s_clause 0x1
	s_load_b64 s[38:39], s[26:27], 0x4
	s_load_b32 s40, s[26:27], 0xc
	s_add_u32 s26, s26, 12
	s_addc_u32 s27, s27, 0
	s_waitcnt lgkmcnt(0)
	v_mul_hi_u32 v8, s39, v1
	s_load_b32 s39, s[0:1], 0x0
	s_add_u32 s0, s0, 4
	s_addc_u32 s1, s1, 0
	s_add_i32 s37, s37, -1
	s_delay_alu instid0(SALU_CYCLE_1) | instskip(NEXT) | instid1(VALU_DEP_1)
	s_cmp_lg_u32 s37, 0
	v_add_nc_u32_e32 v8, v1, v8
	s_delay_alu instid0(VALU_DEP_1) | instskip(NEXT) | instid1(VALU_DEP_1)
	v_lshrrev_b32_e32 v10, s40, v8
	v_mul_lo_u32 v8, v10, s38
	s_delay_alu instid0(VALU_DEP_1) | instskip(SKIP_1) | instid1(VALU_DEP_1)
	v_sub_nc_u32_e32 v1, v1, v8
	s_waitcnt lgkmcnt(0)
	v_mad_u64_u32 v[8:9], null, v1, s39, v[7:8]
	v_mov_b32_e32 v1, v10
	s_delay_alu instid0(VALU_DEP_2)
	v_mov_b32_e32 v7, v8
	s_cbranch_scc1 .LBB5_48
.LBB5_49:                               ;   in Loop: Header=BB5_9 Depth=1
	s_cbranch_execnz .LBB5_52
.LBB5_50:                               ;   in Loop: Header=BB5_9 Depth=1
	v_mul_hi_u32 v1, v0, s6
	s_and_not1_b32 vcc_lo, exec_lo, s4
	s_delay_alu instid0(VALU_DEP_1) | instskip(NEXT) | instid1(VALU_DEP_1)
	v_add_nc_u32_e32 v1, v1, v0
	v_lshrrev_b32_e32 v1, s7, v1
	s_delay_alu instid0(VALU_DEP_1) | instskip(NEXT) | instid1(VALU_DEP_1)
	v_mul_lo_u32 v7, v1, s5
	v_sub_nc_u32_e32 v0, v0, v7
	s_delay_alu instid0(VALU_DEP_1)
	v_mul_lo_u32 v7, v0, s22
	s_cbranch_vccnz .LBB5_52
; %bb.51:                               ;   in Loop: Header=BB5_9 Depth=1
	v_mul_hi_u32 v0, s9, v1
	s_delay_alu instid0(VALU_DEP_1) | instskip(NEXT) | instid1(VALU_DEP_1)
	v_add_nc_u32_e32 v0, v1, v0
	v_lshrrev_b32_e32 v0, s10, v0
	s_delay_alu instid0(VALU_DEP_1) | instskip(NEXT) | instid1(VALU_DEP_1)
	v_mul_lo_u32 v0, v0, s8
	v_sub_nc_u32_e32 v8, v1, v0
	s_delay_alu instid0(VALU_DEP_1) | instskip(NEXT) | instid1(VALU_DEP_1)
	v_mad_u64_u32 v[0:1], null, v8, s23, v[7:8]
	v_mov_b32_e32 v7, v0
.LBB5_52:                               ;   in Loop: Header=BB5_9 Depth=1
	v_or_b32_e32 v14, s15, v2
                                        ; implicit-def: $vgpr8_vgpr9
	s_mov_b32 s0, exec_lo
	s_delay_alu instid0(VALU_DEP_1)
	v_cmpx_ne_u64_e32 0, v[13:14]
	s_xor_b32 s1, exec_lo, s0
	s_cbranch_execz .LBB5_54
; %bb.53:                               ;   in Loop: Header=BB5_9 Depth=1
	v_cvt_f32_u32_e32 v0, s14
	v_cvt_f32_u32_e32 v1, s15
	s_sub_u32 s0, 0, s14
	s_subb_u32 s26, 0, s15
	s_delay_alu instid0(VALU_DEP_1) | instskip(NEXT) | instid1(VALU_DEP_1)
	v_fmac_f32_e32 v0, 0x4f800000, v1
	v_rcp_f32_e32 v0, v0
	s_waitcnt_depctr 0xfff
	v_mul_f32_e32 v0, 0x5f7ffffc, v0
	s_delay_alu instid0(VALU_DEP_1) | instskip(NEXT) | instid1(VALU_DEP_1)
	v_mul_f32_e32 v1, 0x2f800000, v0
	v_trunc_f32_e32 v1, v1
	s_delay_alu instid0(VALU_DEP_1) | instskip(SKIP_1) | instid1(VALU_DEP_2)
	v_fmac_f32_e32 v0, 0xcf800000, v1
	v_cvt_u32_f32_e32 v1, v1
	v_cvt_u32_f32_e32 v0, v0
	s_delay_alu instid0(VALU_DEP_2) | instskip(NEXT) | instid1(VALU_DEP_2)
	v_mul_lo_u32 v8, s0, v1
	v_mul_hi_u32 v9, s0, v0
	v_mul_lo_u32 v10, s26, v0
	s_delay_alu instid0(VALU_DEP_2) | instskip(SKIP_1) | instid1(VALU_DEP_2)
	v_add_nc_u32_e32 v8, v9, v8
	v_mul_lo_u32 v9, s0, v0
	v_add_nc_u32_e32 v8, v8, v10
	s_delay_alu instid0(VALU_DEP_2) | instskip(NEXT) | instid1(VALU_DEP_2)
	v_mul_hi_u32 v10, v0, v9
	v_mul_lo_u32 v14, v0, v8
	v_mul_hi_u32 v18, v0, v8
	v_mul_hi_u32 v42, v1, v9
	v_mul_lo_u32 v9, v1, v9
	v_mul_hi_u32 v43, v1, v8
	v_mul_lo_u32 v8, v1, v8
	v_add_co_u32 v10, vcc_lo, v10, v14
	v_add_co_ci_u32_e32 v14, vcc_lo, 0, v18, vcc_lo
	s_delay_alu instid0(VALU_DEP_2) | instskip(NEXT) | instid1(VALU_DEP_2)
	v_add_co_u32 v9, vcc_lo, v10, v9
	v_add_co_ci_u32_e32 v9, vcc_lo, v14, v42, vcc_lo
	v_add_co_ci_u32_e32 v10, vcc_lo, 0, v43, vcc_lo
	s_delay_alu instid0(VALU_DEP_2) | instskip(NEXT) | instid1(VALU_DEP_2)
	v_add_co_u32 v8, vcc_lo, v9, v8
	v_add_co_ci_u32_e32 v9, vcc_lo, 0, v10, vcc_lo
	s_delay_alu instid0(VALU_DEP_2) | instskip(NEXT) | instid1(VALU_DEP_2)
	v_add_co_u32 v0, vcc_lo, v0, v8
	v_add_co_ci_u32_e32 v1, vcc_lo, v1, v9, vcc_lo
	s_delay_alu instid0(VALU_DEP_2) | instskip(SKIP_1) | instid1(VALU_DEP_3)
	v_mul_hi_u32 v8, s0, v0
	v_mul_lo_u32 v10, s26, v0
	v_mul_lo_u32 v9, s0, v1
	s_delay_alu instid0(VALU_DEP_1) | instskip(SKIP_1) | instid1(VALU_DEP_2)
	v_add_nc_u32_e32 v8, v8, v9
	v_mul_lo_u32 v9, s0, v0
	v_add_nc_u32_e32 v8, v8, v10
	s_delay_alu instid0(VALU_DEP_2) | instskip(NEXT) | instid1(VALU_DEP_2)
	v_mul_hi_u32 v10, v0, v9
	v_mul_lo_u32 v14, v0, v8
	v_mul_hi_u32 v18, v0, v8
	v_mul_hi_u32 v42, v1, v9
	v_mul_lo_u32 v9, v1, v9
	v_mul_hi_u32 v43, v1, v8
	v_mul_lo_u32 v8, v1, v8
	v_add_co_u32 v10, vcc_lo, v10, v14
	v_add_co_ci_u32_e32 v14, vcc_lo, 0, v18, vcc_lo
	s_delay_alu instid0(VALU_DEP_2) | instskip(NEXT) | instid1(VALU_DEP_2)
	v_add_co_u32 v9, vcc_lo, v10, v9
	v_add_co_ci_u32_e32 v9, vcc_lo, v14, v42, vcc_lo
	v_add_co_ci_u32_e32 v10, vcc_lo, 0, v43, vcc_lo
	s_delay_alu instid0(VALU_DEP_2) | instskip(NEXT) | instid1(VALU_DEP_2)
	v_add_co_u32 v8, vcc_lo, v9, v8
	v_add_co_ci_u32_e32 v9, vcc_lo, 0, v10, vcc_lo
	s_delay_alu instid0(VALU_DEP_2) | instskip(NEXT) | instid1(VALU_DEP_2)
	v_add_co_u32 v10, vcc_lo, v0, v8
	v_add_co_ci_u32_e32 v14, vcc_lo, v1, v9, vcc_lo
	s_delay_alu instid0(VALU_DEP_2) | instskip(SKIP_1) | instid1(VALU_DEP_3)
	v_mul_hi_u32 v18, v3, v10
	v_mad_u64_u32 v[8:9], null, v2, v10, 0
	v_mad_u64_u32 v[0:1], null, v3, v14, 0
	;; [unrolled: 1-line block ×3, first 2 shown]
	s_delay_alu instid0(VALU_DEP_2) | instskip(NEXT) | instid1(VALU_DEP_3)
	v_add_co_u32 v0, vcc_lo, v18, v0
	v_add_co_ci_u32_e32 v1, vcc_lo, 0, v1, vcc_lo
	s_delay_alu instid0(VALU_DEP_2) | instskip(NEXT) | instid1(VALU_DEP_2)
	v_add_co_u32 v0, vcc_lo, v0, v8
	v_add_co_ci_u32_e32 v0, vcc_lo, v1, v9, vcc_lo
	v_add_co_ci_u32_e32 v1, vcc_lo, 0, v43, vcc_lo
	s_delay_alu instid0(VALU_DEP_2) | instskip(NEXT) | instid1(VALU_DEP_2)
	v_add_co_u32 v8, vcc_lo, v0, v42
	v_add_co_ci_u32_e32 v9, vcc_lo, 0, v1, vcc_lo
	s_delay_alu instid0(VALU_DEP_2) | instskip(SKIP_1) | instid1(VALU_DEP_3)
	v_mul_lo_u32 v10, s15, v8
	v_mad_u64_u32 v[0:1], null, s14, v8, 0
	v_mul_lo_u32 v8, s14, v9
	s_delay_alu instid0(VALU_DEP_2) | instskip(NEXT) | instid1(VALU_DEP_2)
	v_sub_co_u32 v0, vcc_lo, v3, v0
	v_add3_u32 v1, v1, v8, v10
	s_delay_alu instid0(VALU_DEP_1) | instskip(NEXT) | instid1(VALU_DEP_1)
	v_sub_nc_u32_e32 v8, v2, v1
	v_subrev_co_ci_u32_e64 v3, s0, s15, v8, vcc_lo
	s_delay_alu instid0(VALU_DEP_4) | instskip(SKIP_1) | instid1(VALU_DEP_3)
	v_sub_co_u32 v8, s0, v0, s14
	v_sub_co_ci_u32_e32 v1, vcc_lo, v2, v1, vcc_lo
	v_subrev_co_ci_u32_e64 v3, s0, 0, v3, s0
	s_delay_alu instid0(VALU_DEP_3) | instskip(SKIP_1) | instid1(VALU_DEP_3)
	v_cmp_le_u32_e32 vcc_lo, s14, v8
	v_cndmask_b32_e64 v2, 0, -1, vcc_lo
	v_cmp_le_u32_e32 vcc_lo, s15, v3
	v_cndmask_b32_e64 v9, 0, -1, vcc_lo
	v_cmp_le_u32_e32 vcc_lo, s14, v0
	v_cndmask_b32_e64 v10, 0, -1, vcc_lo
	v_cmp_le_u32_e32 vcc_lo, s15, v1
	v_cndmask_b32_e64 v14, 0, -1, vcc_lo
	v_cmp_eq_u32_e32 vcc_lo, s15, v3
	v_cndmask_b32_e32 v2, v9, v2, vcc_lo
	v_sub_co_u32 v3, vcc_lo, v8, s14
	v_cmp_eq_u32_e32 vcc_lo, s15, v1
	v_cndmask_b32_e32 v1, v14, v10, vcc_lo
	s_delay_alu instid0(VALU_DEP_4) | instskip(NEXT) | instid1(VALU_DEP_4)
	v_cmp_ne_u32_e32 vcc_lo, 0, v2
	v_cndmask_b32_e32 v2, v8, v3, vcc_lo
	s_delay_alu instid0(VALU_DEP_3) | instskip(NEXT) | instid1(VALU_DEP_2)
	v_cmp_ne_u32_e32 vcc_lo, 0, v1
	v_cndmask_b32_e32 v8, v0, v2, vcc_lo
                                        ; implicit-def: $vgpr0_vgpr1_vgpr2_vgpr3
.LBB5_54:                               ;   in Loop: Header=BB5_9 Depth=1
	s_and_not1_saveexec_b32 s0, s1
	s_cbranch_execz .LBB5_7
; %bb.55:                               ;   in Loop: Header=BB5_9 Depth=1
	v_cvt_f32_u32_e32 v0, s14
	s_sub_i32 s1, 0, s14
	s_delay_alu instid0(VALU_DEP_1) | instskip(SKIP_2) | instid1(VALU_DEP_1)
	v_rcp_iflag_f32_e32 v0, v0
	s_waitcnt_depctr 0xfff
	v_mul_f32_e32 v0, 0x4f7ffffe, v0
	v_cvt_u32_f32_e32 v0, v0
	s_delay_alu instid0(VALU_DEP_1) | instskip(NEXT) | instid1(VALU_DEP_1)
	v_mul_lo_u32 v1, s1, v0
	v_mul_hi_u32 v1, v0, v1
	s_delay_alu instid0(VALU_DEP_1) | instskip(NEXT) | instid1(VALU_DEP_1)
	v_add_nc_u32_e32 v0, v0, v1
	v_mul_hi_u32 v0, v3, v0
	s_delay_alu instid0(VALU_DEP_1) | instskip(NEXT) | instid1(VALU_DEP_1)
	v_mul_lo_u32 v0, v0, s14
	v_sub_nc_u32_e32 v0, v3, v0
	s_delay_alu instid0(VALU_DEP_1) | instskip(SKIP_1) | instid1(VALU_DEP_2)
	v_subrev_nc_u32_e32 v1, s14, v0
	v_cmp_le_u32_e32 vcc_lo, s14, v0
	v_cndmask_b32_e32 v0, v0, v1, vcc_lo
	s_delay_alu instid0(VALU_DEP_1) | instskip(SKIP_1) | instid1(VALU_DEP_2)
	v_subrev_nc_u32_e32 v1, s14, v0
	v_cmp_le_u32_e32 vcc_lo, s14, v0
	v_cndmask_b32_e32 v8, v0, v1, vcc_lo
	s_branch .LBB5_7
.LBB5_56:
	s_endpgm
.LBB5_57:
                                        ; implicit-def: $sgpr2_sgpr3
	s_branch .LBB5_4
	.section	.rodata,"a",@progbits
	.p2align	6, 0x0
	.amdhsa_kernel _ZN2at6native12_GLOBAL__N_143distribution_elementwise_grid_stride_kernelImLi2EZZZNS0_9templates4cuda21random_from_to_kernelIPNS_17CUDAGeneratorImplEEEvRNS_18TensorIteratorBaseEmlT_ENKUlvE_clEvENKUlvE0_clEvEUlP25hiprandStatePhilox4_32_10E_ZNS1_27distribution_nullary_kernelIam15HIP_vector_typeIyLj2EES7_SF_ZZZNS5_IS7_EEvS9_mlSA_ENKSB_clEvENKSC_clEvEUlmE_EEvS9_T2_RKT3_T4_EUlimE0_EEvlNS_15PhiloxCudaStateET1_SK_
		.amdhsa_group_segment_fixed_size 0
		.amdhsa_private_segment_fixed_size 0
		.amdhsa_kernarg_size 592
		.amdhsa_user_sgpr_count 15
		.amdhsa_user_sgpr_dispatch_ptr 0
		.amdhsa_user_sgpr_queue_ptr 0
		.amdhsa_user_sgpr_kernarg_segment_ptr 1
		.amdhsa_user_sgpr_dispatch_id 0
		.amdhsa_user_sgpr_private_segment_size 0
		.amdhsa_wavefront_size32 1
		.amdhsa_uses_dynamic_stack 0
		.amdhsa_enable_private_segment 0
		.amdhsa_system_sgpr_workgroup_id_x 1
		.amdhsa_system_sgpr_workgroup_id_y 0
		.amdhsa_system_sgpr_workgroup_id_z 0
		.amdhsa_system_sgpr_workgroup_info 0
		.amdhsa_system_vgpr_workitem_id 0
		.amdhsa_next_free_vgpr 46
		.amdhsa_next_free_sgpr 56
		.amdhsa_reserve_vcc 1
		.amdhsa_float_round_mode_32 0
		.amdhsa_float_round_mode_16_64 0
		.amdhsa_float_denorm_mode_32 3
		.amdhsa_float_denorm_mode_16_64 3
		.amdhsa_dx10_clamp 1
		.amdhsa_ieee_mode 1
		.amdhsa_fp16_overflow 0
		.amdhsa_workgroup_processor_mode 1
		.amdhsa_memory_ordered 1
		.amdhsa_forward_progress 0
		.amdhsa_shared_vgpr_count 0
		.amdhsa_exception_fp_ieee_invalid_op 0
		.amdhsa_exception_fp_denorm_src 0
		.amdhsa_exception_fp_ieee_div_zero 0
		.amdhsa_exception_fp_ieee_overflow 0
		.amdhsa_exception_fp_ieee_underflow 0
		.amdhsa_exception_fp_ieee_inexact 0
		.amdhsa_exception_int_div_zero 0
	.end_amdhsa_kernel
	.section	.text._ZN2at6native12_GLOBAL__N_143distribution_elementwise_grid_stride_kernelImLi2EZZZNS0_9templates4cuda21random_from_to_kernelIPNS_17CUDAGeneratorImplEEEvRNS_18TensorIteratorBaseEmlT_ENKUlvE_clEvENKUlvE0_clEvEUlP25hiprandStatePhilox4_32_10E_ZNS1_27distribution_nullary_kernelIam15HIP_vector_typeIyLj2EES7_SF_ZZZNS5_IS7_EEvS9_mlSA_ENKSB_clEvENKSC_clEvEUlmE_EEvS9_T2_RKT3_T4_EUlimE0_EEvlNS_15PhiloxCudaStateET1_SK_,"axG",@progbits,_ZN2at6native12_GLOBAL__N_143distribution_elementwise_grid_stride_kernelImLi2EZZZNS0_9templates4cuda21random_from_to_kernelIPNS_17CUDAGeneratorImplEEEvRNS_18TensorIteratorBaseEmlT_ENKUlvE_clEvENKUlvE0_clEvEUlP25hiprandStatePhilox4_32_10E_ZNS1_27distribution_nullary_kernelIam15HIP_vector_typeIyLj2EES7_SF_ZZZNS5_IS7_EEvS9_mlSA_ENKSB_clEvENKSC_clEvEUlmE_EEvS9_T2_RKT3_T4_EUlimE0_EEvlNS_15PhiloxCudaStateET1_SK_,comdat
.Lfunc_end5:
	.size	_ZN2at6native12_GLOBAL__N_143distribution_elementwise_grid_stride_kernelImLi2EZZZNS0_9templates4cuda21random_from_to_kernelIPNS_17CUDAGeneratorImplEEEvRNS_18TensorIteratorBaseEmlT_ENKUlvE_clEvENKUlvE0_clEvEUlP25hiprandStatePhilox4_32_10E_ZNS1_27distribution_nullary_kernelIam15HIP_vector_typeIyLj2EES7_SF_ZZZNS5_IS7_EEvS9_mlSA_ENKSB_clEvENKSC_clEvEUlmE_EEvS9_T2_RKT3_T4_EUlimE0_EEvlNS_15PhiloxCudaStateET1_SK_, .Lfunc_end5-_ZN2at6native12_GLOBAL__N_143distribution_elementwise_grid_stride_kernelImLi2EZZZNS0_9templates4cuda21random_from_to_kernelIPNS_17CUDAGeneratorImplEEEvRNS_18TensorIteratorBaseEmlT_ENKUlvE_clEvENKUlvE0_clEvEUlP25hiprandStatePhilox4_32_10E_ZNS1_27distribution_nullary_kernelIam15HIP_vector_typeIyLj2EES7_SF_ZZZNS5_IS7_EEvS9_mlSA_ENKSB_clEvENKSC_clEvEUlmE_EEvS9_T2_RKT3_T4_EUlimE0_EEvlNS_15PhiloxCudaStateET1_SK_
                                        ; -- End function
	.section	.AMDGPU.csdata,"",@progbits
; Kernel info:
; codeLenInByte = 5544
; NumSgprs: 58
; NumVgprs: 46
; ScratchSize: 0
; MemoryBound: 0
; FloatMode: 240
; IeeeMode: 1
; LDSByteSize: 0 bytes/workgroup (compile time only)
; SGPRBlocks: 7
; VGPRBlocks: 5
; NumSGPRsForWavesPerEU: 58
; NumVGPRsForWavesPerEU: 46
; Occupancy: 16
; WaveLimiterHint : 1
; COMPUTE_PGM_RSRC2:SCRATCH_EN: 0
; COMPUTE_PGM_RSRC2:USER_SGPR: 15
; COMPUTE_PGM_RSRC2:TRAP_HANDLER: 0
; COMPUTE_PGM_RSRC2:TGID_X_EN: 1
; COMPUTE_PGM_RSRC2:TGID_Y_EN: 0
; COMPUTE_PGM_RSRC2:TGID_Z_EN: 0
; COMPUTE_PGM_RSRC2:TIDIG_COMP_CNT: 0
	.section	.text._ZN2at6native12_GLOBAL__N_143distribution_elementwise_grid_stride_kernelIjLi4EZZZNS0_9templates4cuda21random_from_to_kernelIPNS_17CUDAGeneratorImplEEEvRNS_18TensorIteratorBaseEmlT_ENKUlvE_clEvENKUlvE0_clEvEUlP25hiprandStatePhilox4_32_10E0_ZNS1_27distribution_nullary_kernelIaj15HIP_vector_typeIjLj4EES7_SF_ZZZNS5_IS7_EEvS9_mlSA_ENKSB_clEvENKSC_clEvEUljE_EEvS9_T2_RKT3_T4_EUlijE_EEvlNS_15PhiloxCudaStateET1_SK_,"axG",@progbits,_ZN2at6native12_GLOBAL__N_143distribution_elementwise_grid_stride_kernelIjLi4EZZZNS0_9templates4cuda21random_from_to_kernelIPNS_17CUDAGeneratorImplEEEvRNS_18TensorIteratorBaseEmlT_ENKUlvE_clEvENKUlvE0_clEvEUlP25hiprandStatePhilox4_32_10E0_ZNS1_27distribution_nullary_kernelIaj15HIP_vector_typeIjLj4EES7_SF_ZZZNS5_IS7_EEvS9_mlSA_ENKSB_clEvENKSC_clEvEUljE_EEvS9_T2_RKT3_T4_EUlijE_EEvlNS_15PhiloxCudaStateET1_SK_,comdat
	.globl	_ZN2at6native12_GLOBAL__N_143distribution_elementwise_grid_stride_kernelIjLi4EZZZNS0_9templates4cuda21random_from_to_kernelIPNS_17CUDAGeneratorImplEEEvRNS_18TensorIteratorBaseEmlT_ENKUlvE_clEvENKUlvE0_clEvEUlP25hiprandStatePhilox4_32_10E0_ZNS1_27distribution_nullary_kernelIaj15HIP_vector_typeIjLj4EES7_SF_ZZZNS5_IS7_EEvS9_mlSA_ENKSB_clEvENKSC_clEvEUljE_EEvS9_T2_RKT3_T4_EUlijE_EEvlNS_15PhiloxCudaStateET1_SK_ ; -- Begin function _ZN2at6native12_GLOBAL__N_143distribution_elementwise_grid_stride_kernelIjLi4EZZZNS0_9templates4cuda21random_from_to_kernelIPNS_17CUDAGeneratorImplEEEvRNS_18TensorIteratorBaseEmlT_ENKUlvE_clEvENKUlvE0_clEvEUlP25hiprandStatePhilox4_32_10E0_ZNS1_27distribution_nullary_kernelIaj15HIP_vector_typeIjLj4EES7_SF_ZZZNS5_IS7_EEvS9_mlSA_ENKSB_clEvENKSC_clEvEUljE_EEvS9_T2_RKT3_T4_EUlijE_EEvlNS_15PhiloxCudaStateET1_SK_
	.p2align	8
	.type	_ZN2at6native12_GLOBAL__N_143distribution_elementwise_grid_stride_kernelIjLi4EZZZNS0_9templates4cuda21random_from_to_kernelIPNS_17CUDAGeneratorImplEEEvRNS_18TensorIteratorBaseEmlT_ENKUlvE_clEvENKUlvE0_clEvEUlP25hiprandStatePhilox4_32_10E0_ZNS1_27distribution_nullary_kernelIaj15HIP_vector_typeIjLj4EES7_SF_ZZZNS5_IS7_EEvS9_mlSA_ENKSB_clEvENKSC_clEvEUljE_EEvS9_T2_RKT3_T4_EUlijE_EEvlNS_15PhiloxCudaStateET1_SK_,@function
_ZN2at6native12_GLOBAL__N_143distribution_elementwise_grid_stride_kernelIjLi4EZZZNS0_9templates4cuda21random_from_to_kernelIPNS_17CUDAGeneratorImplEEEvRNS_18TensorIteratorBaseEmlT_ENKUlvE_clEvENKUlvE0_clEvEUlP25hiprandStatePhilox4_32_10E0_ZNS1_27distribution_nullary_kernelIaj15HIP_vector_typeIjLj4EES7_SF_ZZZNS5_IS7_EEvS9_mlSA_ENKSB_clEvENKSC_clEvEUljE_EEvS9_T2_RKT3_T4_EUlijE_EEvlNS_15PhiloxCudaStateET1_SK_: ; @_ZN2at6native12_GLOBAL__N_143distribution_elementwise_grid_stride_kernelIjLi4EZZZNS0_9templates4cuda21random_from_to_kernelIPNS_17CUDAGeneratorImplEEEvRNS_18TensorIteratorBaseEmlT_ENKUlvE_clEvENKUlvE0_clEvEUlP25hiprandStatePhilox4_32_10E0_ZNS1_27distribution_nullary_kernelIaj15HIP_vector_typeIjLj4EES7_SF_ZZZNS5_IS7_EEvS9_mlSA_ENKSB_clEvENKSC_clEvEUljE_EEvS9_T2_RKT3_T4_EUlijE_EEvlNS_15PhiloxCudaStateET1_SK_
; %bb.0:
	s_clause 0x2
	s_load_b64 s[8:9], s[0:1], 0x10
	s_load_b128 s[4:7], s[0:1], 0x0
	s_load_b32 s2, s[0:1], 0x20
	s_waitcnt lgkmcnt(0)
	v_dual_mov_b32 v2, s8 :: v_dual_mov_b32 v3, s9
	v_dual_mov_b32 v14, s7 :: v_dual_mov_b32 v13, s6
	s_bitcmp0_b32 s2, 0
	s_mov_b32 s2, 0
	s_cbranch_scc1 .LBB6_2
; %bb.1:
	v_dual_mov_b32 v1, s8 :: v_dual_mov_b32 v2, s9
	v_dual_mov_b32 v4, s6 :: v_dual_mov_b32 v5, s7
	s_load_b64 s[6:7], s[0:1], 0x18
	flat_load_b64 v[2:3], v[1:2]
	flat_load_b64 v[13:14], v[4:5]
	s_waitcnt vmcnt(1) lgkmcnt(0)
	v_add_co_u32 v2, vcc_lo, v2, s6
	v_add_co_ci_u32_e32 v3, vcc_lo, s7, v3, vcc_lo
.LBB6_2:
	s_clause 0x1
	s_load_b32 s3, s[0:1], 0x5c
	s_load_b32 s14, s[0:1], 0x50
	s_waitcnt lgkmcnt(0)
	s_and_b32 s13, s3, 0xffff
	s_add_u32 s6, s4, -1
	s_mul_i32 s10, s14, s13
	s_addc_u32 s3, s5, -1
	s_lshl_b32 s11, s10, 2
	s_cmp_lg_u64 s[2:3], 0
	s_cbranch_scc0 .LBB6_35
; %bb.3:
	v_cvt_f32_ubyte0_e32 v1, 0
	v_cvt_f32_u32_e32 v4, s11
	s_sub_u32 s8, 0, s11
	s_subb_u32 s9, 0, 0
	s_delay_alu instid0(VALU_DEP_1) | instskip(NEXT) | instid1(VALU_DEP_1)
	v_fmamk_f32 v1, v1, 0x4f800000, v4
	v_rcp_f32_e32 v1, v1
	s_waitcnt_depctr 0xfff
	v_mul_f32_e32 v1, 0x5f7ffffc, v1
	s_delay_alu instid0(VALU_DEP_1) | instskip(NEXT) | instid1(VALU_DEP_1)
	v_mul_f32_e32 v4, 0x2f800000, v1
	v_trunc_f32_e32 v4, v4
	s_delay_alu instid0(VALU_DEP_1) | instskip(SKIP_1) | instid1(VALU_DEP_2)
	v_fmamk_f32 v1, v4, 0xcf800000, v1
	v_cvt_u32_f32_e32 v4, v4
	v_cvt_u32_f32_e32 v1, v1
	s_delay_alu instid0(VALU_DEP_2) | instskip(NEXT) | instid1(VALU_DEP_2)
	v_readfirstlane_b32 s2, v4
	v_readfirstlane_b32 s7, v1
	s_delay_alu instid0(VALU_DEP_2) | instskip(NEXT) | instid1(VALU_DEP_1)
	s_mul_i32 s12, s8, s2
	s_mul_hi_u32 s17, s8, s7
	s_mul_i32 s16, s9, s7
	s_add_i32 s12, s17, s12
	s_mul_i32 s18, s8, s7
	s_add_i32 s12, s12, s16
	s_mul_hi_u32 s17, s7, s18
	s_mul_hi_u32 s19, s2, s18
	s_mul_i32 s16, s2, s18
	s_mul_hi_u32 s18, s7, s12
	s_mul_i32 s7, s7, s12
	s_mul_hi_u32 s20, s2, s12
	s_add_u32 s7, s17, s7
	s_addc_u32 s17, 0, s18
	s_add_u32 s7, s7, s16
	s_mul_i32 s12, s2, s12
	s_addc_u32 s7, s17, s19
	s_addc_u32 s16, s20, 0
	s_add_u32 s7, s7, s12
	s_addc_u32 s12, 0, s16
	v_add_co_u32 v1, s7, v1, s7
	s_delay_alu instid0(VALU_DEP_1) | instskip(SKIP_1) | instid1(VALU_DEP_1)
	s_cmp_lg_u32 s7, 0
	s_addc_u32 s2, s2, s12
	v_readfirstlane_b32 s7, v1
	s_mul_i32 s12, s8, s2
	s_delay_alu instid0(VALU_DEP_1)
	s_mul_hi_u32 s16, s8, s7
	s_mul_i32 s9, s9, s7
	s_add_i32 s12, s16, s12
	s_mul_i32 s8, s8, s7
	s_add_i32 s12, s12, s9
	s_mul_hi_u32 s16, s2, s8
	s_mul_i32 s17, s2, s8
	s_mul_hi_u32 s8, s7, s8
	s_mul_hi_u32 s18, s7, s12
	s_mul_i32 s7, s7, s12
	s_mul_hi_u32 s9, s2, s12
	s_add_u32 s7, s8, s7
	s_addc_u32 s8, 0, s18
	s_add_u32 s7, s7, s17
	s_mul_i32 s12, s2, s12
	s_addc_u32 s7, s8, s16
	s_addc_u32 s8, s9, 0
	s_add_u32 s7, s7, s12
	s_addc_u32 s8, 0, s8
	v_add_co_u32 v1, s7, v1, s7
	s_delay_alu instid0(VALU_DEP_1) | instskip(SKIP_2) | instid1(VALU_DEP_1)
	s_cmp_lg_u32 s7, 0
	s_addc_u32 s7, s2, s8
	s_ashr_i32 s8, s3, 31
	v_readfirstlane_b32 s12, v1
	s_add_u32 s2, s6, s8
	s_mov_b32 s9, s8
	s_addc_u32 s3, s3, s8
	s_delay_alu instid0(SALU_CYCLE_1) | instskip(NEXT) | instid1(SALU_CYCLE_1)
	s_xor_b64 s[2:3], s[2:3], s[8:9]
	s_mul_i32 s17, s2, s7
	s_mul_hi_u32 s18, s2, s12
	s_mul_hi_u32 s16, s2, s7
	;; [unrolled: 1-line block ×3, first 2 shown]
	s_mul_i32 s12, s3, s12
	s_add_u32 s17, s18, s17
	s_addc_u32 s16, 0, s16
	s_mul_hi_u32 s19, s3, s7
	s_add_u32 s12, s17, s12
	s_mul_i32 s7, s3, s7
	s_addc_u32 s12, s16, s20
	s_addc_u32 s16, s19, 0
	s_add_u32 s7, s12, s7
	s_addc_u32 s12, 0, s16
	s_mul_i32 s17, s11, s7
	s_add_u32 s16, s7, 1
	v_sub_co_u32 v1, s2, s2, s17
	s_mul_hi_u32 s17, s11, s7
	s_addc_u32 s18, s12, 0
	s_mul_i32 s19, s11, s12
	s_delay_alu instid0(VALU_DEP_1)
	v_sub_co_u32 v4, s20, v1, s11
	s_add_u32 s21, s7, 2
	s_addc_u32 s22, s12, 0
	s_add_i32 s17, s17, s19
	s_cmp_lg_u32 s2, 0
	v_readfirstlane_b32 s2, v4
	s_subb_u32 s3, s3, s17
	s_cmp_lg_u32 s20, 0
	s_subb_u32 s17, s3, 0
	s_delay_alu instid0(VALU_DEP_1) | instskip(SKIP_4) | instid1(SALU_CYCLE_1)
	s_cmp_ge_u32 s2, s11
	s_cselect_b32 s2, -1, 0
	s_cmp_eq_u32 s17, 0
	v_readfirstlane_b32 s17, v1
	s_cselect_b32 s2, s2, -1
	s_cmp_lg_u32 s2, 0
	s_cselect_b32 s2, s21, s16
	s_cselect_b32 s16, s22, s18
	s_cmp_ge_u32 s17, s11
	s_cselect_b32 s17, -1, 0
	s_cmp_eq_u32 s3, 0
	s_cselect_b32 s3, s17, -1
	s_delay_alu instid0(SALU_CYCLE_1) | instskip(SKIP_2) | instid1(SALU_CYCLE_1)
	s_cmp_lg_u32 s3, 0
	s_cselect_b32 s3, s16, s12
	s_cselect_b32 s2, s2, s7
	s_xor_b64 s[2:3], s[2:3], s[8:9]
	s_delay_alu instid0(SALU_CYCLE_1)
	s_sub_u32 s2, s2, s8
	s_subb_u32 s3, s3, s8
	s_cbranch_execnz .LBB6_5
.LBB6_4:
	v_cvt_f32_u32_e32 v1, s11
	s_sub_i32 s3, 0, s11
	s_delay_alu instid0(VALU_DEP_1) | instskip(SKIP_2) | instid1(VALU_DEP_1)
	v_rcp_iflag_f32_e32 v1, v1
	s_waitcnt_depctr 0xfff
	v_mul_f32_e32 v1, 0x4f7ffffe, v1
	v_cvt_u32_f32_e32 v1, v1
	s_delay_alu instid0(VALU_DEP_1) | instskip(NEXT) | instid1(VALU_DEP_1)
	v_readfirstlane_b32 s2, v1
	s_mul_i32 s3, s3, s2
	s_delay_alu instid0(SALU_CYCLE_1) | instskip(NEXT) | instid1(SALU_CYCLE_1)
	s_mul_hi_u32 s3, s2, s3
	s_add_i32 s2, s2, s3
	s_delay_alu instid0(SALU_CYCLE_1) | instskip(NEXT) | instid1(SALU_CYCLE_1)
	s_mul_hi_u32 s2, s6, s2
	s_mul_i32 s3, s2, s11
	s_delay_alu instid0(SALU_CYCLE_1)
	s_sub_i32 s3, s6, s3
	s_add_i32 s6, s2, 1
	s_sub_i32 s7, s3, s11
	s_cmp_ge_u32 s3, s11
	s_cselect_b32 s2, s6, s2
	s_cselect_b32 s3, s7, s3
	s_add_i32 s6, s2, 1
	s_cmp_ge_u32 s3, s11
	s_mov_b32 s3, 0
	s_cselect_b32 s2, s6, s2
.LBB6_5:
	v_mov_b32_e32 v1, 0
	s_add_u32 s2, s2, 1
	s_addc_u32 s3, s3, 0
	s_mul_hi_u32 s6, s10, s2
	s_mul_i32 s3, s10, s3
	v_mad_u64_u32 v[15:16], null, s13, s15, v[0:1]
	s_mul_hi_u32 s7, s14, s13
	s_add_i32 s3, s6, s3
	s_mul_i32 s7, s7, s2
	s_mul_i32 s2, s10, s2
	s_add_i32 s3, s3, s7
	s_delay_alu instid0(SALU_CYCLE_1)
	s_lshl_b64 s[6:7], s[2:3], 2
	s_mov_b32 s2, exec_lo
	v_cmpx_gt_i64_e64 s[6:7], v[15:16]
	s_cbranch_execz .LBB6_34
; %bb.6:
	v_alignbit_b32 v19, v3, v2, 2
	v_mad_u64_u32 v[6:7], null, 0xcd9e8d57, v15, 0
	v_lshrrev_b32_e32 v20, 2, v3
	s_waitcnt vmcnt(0)
	v_dual_mov_b32 v11, v14 :: v_dual_add_nc_u32 v32, 0x8ff34781, v13
	v_mad_u64_u32 v[4:5], null, 0xd2511f53, v19, 0
	v_add_co_u32 v22, null, 0x9e3779b9, v13
	s_delay_alu instid0(VALU_DEP_3) | instskip(SKIP_1) | instid1(VALU_DEP_4)
	v_add_co_u32 v21, null, 0xbb67ae85, v11
	v_add_co_u32 v23, null, 0x3c6ef372, v13
	v_xor_b32_e32 v3, v5, v14
	v_xor3_b32 v5, v13, v7, v20
	v_add_co_u32 v24, null, 0x76cf5d0a, v11
	v_add_co_u32 v25, null, 0x32370b8f, v11
	s_delay_alu instid0(VALU_DEP_4) | instskip(NEXT) | instid1(VALU_DEP_4)
	v_xor_b32_e32 v3, v3, v16
	v_mad_u64_u32 v[7:8], null, 0xd2511f53, v5, 0
	v_add_co_u32 v26, null, 0xdaa66d2b, v13
	s_delay_alu instid0(VALU_DEP_3) | instskip(SKIP_1) | instid1(VALU_DEP_4)
	v_mad_u64_u32 v[9:10], null, 0xcd9e8d57, v3, 0
	v_add_co_u32 v27, null, 0x78dde6e4, v13
	v_xor3_b32 v5, v21, v8, v4
	v_add_co_u32 v28, null, 0xed9eba14, v11
	v_add_co_u32 v29, null, 0xa9066899, v11
	v_xor3_b32 v8, v22, v10, v6
	s_delay_alu instid0(VALU_DEP_4) | instskip(SKIP_1) | instid1(VALU_DEP_3)
	v_mad_u64_u32 v[3:4], null, 0xcd9e8d57, v5, 0
	v_add_co_u32 v30, null, 0x1715609d, v13
	v_mad_u64_u32 v[5:6], null, 0xd2511f53, v8, 0
	v_and_b32_e32 v31, 3, v2
	v_add_co_u32 v35, null, 0xb54cda56, v13
	v_xor3_b32 v4, v23, v4, v9
	v_add_co_u32 v36, null, 0x646e171e, v11
	v_xor3_b32 v10, v24, v6, v7
	v_add_co_u32 v34, null, 0x5384540f, v13
	s_delay_alu instid0(VALU_DEP_4) | instskip(NEXT) | instid1(VALU_DEP_3)
	v_mad_u64_u32 v[6:7], null, 0xd2511f53, v4, 0
	v_mad_u64_u32 v[8:9], null, 0xcd9e8d57, v10, 0
	v_add_co_u32 v38, null, 0x1fd5c5a3, v11
	s_clause 0x1
	s_load_b64 s[8:9], s[0:1], 0x30
	s_load_b32 s16, s[0:1], 0x38
	v_add_co_u32 v37, null, 0xf1bbcdc8, v13
	s_delay_alu instid0(VALU_DEP_4) | instskip(NEXT) | instid1(VALU_DEP_4)
	v_xor3_b32 v5, v25, v7, v5
	v_xor3_b32 v7, v26, v9, v3
	v_add_co_u32 v40, null, 0xdb3d7428, v11
	s_load_b128 s[0:3], s[0:1], 0x40
	s_delay_alu instid0(VALU_DEP_3) | instskip(NEXT) | instid1(VALU_DEP_3)
	v_mad_u64_u32 v[3:4], null, 0xcd9e8d57, v5, 0
	v_mad_u64_u32 v[9:10], null, 0xd2511f53, v7, 0
	s_mul_i32 s17, s14, 3
	s_lshl_b32 s18, s14, 1
	s_add_i32 s19, s15, s14
	s_add_i32 s17, s15, s17
	s_delay_alu instid0(VALU_DEP_2) | instskip(SKIP_1) | instid1(VALU_DEP_3)
	v_xor3_b32 v7, v27, v4, v8
	v_mad_u64_u32 v[11:12], null, s19, s13, v[0:1]
	v_xor3_b32 v8, v28, v10, v6
	v_mad_u64_u32 v[17:18], null, s17, s13, v[0:1]
	s_delay_alu instid0(VALU_DEP_4) | instskip(NEXT) | instid1(VALU_DEP_3)
	v_mad_u64_u32 v[4:5], null, 0xd2511f53, v7, 0
	v_mad_u64_u32 v[6:7], null, 0xcd9e8d57, v8, 0
	v_add_nc_u32_e32 v33, 0x96a522ad, v14
	s_waitcnt lgkmcnt(0)
	v_mul_lo_u32 v44, s16, v11
	v_mul_lo_u32 v42, s16, v17
	s_mul_i32 s14, s14, s16
	v_xor3_b32 v5, v29, v5, v9
	v_mov_b32_e32 v39, v15
	v_xor3_b32 v9, v30, v7, v3
	v_mov_b32_e32 v45, v16
	s_mul_i32 s14, s14, s13
	v_mad_u64_u32 v[2:3], null, 0xcd9e8d57, v5, 0
	s_delay_alu instid0(VALU_DEP_3) | instskip(SKIP_3) | instid1(VALU_DEP_2)
	v_mad_u64_u32 v[7:8], null, 0xd2511f53, v9, 0
	s_mov_b32 s3, 0
	s_lshl_b32 s12, s10, 1
	s_lshl_b32 s14, s14, 2
	v_xor3_b32 v9, v35, v3, v6
	v_mad_u64_u32 v[5:6], null, s15, s13, v[0:1]
	s_delay_alu instid0(VALU_DEP_3) | instskip(SKIP_1) | instid1(VALU_DEP_3)
	v_xor3_b32 v10, v36, v8, v4
	s_add_i32 s15, s15, s18
	v_mad_u64_u32 v[3:4], null, 0xd2511f53, v9, 0
	s_delay_alu instid0(VALU_DEP_2) | instskip(NEXT) | instid1(VALU_DEP_4)
	v_mad_u64_u32 v[8:9], null, 0xcd9e8d57, v10, 0
	v_mul_lo_u32 v41, s16, v5
	s_delay_alu instid0(VALU_DEP_3) | instskip(NEXT) | instid1(VALU_DEP_3)
	v_xor3_b32 v4, v38, v4, v7
	v_xor3_b32 v2, v34, v9, v2
	s_delay_alu instid0(VALU_DEP_2) | instskip(NEXT) | instid1(VALU_DEP_2)
	v_mad_u64_u32 v[6:7], null, 0xcd9e8d57, v4, 0
	v_mad_u64_u32 v[9:10], null, 0xd2511f53, v2, 0
	s_delay_alu instid0(VALU_DEP_2) | instskip(NEXT) | instid1(VALU_DEP_2)
	v_xor3_b32 v4, v37, v7, v8
	v_xor3_b32 v10, v40, v10, v3
	v_mad_u64_u32 v[2:3], null, s15, s13, v[0:1]
	s_delay_alu instid0(VALU_DEP_3) | instskip(NEXT) | instid1(VALU_DEP_3)
	v_mad_u64_u32 v[7:8], null, 0xd2511f53, v4, 0
	v_mad_u64_u32 v[3:4], null, 0xcd9e8d57, v10, 0
	s_mul_i32 s13, s10, 3
	s_mov_b32 s15, 0
	s_delay_alu instid0(VALU_DEP_3) | instskip(NEXT) | instid1(VALU_DEP_3)
	v_mul_lo_u32 v43, s16, v2
	v_mov_b32_e32 v5, v7
	s_delay_alu instid0(VALU_DEP_3)
	v_xor3_b32 v2, v4, v6, v32
	v_xor3_b32 v4, v8, v9, v33
	s_branch .LBB6_9
.LBB6_7:                                ;   in Loop: Header=BB6_9 Depth=1
	s_or_b32 exec_lo, exec_lo, s17
	v_add_nc_u32_e32 v2, s15, v42
	s_delay_alu instid0(VALU_DEP_2) | instskip(NEXT) | instid1(VALU_DEP_2)
	v_add_nc_u32_e32 v0, s2, v0
	v_ashrrev_i32_e32 v3, 31, v2
	v_add_co_u32 v2, vcc_lo, s8, v2
	s_delay_alu instid0(VALU_DEP_2)
	v_add_co_ci_u32_e32 v3, vcc_lo, s9, v3, vcc_lo
	global_store_b8 v[2:3], v0, off
.LBB6_8:                                ;   in Loop: Header=BB6_9 Depth=1
	s_or_b32 exec_lo, exec_lo, s16
	v_add_co_u32 v15, vcc_lo, v15, s11
	v_add_co_ci_u32_e32 v16, vcc_lo, 0, v16, vcc_lo
	v_mov_b32_e32 v9, v17
	v_dual_mov_b32 v2, v6 :: v_dual_mov_b32 v3, v7
	s_delay_alu instid0(VALU_DEP_3) | instskip(NEXT) | instid1(VALU_DEP_3)
	v_cmp_le_i64_e32 vcc_lo, s[6:7], v[15:16]
	v_dual_mov_b32 v4, v8 :: v_dual_mov_b32 v5, v9
	s_add_i32 s15, s15, s14
	s_waitcnt_vscnt null, 0x0
	s_barrier
	s_or_b32 s3, vcc_lo, s3
	buffer_gl0_inv
	s_and_not1_b32 exec_lo, exec_lo, s3
	s_cbranch_execz .LBB6_34
.LBB6_9:                                ; =>This Inner Loop Header: Depth=1
	v_add_co_u32 v19, vcc_lo, v19, 1
	s_delay_alu instid0(VALU_DEP_1) | instskip(SKIP_1) | instid1(VALU_DEP_3)
	v_cndmask_b32_e64 v0, 0, 1, vcc_lo
	v_add_co_ci_u32_e32 v20, vcc_lo, 0, v20, vcc_lo
	v_mad_u64_u32 v[6:7], null, 0xd2511f53, v19, 0
	s_mov_b32 s16, exec_lo
	s_delay_alu instid0(VALU_DEP_2) | instskip(SKIP_1) | instid1(VALU_DEP_1)
	v_cmp_eq_u32_e32 vcc_lo, 0, v20
	v_cndmask_b32_e32 v0, 0, v0, vcc_lo
	v_add_nc_u32_e32 v39, v0, v39
	s_delay_alu instid0(VALU_DEP_1) | instskip(SKIP_2) | instid1(VALU_DEP_2)
	v_cmp_eq_u32_e32 vcc_lo, 0, v39
	v_cndmask_b32_e32 v0, 0, v0, vcc_lo
	v_mad_u64_u32 v[8:9], null, 0xcd9e8d57, v39, 0
	v_add_nc_u32_e32 v45, v0, v45
	v_xor_b32_e32 v0, v7, v14
	s_delay_alu instid0(VALU_DEP_3) | instskip(NEXT) | instid1(VALU_DEP_2)
	v_xor3_b32 v7, v9, v13, v20
	v_xor_b32_e32 v0, v45, v0
	s_delay_alu instid0(VALU_DEP_2) | instskip(NEXT) | instid1(VALU_DEP_2)
	v_mad_u64_u32 v[9:10], null, 0xd2511f53, v7, 0
	v_mad_u64_u32 v[11:12], null, 0xcd9e8d57, v0, 0
	s_delay_alu instid0(VALU_DEP_2) | instskip(NEXT) | instid1(VALU_DEP_2)
	v_xor3_b32 v0, v21, v10, v6
	v_xor3_b32 v8, v22, v12, v8
	s_delay_alu instid0(VALU_DEP_2) | instskip(NEXT) | instid1(VALU_DEP_2)
	v_mad_u64_u32 v[6:7], null, 0xcd9e8d57, v0, 0
	v_mad_u64_u32 v[17:18], null, 0xd2511f53, v8, 0
	s_delay_alu instid0(VALU_DEP_2) | instskip(NEXT) | instid1(VALU_DEP_2)
	v_xor3_b32 v0, v23, v7, v11
	v_xor3_b32 v11, v24, v18, v9
	;; [unrolled: 6-line block ×9, first 2 shown]
	s_delay_alu instid0(VALU_DEP_2)
	v_mov_b32_e32 v8, v12
	v_cmpx_lt_i32_e32 1, v31
	s_xor_b32 s16, exec_lo, s16
	s_cbranch_execnz .LBB6_12
; %bb.10:                               ;   in Loop: Header=BB6_9 Depth=1
	s_and_not1_saveexec_b32 s16, s16
	s_cbranch_execnz .LBB6_17
.LBB6_11:                               ;   in Loop: Header=BB6_9 Depth=1
	s_or_b32 exec_lo, exec_lo, s16
	s_delay_alu instid0(SALU_CYCLE_1)
	s_mov_b32 s16, exec_lo
	v_cmpx_gt_i64_e64 s[4:5], v[15:16]
	s_cbranch_execnz .LBB6_20
	s_branch .LBB6_23
.LBB6_12:                               ;   in Loop: Header=BB6_9 Depth=1
	s_mov_b32 s17, exec_lo
	v_cmpx_lt_i32_e32 2, v31
	s_xor_b32 s17, exec_lo, s17
; %bb.13:                               ;   in Loop: Header=BB6_9 Depth=1
	v_dual_mov_b32 v9, v5 :: v_dual_mov_b32 v10, v6
	v_mov_b32_e32 v11, v7
	s_delay_alu instid0(VALU_DEP_2) | instskip(NEXT) | instid1(VALU_DEP_2)
	v_dual_mov_b32 v2, v9 :: v_dual_mov_b32 v3, v10
	v_dual_mov_b32 v4, v11 :: v_dual_mov_b32 v5, v12
; %bb.14:                               ;   in Loop: Header=BB6_9 Depth=1
	s_and_not1_saveexec_b32 s17, s17
; %bb.15:                               ;   in Loop: Header=BB6_9 Depth=1
	s_delay_alu instid0(VALU_DEP_1)
	v_dual_mov_b32 v2, v4 :: v_dual_mov_b32 v3, v5
	v_dual_mov_b32 v4, v6 :: v_dual_mov_b32 v5, v7
; %bb.16:                               ;   in Loop: Header=BB6_9 Depth=1
	s_or_b32 exec_lo, exec_lo, s17
	s_and_not1_saveexec_b32 s16, s16
	s_cbranch_execz .LBB6_11
.LBB6_17:                               ;   in Loop: Header=BB6_9 Depth=1
	s_mov_b32 s17, exec_lo
	v_cmpx_eq_u32_e32 1, v31
; %bb.18:                               ;   in Loop: Header=BB6_9 Depth=1
	v_dual_mov_b32 v2, v3 :: v_dual_mov_b32 v3, v4
	v_dual_mov_b32 v4, v5 :: v_dual_mov_b32 v5, v6
; %bb.19:                               ;   in Loop: Header=BB6_9 Depth=1
	s_or_b32 exec_lo, exec_lo, s17
	s_delay_alu instid0(SALU_CYCLE_1) | instskip(NEXT) | instid1(SALU_CYCLE_1)
	s_or_b32 exec_lo, exec_lo, s16
	s_mov_b32 s16, exec_lo
	v_cmpx_gt_i64_e64 s[4:5], v[15:16]
	s_cbranch_execz .LBB6_23
.LBB6_20:                               ;   in Loop: Header=BB6_9 Depth=1
	v_mov_b32_e32 v0, v2
	s_mov_b32 s17, exec_lo
	s_delay_alu instid0(VALU_DEP_1)
	v_cmpx_le_u64_e64 s[0:1], v[0:1]
	s_cbranch_execz .LBB6_22
; %bb.21:                               ;   in Loop: Header=BB6_9 Depth=1
	v_cvt_f32_u32_e32 v2, s0
	s_sub_i32 s18, 0, s0
	s_delay_alu instid0(VALU_DEP_1) | instskip(SKIP_2) | instid1(VALU_DEP_1)
	v_rcp_iflag_f32_e32 v2, v2
	s_waitcnt_depctr 0xfff
	v_mul_f32_e32 v2, 0x4f7ffffe, v2
	v_cvt_u32_f32_e32 v2, v2
	s_delay_alu instid0(VALU_DEP_1) | instskip(NEXT) | instid1(VALU_DEP_1)
	v_mul_lo_u32 v9, s18, v2
	v_mul_hi_u32 v9, v2, v9
	s_delay_alu instid0(VALU_DEP_1) | instskip(NEXT) | instid1(VALU_DEP_1)
	v_add_nc_u32_e32 v2, v2, v9
	v_mul_hi_u32 v2, v0, v2
	s_delay_alu instid0(VALU_DEP_1) | instskip(NEXT) | instid1(VALU_DEP_1)
	v_mul_lo_u32 v2, v2, s0
	v_sub_nc_u32_e32 v0, v0, v2
	s_delay_alu instid0(VALU_DEP_1) | instskip(SKIP_1) | instid1(VALU_DEP_2)
	v_subrev_nc_u32_e32 v2, s0, v0
	v_cmp_le_u32_e32 vcc_lo, s0, v0
	v_cndmask_b32_e32 v0, v0, v2, vcc_lo
	s_delay_alu instid0(VALU_DEP_1) | instskip(SKIP_1) | instid1(VALU_DEP_2)
	v_subrev_nc_u32_e32 v2, s0, v0
	v_cmp_le_u32_e32 vcc_lo, s0, v0
	v_cndmask_b32_e32 v0, v0, v2, vcc_lo
.LBB6_22:                               ;   in Loop: Header=BB6_9 Depth=1
	s_or_b32 exec_lo, exec_lo, s17
	v_add_nc_u32_e32 v2, s15, v41
	s_delay_alu instid0(VALU_DEP_2) | instskip(NEXT) | instid1(VALU_DEP_2)
	v_add_nc_u32_e32 v0, s2, v0
	v_ashrrev_i32_e32 v10, 31, v2
	v_add_co_u32 v9, vcc_lo, s8, v2
	s_delay_alu instid0(VALU_DEP_2)
	v_add_co_ci_u32_e32 v10, vcc_lo, s9, v10, vcc_lo
	global_store_b8 v[9:10], v0, off
.LBB6_23:                               ;   in Loop: Header=BB6_9 Depth=1
	s_or_b32 exec_lo, exec_lo, s16
	v_add_co_u32 v9, vcc_lo, s10, v15
	v_add_co_ci_u32_e32 v10, vcc_lo, 0, v16, vcc_lo
	s_mov_b32 s16, exec_lo
	s_delay_alu instid0(VALU_DEP_1)
	v_cmpx_gt_i64_e64 s[4:5], v[9:10]
	s_cbranch_execz .LBB6_27
; %bb.24:                               ;   in Loop: Header=BB6_9 Depth=1
	v_mov_b32_e32 v0, v3
	s_mov_b32 s17, exec_lo
	s_delay_alu instid0(VALU_DEP_1)
	v_cmpx_le_u64_e64 s[0:1], v[0:1]
	s_cbranch_execz .LBB6_26
; %bb.25:                               ;   in Loop: Header=BB6_9 Depth=1
	v_cvt_f32_u32_e32 v2, s0
	s_sub_i32 s18, 0, s0
	s_delay_alu instid0(VALU_DEP_1) | instskip(SKIP_2) | instid1(VALU_DEP_1)
	v_rcp_iflag_f32_e32 v2, v2
	s_waitcnt_depctr 0xfff
	v_mul_f32_e32 v2, 0x4f7ffffe, v2
	v_cvt_u32_f32_e32 v2, v2
	s_delay_alu instid0(VALU_DEP_1) | instskip(NEXT) | instid1(VALU_DEP_1)
	v_mul_lo_u32 v3, s18, v2
	v_mul_hi_u32 v3, v2, v3
	s_delay_alu instid0(VALU_DEP_1) | instskip(NEXT) | instid1(VALU_DEP_1)
	v_add_nc_u32_e32 v2, v2, v3
	v_mul_hi_u32 v2, v0, v2
	s_delay_alu instid0(VALU_DEP_1) | instskip(NEXT) | instid1(VALU_DEP_1)
	v_mul_lo_u32 v2, v2, s0
	v_sub_nc_u32_e32 v0, v0, v2
	s_delay_alu instid0(VALU_DEP_1) | instskip(SKIP_1) | instid1(VALU_DEP_2)
	v_subrev_nc_u32_e32 v2, s0, v0
	v_cmp_le_u32_e32 vcc_lo, s0, v0
	v_cndmask_b32_e32 v0, v0, v2, vcc_lo
	s_delay_alu instid0(VALU_DEP_1) | instskip(SKIP_1) | instid1(VALU_DEP_2)
	v_subrev_nc_u32_e32 v2, s0, v0
	v_cmp_le_u32_e32 vcc_lo, s0, v0
	v_cndmask_b32_e32 v0, v0, v2, vcc_lo
.LBB6_26:                               ;   in Loop: Header=BB6_9 Depth=1
	s_or_b32 exec_lo, exec_lo, s17
	v_add_nc_u32_e32 v2, s15, v44
	s_delay_alu instid0(VALU_DEP_2) | instskip(NEXT) | instid1(VALU_DEP_2)
	v_add_nc_u32_e32 v0, s2, v0
	v_ashrrev_i32_e32 v3, 31, v2
	v_add_co_u32 v2, vcc_lo, s8, v2
	s_delay_alu instid0(VALU_DEP_2)
	v_add_co_ci_u32_e32 v3, vcc_lo, s9, v3, vcc_lo
	global_store_b8 v[2:3], v0, off
.LBB6_27:                               ;   in Loop: Header=BB6_9 Depth=1
	s_or_b32 exec_lo, exec_lo, s16
	v_add_co_u32 v2, vcc_lo, s12, v15
	v_add_co_ci_u32_e32 v3, vcc_lo, 0, v16, vcc_lo
	s_mov_b32 s16, exec_lo
	s_delay_alu instid0(VALU_DEP_1)
	v_cmpx_gt_i64_e64 s[4:5], v[2:3]
	s_cbranch_execz .LBB6_31
; %bb.28:                               ;   in Loop: Header=BB6_9 Depth=1
	v_mov_b32_e32 v0, v4
	s_mov_b32 s17, exec_lo
	s_delay_alu instid0(VALU_DEP_1)
	v_cmpx_le_u64_e64 s[0:1], v[0:1]
	s_cbranch_execz .LBB6_30
; %bb.29:                               ;   in Loop: Header=BB6_9 Depth=1
	v_cvt_f32_u32_e32 v2, s0
	s_sub_i32 s18, 0, s0
	s_delay_alu instid0(VALU_DEP_1) | instskip(SKIP_2) | instid1(VALU_DEP_1)
	v_rcp_iflag_f32_e32 v2, v2
	s_waitcnt_depctr 0xfff
	v_mul_f32_e32 v2, 0x4f7ffffe, v2
	v_cvt_u32_f32_e32 v2, v2
	s_delay_alu instid0(VALU_DEP_1) | instskip(NEXT) | instid1(VALU_DEP_1)
	v_mul_lo_u32 v3, s18, v2
	v_mul_hi_u32 v3, v2, v3
	s_delay_alu instid0(VALU_DEP_1) | instskip(NEXT) | instid1(VALU_DEP_1)
	v_add_nc_u32_e32 v2, v2, v3
	v_mul_hi_u32 v2, v0, v2
	s_delay_alu instid0(VALU_DEP_1) | instskip(NEXT) | instid1(VALU_DEP_1)
	v_mul_lo_u32 v2, v2, s0
	v_sub_nc_u32_e32 v0, v0, v2
	s_delay_alu instid0(VALU_DEP_1) | instskip(SKIP_1) | instid1(VALU_DEP_2)
	v_subrev_nc_u32_e32 v2, s0, v0
	v_cmp_le_u32_e32 vcc_lo, s0, v0
	v_cndmask_b32_e32 v0, v0, v2, vcc_lo
	s_delay_alu instid0(VALU_DEP_1) | instskip(SKIP_1) | instid1(VALU_DEP_2)
	v_subrev_nc_u32_e32 v2, s0, v0
	v_cmp_le_u32_e32 vcc_lo, s0, v0
	v_cndmask_b32_e32 v0, v0, v2, vcc_lo
.LBB6_30:                               ;   in Loop: Header=BB6_9 Depth=1
	s_or_b32 exec_lo, exec_lo, s17
	v_add_nc_u32_e32 v2, s15, v43
	s_delay_alu instid0(VALU_DEP_2) | instskip(NEXT) | instid1(VALU_DEP_2)
	v_add_nc_u32_e32 v0, s2, v0
	v_ashrrev_i32_e32 v3, 31, v2
	v_add_co_u32 v2, vcc_lo, s8, v2
	s_delay_alu instid0(VALU_DEP_2)
	v_add_co_ci_u32_e32 v3, vcc_lo, s9, v3, vcc_lo
	global_store_b8 v[2:3], v0, off
.LBB6_31:                               ;   in Loop: Header=BB6_9 Depth=1
	s_or_b32 exec_lo, exec_lo, s16
	v_add_co_u32 v2, vcc_lo, s13, v15
	v_add_co_ci_u32_e32 v3, vcc_lo, 0, v16, vcc_lo
	s_mov_b32 s16, exec_lo
	s_delay_alu instid0(VALU_DEP_1)
	v_cmpx_gt_i64_e64 s[4:5], v[2:3]
	s_cbranch_execz .LBB6_8
; %bb.32:                               ;   in Loop: Header=BB6_9 Depth=1
	v_mov_b32_e32 v0, v5
	s_mov_b32 s17, exec_lo
	s_delay_alu instid0(VALU_DEP_1)
	v_cmpx_le_u64_e64 s[0:1], v[0:1]
	s_cbranch_execz .LBB6_7
; %bb.33:                               ;   in Loop: Header=BB6_9 Depth=1
	v_cvt_f32_u32_e32 v2, s0
	s_sub_i32 s18, 0, s0
	s_delay_alu instid0(VALU_DEP_1) | instskip(SKIP_2) | instid1(VALU_DEP_1)
	v_rcp_iflag_f32_e32 v2, v2
	s_waitcnt_depctr 0xfff
	v_mul_f32_e32 v2, 0x4f7ffffe, v2
	v_cvt_u32_f32_e32 v2, v2
	s_delay_alu instid0(VALU_DEP_1) | instskip(NEXT) | instid1(VALU_DEP_1)
	v_mul_lo_u32 v3, s18, v2
	v_mul_hi_u32 v3, v2, v3
	s_delay_alu instid0(VALU_DEP_1) | instskip(NEXT) | instid1(VALU_DEP_1)
	v_add_nc_u32_e32 v2, v2, v3
	v_mul_hi_u32 v2, v0, v2
	s_delay_alu instid0(VALU_DEP_1) | instskip(NEXT) | instid1(VALU_DEP_1)
	v_mul_lo_u32 v2, v2, s0
	v_sub_nc_u32_e32 v0, v0, v2
	s_delay_alu instid0(VALU_DEP_1) | instskip(SKIP_1) | instid1(VALU_DEP_2)
	v_subrev_nc_u32_e32 v2, s0, v0
	v_cmp_le_u32_e32 vcc_lo, s0, v0
	v_cndmask_b32_e32 v0, v0, v2, vcc_lo
	s_delay_alu instid0(VALU_DEP_1) | instskip(SKIP_1) | instid1(VALU_DEP_2)
	v_subrev_nc_u32_e32 v2, s0, v0
	v_cmp_le_u32_e32 vcc_lo, s0, v0
	v_cndmask_b32_e32 v0, v0, v2, vcc_lo
	s_branch .LBB6_7
.LBB6_34:
	s_endpgm
.LBB6_35:
                                        ; implicit-def: $sgpr2_sgpr3
	s_branch .LBB6_4
	.section	.rodata,"a",@progbits
	.p2align	6, 0x0
	.amdhsa_kernel _ZN2at6native12_GLOBAL__N_143distribution_elementwise_grid_stride_kernelIjLi4EZZZNS0_9templates4cuda21random_from_to_kernelIPNS_17CUDAGeneratorImplEEEvRNS_18TensorIteratorBaseEmlT_ENKUlvE_clEvENKUlvE0_clEvEUlP25hiprandStatePhilox4_32_10E0_ZNS1_27distribution_nullary_kernelIaj15HIP_vector_typeIjLj4EES7_SF_ZZZNS5_IS7_EEvS9_mlSA_ENKSB_clEvENKSC_clEvEUljE_EEvS9_T2_RKT3_T4_EUlijE_EEvlNS_15PhiloxCudaStateET1_SK_
		.amdhsa_group_segment_fixed_size 0
		.amdhsa_private_segment_fixed_size 0
		.amdhsa_kernarg_size 336
		.amdhsa_user_sgpr_count 15
		.amdhsa_user_sgpr_dispatch_ptr 0
		.amdhsa_user_sgpr_queue_ptr 0
		.amdhsa_user_sgpr_kernarg_segment_ptr 1
		.amdhsa_user_sgpr_dispatch_id 0
		.amdhsa_user_sgpr_private_segment_size 0
		.amdhsa_wavefront_size32 1
		.amdhsa_uses_dynamic_stack 0
		.amdhsa_enable_private_segment 0
		.amdhsa_system_sgpr_workgroup_id_x 1
		.amdhsa_system_sgpr_workgroup_id_y 0
		.amdhsa_system_sgpr_workgroup_id_z 0
		.amdhsa_system_sgpr_workgroup_info 0
		.amdhsa_system_vgpr_workitem_id 0
		.amdhsa_next_free_vgpr 46
		.amdhsa_next_free_sgpr 23
		.amdhsa_reserve_vcc 1
		.amdhsa_float_round_mode_32 0
		.amdhsa_float_round_mode_16_64 0
		.amdhsa_float_denorm_mode_32 3
		.amdhsa_float_denorm_mode_16_64 3
		.amdhsa_dx10_clamp 1
		.amdhsa_ieee_mode 1
		.amdhsa_fp16_overflow 0
		.amdhsa_workgroup_processor_mode 1
		.amdhsa_memory_ordered 1
		.amdhsa_forward_progress 0
		.amdhsa_shared_vgpr_count 0
		.amdhsa_exception_fp_ieee_invalid_op 0
		.amdhsa_exception_fp_denorm_src 0
		.amdhsa_exception_fp_ieee_div_zero 0
		.amdhsa_exception_fp_ieee_overflow 0
		.amdhsa_exception_fp_ieee_underflow 0
		.amdhsa_exception_fp_ieee_inexact 0
		.amdhsa_exception_int_div_zero 0
	.end_amdhsa_kernel
	.section	.text._ZN2at6native12_GLOBAL__N_143distribution_elementwise_grid_stride_kernelIjLi4EZZZNS0_9templates4cuda21random_from_to_kernelIPNS_17CUDAGeneratorImplEEEvRNS_18TensorIteratorBaseEmlT_ENKUlvE_clEvENKUlvE0_clEvEUlP25hiprandStatePhilox4_32_10E0_ZNS1_27distribution_nullary_kernelIaj15HIP_vector_typeIjLj4EES7_SF_ZZZNS5_IS7_EEvS9_mlSA_ENKSB_clEvENKSC_clEvEUljE_EEvS9_T2_RKT3_T4_EUlijE_EEvlNS_15PhiloxCudaStateET1_SK_,"axG",@progbits,_ZN2at6native12_GLOBAL__N_143distribution_elementwise_grid_stride_kernelIjLi4EZZZNS0_9templates4cuda21random_from_to_kernelIPNS_17CUDAGeneratorImplEEEvRNS_18TensorIteratorBaseEmlT_ENKUlvE_clEvENKUlvE0_clEvEUlP25hiprandStatePhilox4_32_10E0_ZNS1_27distribution_nullary_kernelIaj15HIP_vector_typeIjLj4EES7_SF_ZZZNS5_IS7_EEvS9_mlSA_ENKSB_clEvENKSC_clEvEUljE_EEvS9_T2_RKT3_T4_EUlijE_EEvlNS_15PhiloxCudaStateET1_SK_,comdat
.Lfunc_end6:
	.size	_ZN2at6native12_GLOBAL__N_143distribution_elementwise_grid_stride_kernelIjLi4EZZZNS0_9templates4cuda21random_from_to_kernelIPNS_17CUDAGeneratorImplEEEvRNS_18TensorIteratorBaseEmlT_ENKUlvE_clEvENKUlvE0_clEvEUlP25hiprandStatePhilox4_32_10E0_ZNS1_27distribution_nullary_kernelIaj15HIP_vector_typeIjLj4EES7_SF_ZZZNS5_IS7_EEvS9_mlSA_ENKSB_clEvENKSC_clEvEUljE_EEvS9_T2_RKT3_T4_EUlijE_EEvlNS_15PhiloxCudaStateET1_SK_, .Lfunc_end6-_ZN2at6native12_GLOBAL__N_143distribution_elementwise_grid_stride_kernelIjLi4EZZZNS0_9templates4cuda21random_from_to_kernelIPNS_17CUDAGeneratorImplEEEvRNS_18TensorIteratorBaseEmlT_ENKUlvE_clEvENKUlvE0_clEvEUlP25hiprandStatePhilox4_32_10E0_ZNS1_27distribution_nullary_kernelIaj15HIP_vector_typeIjLj4EES7_SF_ZZZNS5_IS7_EEvS9_mlSA_ENKSB_clEvENKSC_clEvEUljE_EEvS9_T2_RKT3_T4_EUlijE_EEvlNS_15PhiloxCudaStateET1_SK_
                                        ; -- End function
	.section	.AMDGPU.csdata,"",@progbits
; Kernel info:
; codeLenInByte = 3424
; NumSgprs: 25
; NumVgprs: 46
; ScratchSize: 0
; MemoryBound: 0
; FloatMode: 240
; IeeeMode: 1
; LDSByteSize: 0 bytes/workgroup (compile time only)
; SGPRBlocks: 3
; VGPRBlocks: 5
; NumSGPRsForWavesPerEU: 25
; NumVGPRsForWavesPerEU: 46
; Occupancy: 16
; WaveLimiterHint : 0
; COMPUTE_PGM_RSRC2:SCRATCH_EN: 0
; COMPUTE_PGM_RSRC2:USER_SGPR: 15
; COMPUTE_PGM_RSRC2:TRAP_HANDLER: 0
; COMPUTE_PGM_RSRC2:TGID_X_EN: 1
; COMPUTE_PGM_RSRC2:TGID_Y_EN: 0
; COMPUTE_PGM_RSRC2:TGID_Z_EN: 0
; COMPUTE_PGM_RSRC2:TIDIG_COMP_CNT: 0
	.section	.text._ZN2at6native12_GLOBAL__N_143distribution_elementwise_grid_stride_kernelIjLi4EZZZNS0_9templates4cuda21random_from_to_kernelIPNS_17CUDAGeneratorImplEEEvRNS_18TensorIteratorBaseEmlT_ENKUlvE_clEvENKUlvE0_clEvEUlP25hiprandStatePhilox4_32_10E0_ZNS1_27distribution_nullary_kernelIaj15HIP_vector_typeIjLj4EES7_SF_ZZZNS5_IS7_EEvS9_mlSA_ENKSB_clEvENKSC_clEvEUljE_EEvS9_T2_RKT3_T4_EUlijE0_EEvlNS_15PhiloxCudaStateET1_SK_,"axG",@progbits,_ZN2at6native12_GLOBAL__N_143distribution_elementwise_grid_stride_kernelIjLi4EZZZNS0_9templates4cuda21random_from_to_kernelIPNS_17CUDAGeneratorImplEEEvRNS_18TensorIteratorBaseEmlT_ENKUlvE_clEvENKUlvE0_clEvEUlP25hiprandStatePhilox4_32_10E0_ZNS1_27distribution_nullary_kernelIaj15HIP_vector_typeIjLj4EES7_SF_ZZZNS5_IS7_EEvS9_mlSA_ENKSB_clEvENKSC_clEvEUljE_EEvS9_T2_RKT3_T4_EUlijE0_EEvlNS_15PhiloxCudaStateET1_SK_,comdat
	.globl	_ZN2at6native12_GLOBAL__N_143distribution_elementwise_grid_stride_kernelIjLi4EZZZNS0_9templates4cuda21random_from_to_kernelIPNS_17CUDAGeneratorImplEEEvRNS_18TensorIteratorBaseEmlT_ENKUlvE_clEvENKUlvE0_clEvEUlP25hiprandStatePhilox4_32_10E0_ZNS1_27distribution_nullary_kernelIaj15HIP_vector_typeIjLj4EES7_SF_ZZZNS5_IS7_EEvS9_mlSA_ENKSB_clEvENKSC_clEvEUljE_EEvS9_T2_RKT3_T4_EUlijE0_EEvlNS_15PhiloxCudaStateET1_SK_ ; -- Begin function _ZN2at6native12_GLOBAL__N_143distribution_elementwise_grid_stride_kernelIjLi4EZZZNS0_9templates4cuda21random_from_to_kernelIPNS_17CUDAGeneratorImplEEEvRNS_18TensorIteratorBaseEmlT_ENKUlvE_clEvENKUlvE0_clEvEUlP25hiprandStatePhilox4_32_10E0_ZNS1_27distribution_nullary_kernelIaj15HIP_vector_typeIjLj4EES7_SF_ZZZNS5_IS7_EEvS9_mlSA_ENKSB_clEvENKSC_clEvEUljE_EEvS9_T2_RKT3_T4_EUlijE0_EEvlNS_15PhiloxCudaStateET1_SK_
	.p2align	8
	.type	_ZN2at6native12_GLOBAL__N_143distribution_elementwise_grid_stride_kernelIjLi4EZZZNS0_9templates4cuda21random_from_to_kernelIPNS_17CUDAGeneratorImplEEEvRNS_18TensorIteratorBaseEmlT_ENKUlvE_clEvENKUlvE0_clEvEUlP25hiprandStatePhilox4_32_10E0_ZNS1_27distribution_nullary_kernelIaj15HIP_vector_typeIjLj4EES7_SF_ZZZNS5_IS7_EEvS9_mlSA_ENKSB_clEvENKSC_clEvEUljE_EEvS9_T2_RKT3_T4_EUlijE0_EEvlNS_15PhiloxCudaStateET1_SK_,@function
_ZN2at6native12_GLOBAL__N_143distribution_elementwise_grid_stride_kernelIjLi4EZZZNS0_9templates4cuda21random_from_to_kernelIPNS_17CUDAGeneratorImplEEEvRNS_18TensorIteratorBaseEmlT_ENKUlvE_clEvENKUlvE0_clEvEUlP25hiprandStatePhilox4_32_10E0_ZNS1_27distribution_nullary_kernelIaj15HIP_vector_typeIjLj4EES7_SF_ZZZNS5_IS7_EEvS9_mlSA_ENKSB_clEvENKSC_clEvEUljE_EEvS9_T2_RKT3_T4_EUlijE0_EEvlNS_15PhiloxCudaStateET1_SK_: ; @_ZN2at6native12_GLOBAL__N_143distribution_elementwise_grid_stride_kernelIjLi4EZZZNS0_9templates4cuda21random_from_to_kernelIPNS_17CUDAGeneratorImplEEEvRNS_18TensorIteratorBaseEmlT_ENKUlvE_clEvENKUlvE0_clEvEUlP25hiprandStatePhilox4_32_10E0_ZNS1_27distribution_nullary_kernelIaj15HIP_vector_typeIjLj4EES7_SF_ZZZNS5_IS7_EEvS9_mlSA_ENKSB_clEvENKSC_clEvEUljE_EEvS9_T2_RKT3_T4_EUlijE0_EEvlNS_15PhiloxCudaStateET1_SK_
; %bb.0:
	s_clause 0x2
	s_load_b64 s[4:5], s[0:1], 0x10
	s_load_b128 s[16:19], s[0:1], 0x0
	s_load_b32 s2, s[0:1], 0x20
	s_waitcnt lgkmcnt(0)
	v_dual_mov_b32 v2, s4 :: v_dual_mov_b32 v3, s5
	v_dual_mov_b32 v13, s18 :: v_dual_mov_b32 v14, s19
	s_bitcmp0_b32 s2, 0
	s_mov_b32 s2, 0
	s_cbranch_scc1 .LBB7_2
; %bb.1:
	v_dual_mov_b32 v1, s4 :: v_dual_mov_b32 v2, s5
	v_dual_mov_b32 v4, s18 :: v_dual_mov_b32 v5, s19
	s_load_b64 s[4:5], s[0:1], 0x18
	flat_load_b64 v[2:3], v[1:2]
	flat_load_b64 v[13:14], v[4:5]
	s_waitcnt vmcnt(1) lgkmcnt(0)
	v_add_co_u32 v2, vcc_lo, v2, s4
	v_add_co_ci_u32_e32 v3, vcc_lo, s5, v3, vcc_lo
.LBB7_2:
	s_clause 0x1
	s_load_b32 s3, s[0:1], 0x15c
	s_load_b32 s4, s[0:1], 0x150
	s_waitcnt lgkmcnt(0)
	s_and_b32 s5, s3, 0xffff
	s_add_u32 s6, s16, -1
	s_mul_i32 s28, s4, s5
	s_addc_u32 s3, s17, -1
	s_lshl_b32 s29, s28, 2
	s_cmp_lg_u64 s[2:3], 0
	s_cbranch_scc0 .LBB7_87
; %bb.3:
	v_cvt_f32_ubyte0_e32 v1, 0
	v_cvt_f32_u32_e32 v4, s29
	s_sub_u32 s8, 0, s29
	s_subb_u32 s9, 0, 0
	s_delay_alu instid0(VALU_DEP_1) | instskip(NEXT) | instid1(VALU_DEP_1)
	v_fmamk_f32 v1, v1, 0x4f800000, v4
	v_rcp_f32_e32 v1, v1
	s_waitcnt_depctr 0xfff
	v_mul_f32_e32 v1, 0x5f7ffffc, v1
	s_delay_alu instid0(VALU_DEP_1) | instskip(NEXT) | instid1(VALU_DEP_1)
	v_mul_f32_e32 v4, 0x2f800000, v1
	v_trunc_f32_e32 v4, v4
	s_delay_alu instid0(VALU_DEP_1) | instskip(SKIP_1) | instid1(VALU_DEP_2)
	v_fmamk_f32 v1, v4, 0xcf800000, v1
	v_cvt_u32_f32_e32 v4, v4
	v_cvt_u32_f32_e32 v1, v1
	s_delay_alu instid0(VALU_DEP_2) | instskip(NEXT) | instid1(VALU_DEP_2)
	v_readfirstlane_b32 s2, v4
	v_readfirstlane_b32 s7, v1
	s_delay_alu instid0(VALU_DEP_2) | instskip(NEXT) | instid1(VALU_DEP_1)
	s_mul_i32 s10, s8, s2
	s_mul_hi_u32 s12, s8, s7
	s_mul_i32 s11, s9, s7
	s_add_i32 s10, s12, s10
	s_mul_i32 s13, s8, s7
	s_add_i32 s10, s10, s11
	s_mul_hi_u32 s12, s7, s13
	s_mul_hi_u32 s14, s2, s13
	s_mul_i32 s11, s2, s13
	s_mul_hi_u32 s13, s7, s10
	s_mul_i32 s7, s7, s10
	s_mul_hi_u32 s18, s2, s10
	s_add_u32 s7, s12, s7
	s_addc_u32 s12, 0, s13
	s_add_u32 s7, s7, s11
	s_mul_i32 s10, s2, s10
	s_addc_u32 s7, s12, s14
	s_addc_u32 s11, s18, 0
	s_add_u32 s7, s7, s10
	s_addc_u32 s10, 0, s11
	v_add_co_u32 v1, s7, v1, s7
	s_delay_alu instid0(VALU_DEP_1) | instskip(SKIP_1) | instid1(VALU_DEP_1)
	s_cmp_lg_u32 s7, 0
	s_addc_u32 s2, s2, s10
	v_readfirstlane_b32 s7, v1
	s_mul_i32 s10, s8, s2
	s_delay_alu instid0(VALU_DEP_1)
	s_mul_hi_u32 s11, s8, s7
	s_mul_i32 s9, s9, s7
	s_add_i32 s10, s11, s10
	s_mul_i32 s8, s8, s7
	s_add_i32 s10, s10, s9
	s_mul_hi_u32 s11, s2, s8
	s_mul_i32 s12, s2, s8
	s_mul_hi_u32 s8, s7, s8
	s_mul_hi_u32 s13, s7, s10
	s_mul_i32 s7, s7, s10
	s_mul_hi_u32 s9, s2, s10
	s_add_u32 s7, s8, s7
	s_addc_u32 s8, 0, s13
	s_add_u32 s7, s7, s12
	s_mul_i32 s10, s2, s10
	s_addc_u32 s7, s8, s11
	s_addc_u32 s8, s9, 0
	s_add_u32 s7, s7, s10
	s_addc_u32 s8, 0, s8
	v_add_co_u32 v1, s7, v1, s7
	s_delay_alu instid0(VALU_DEP_1) | instskip(SKIP_2) | instid1(VALU_DEP_1)
	s_cmp_lg_u32 s7, 0
	s_addc_u32 s7, s2, s8
	s_ashr_i32 s8, s3, 31
	v_readfirstlane_b32 s10, v1
	s_add_u32 s2, s6, s8
	s_mov_b32 s9, s8
	s_addc_u32 s3, s3, s8
	s_delay_alu instid0(SALU_CYCLE_1) | instskip(NEXT) | instid1(SALU_CYCLE_1)
	s_xor_b64 s[2:3], s[2:3], s[8:9]
	s_mul_i32 s12, s2, s7
	s_mul_hi_u32 s13, s2, s10
	s_mul_hi_u32 s11, s2, s7
	;; [unrolled: 1-line block ×3, first 2 shown]
	s_mul_i32 s10, s3, s10
	s_add_u32 s12, s13, s12
	s_addc_u32 s11, 0, s11
	s_mul_hi_u32 s14, s3, s7
	s_add_u32 s10, s12, s10
	s_mul_i32 s7, s3, s7
	s_addc_u32 s10, s11, s18
	s_addc_u32 s11, s14, 0
	s_add_u32 s7, s10, s7
	s_addc_u32 s10, 0, s11
	s_mul_i32 s12, s29, s7
	s_add_u32 s11, s7, 1
	v_sub_co_u32 v1, s2, s2, s12
	s_mul_hi_u32 s12, s29, s7
	s_addc_u32 s13, s10, 0
	s_mul_i32 s14, s29, s10
	s_delay_alu instid0(VALU_DEP_1)
	v_sub_co_u32 v4, s18, v1, s29
	s_add_u32 s19, s7, 2
	s_addc_u32 s20, s10, 0
	s_add_i32 s12, s12, s14
	s_cmp_lg_u32 s2, 0
	v_readfirstlane_b32 s2, v4
	s_subb_u32 s3, s3, s12
	s_cmp_lg_u32 s18, 0
	s_subb_u32 s12, s3, 0
	s_delay_alu instid0(VALU_DEP_1) | instskip(SKIP_4) | instid1(SALU_CYCLE_1)
	s_cmp_ge_u32 s2, s29
	s_cselect_b32 s2, -1, 0
	s_cmp_eq_u32 s12, 0
	v_readfirstlane_b32 s12, v1
	s_cselect_b32 s2, s2, -1
	s_cmp_lg_u32 s2, 0
	s_cselect_b32 s2, s19, s11
	s_cselect_b32 s11, s20, s13
	s_cmp_ge_u32 s12, s29
	s_cselect_b32 s12, -1, 0
	s_cmp_eq_u32 s3, 0
	s_cselect_b32 s3, s12, -1
	s_delay_alu instid0(SALU_CYCLE_1) | instskip(SKIP_2) | instid1(SALU_CYCLE_1)
	s_cmp_lg_u32 s3, 0
	s_cselect_b32 s3, s11, s10
	s_cselect_b32 s2, s2, s7
	s_xor_b64 s[2:3], s[2:3], s[8:9]
	s_delay_alu instid0(SALU_CYCLE_1)
	s_sub_u32 s2, s2, s8
	s_subb_u32 s3, s3, s8
	s_cbranch_execnz .LBB7_5
.LBB7_4:
	v_cvt_f32_u32_e32 v1, s29
	s_sub_i32 s3, 0, s29
	s_delay_alu instid0(VALU_DEP_1) | instskip(SKIP_2) | instid1(VALU_DEP_1)
	v_rcp_iflag_f32_e32 v1, v1
	s_waitcnt_depctr 0xfff
	v_mul_f32_e32 v1, 0x4f7ffffe, v1
	v_cvt_u32_f32_e32 v1, v1
	s_delay_alu instid0(VALU_DEP_1) | instskip(NEXT) | instid1(VALU_DEP_1)
	v_readfirstlane_b32 s2, v1
	s_mul_i32 s3, s3, s2
	s_delay_alu instid0(SALU_CYCLE_1) | instskip(NEXT) | instid1(SALU_CYCLE_1)
	s_mul_hi_u32 s3, s2, s3
	s_add_i32 s2, s2, s3
	s_delay_alu instid0(SALU_CYCLE_1) | instskip(NEXT) | instid1(SALU_CYCLE_1)
	s_mul_hi_u32 s2, s6, s2
	s_mul_i32 s3, s2, s29
	s_delay_alu instid0(SALU_CYCLE_1)
	s_sub_i32 s3, s6, s3
	s_add_i32 s6, s2, 1
	s_sub_i32 s7, s3, s29
	s_cmp_ge_u32 s3, s29
	s_cselect_b32 s2, s6, s2
	s_cselect_b32 s3, s7, s3
	s_add_i32 s6, s2, 1
	s_cmp_ge_u32 s3, s29
	s_mov_b32 s3, 0
	s_cselect_b32 s2, s6, s2
.LBB7_5:
	v_mov_b32_e32 v1, 0
	s_add_u32 s2, s2, 1
	s_addc_u32 s3, s3, 0
	s_mul_hi_u32 s6, s28, s2
	s_mul_i32 s3, s28, s3
	v_mad_u64_u32 v[15:16], null, s5, s15, v[0:1]
	s_mul_hi_u32 s4, s4, s5
	s_add_i32 s3, s6, s3
	s_mul_i32 s4, s4, s2
	s_mul_i32 s2, s28, s2
	s_add_i32 s3, s3, s4
	s_mov_b32 s4, exec_lo
	s_lshl_b64 s[2:3], s[2:3], 2
	s_delay_alu instid0(SALU_CYCLE_1)
	v_cmpx_gt_i64_e64 s[2:3], v[15:16]
	s_cbranch_execz .LBB7_86
; %bb.6:
	v_alignbit_b32 v19, v3, v2, 2
	v_mad_u64_u32 v[6:7], null, 0xcd9e8d57, v15, 0
	v_lshrrev_b32_e32 v20, 2, v3
	s_waitcnt vmcnt(0)
	v_dual_mov_b32 v11, v14 :: v_dual_add_nc_u32 v28, 0x8ff34781, v13
	v_mad_u64_u32 v[4:5], null, 0xd2511f53, v19, 0
	v_add_co_u32 v22, null, 0x9e3779b9, v13
	v_xor3_b32 v3, v13, v7, v20
	s_delay_alu instid0(VALU_DEP_4) | instskip(SKIP_2) | instid1(VALU_DEP_4)
	v_add_co_u32 v21, null, 0xbb67ae85, v11
	v_add_co_u32 v23, null, 0x3c6ef372, v13
	v_xor_b32_e32 v0, v5, v14
	v_mad_u64_u32 v[7:8], null, 0xd2511f53, v3, 0
	v_add_co_u32 v24, null, 0x76cf5d0a, v11
	s_delay_alu instid0(VALU_DEP_3) | instskip(SKIP_2) | instid1(VALU_DEP_3)
	v_xor_b32_e32 v0, v0, v16
	v_add_co_u32 v25, null, 0x32370b8f, v11
	v_add_co_u32 v26, null, 0xdaa66d2b, v13
	v_mad_u64_u32 v[9:10], null, 0xcd9e8d57, v0, 0
	v_xor3_b32 v0, v21, v8, v4
	v_dual_mov_b32 v38, v15 :: v_dual_and_b32 v27, 3, v2
	v_add_co_u32 v29, null, 0x78dde6e4, v13
	s_delay_alu instid0(VALU_DEP_3) | instskip(SKIP_3) | instid1(VALU_DEP_3)
	v_mad_u64_u32 v[3:4], null, 0xcd9e8d57, v0, 0
	v_xor3_b32 v8, v22, v10, v6
	v_add_co_u32 v31, null, 0xed9eba14, v11
	v_add_co_u32 v33, null, 0xa9066899, v11
	v_mad_u64_u32 v[5:6], null, 0xd2511f53, v8, 0
	v_xor3_b32 v0, v23, v4, v9
	v_add_co_u32 v34, null, 0x1715609d, v13
	v_add_co_u32 v35, null, 0xb54cda56, v13
	;; [unrolled: 1-line block ×3, first 2 shown]
	v_xor3_b32 v4, v24, v6, v7
	v_mad_u64_u32 v[6:7], null, 0xd2511f53, v0, 0
	s_load_b256 s[4:11], s[0:1], 0x30
	v_add_co_u32 v32, null, 0x5384540f, v13
	s_delay_alu instid0(VALU_DEP_3) | instskip(SKIP_1) | instid1(VALU_DEP_4)
	v_mad_u64_u32 v[8:9], null, 0xcd9e8d57, v4, 0
	v_add_co_u32 v39, null, 0x1fd5c5a3, v11
	v_xor3_b32 v0, v25, v7, v5
	v_add_co_u32 v36, null, 0xf1bbcdc8, v13
	v_add_co_u32 v40, null, 0xdb3d7428, v11
	v_xor3_b32 v7, v26, v9, v3
	s_delay_alu instid0(VALU_DEP_4) | instskip(SKIP_2) | instid1(VALU_DEP_2)
	v_mad_u64_u32 v[2:3], null, 0xcd9e8d57, v0, 0
	s_add_u32 s18, s0, 48
	s_load_b64 s[20:21], s[0:1], 0x148
	v_mad_u64_u32 v[4:5], null, 0xd2511f53, v7, 0
	s_clause 0x1
	s_load_b64 s[22:23], s[0:1], 0xf4
	s_load_b128 s[12:15], s[0:1], 0x138
	s_addc_u32 s19, s1, 0
	v_xor3_b32 v0, v29, v3, v8
	s_waitcnt lgkmcnt(0)
	s_add_i32 s24, s4, -1
	v_mov_b32_e32 v41, v16
	s_cmp_gt_u32 s24, 1
	v_xor3_b32 v3, v31, v5, v6
	v_mad_u64_u32 v[5:6], null, 0xd2511f53, v0, 0
	s_cselect_b32 s11, -1, 0
	s_cmp_lg_u32 s4, 0
	s_delay_alu instid0(VALU_DEP_2) | instskip(SKIP_2) | instid1(VALU_DEP_2)
	v_mad_u64_u32 v[7:8], null, 0xcd9e8d57, v3, 0
	s_cselect_b32 s21, -1, 0
	s_add_u32 s0, s0, 0xf4
	v_xor3_b32 v0, v33, v6, v4
	s_addc_u32 s1, s1, 0
	s_min_u32 s25, s24, 15
	s_cmp_gt_u32 s4, 1
	s_delay_alu instid0(VALU_DEP_2) | instskip(SKIP_3) | instid1(VALU_DEP_2)
	v_xor3_b32 v4, v34, v8, v2
	v_mad_u64_u32 v[2:3], null, 0xcd9e8d57, v0, 0
	s_cselect_b32 s4, -1, 0
	s_add_i32 s25, s25, 1
	v_mad_u64_u32 v[8:9], null, 0xd2511f53, v4, 0
	s_lshl_b32 s31, s28, 1
	s_and_b32 s33, s25, 3
	s_delay_alu instid0(VALU_DEP_2) | instskip(SKIP_3) | instid1(VALU_DEP_2)
	v_xor3_b32 v0, v35, v3, v7
	s_cmp_lg_u32 s24, 2
	s_mov_b32 s30, 0
	s_cselect_b32 s34, -1, 0
	v_xor3_b32 v7, v37, v9, v5
	v_mad_u64_u32 v[3:4], null, 0xd2511f53, v0, 0
	s_and_b32 s35, s25, 28
	s_cmp_lg_u32 s33, 0
	s_delay_alu instid0(VALU_DEP_2) | instskip(SKIP_2) | instid1(VALU_DEP_2)
	v_mad_u64_u32 v[5:6], null, 0xcd9e8d57, v7, 0
	s_mul_i32 s36, s28, 3
	s_cselect_b32 s37, -1, 0
	v_xor3_b32 v0, v39, v4, v8
	s_delay_alu instid0(VALU_DEP_2) | instskip(NEXT) | instid1(VALU_DEP_2)
	v_xor3_b32 v2, v32, v6, v2
	v_mad_u64_u32 v[6:7], null, 0xcd9e8d57, v0, 0
	s_delay_alu instid0(VALU_DEP_2) | instskip(NEXT) | instid1(VALU_DEP_2)
	v_mad_u64_u32 v[8:9], null, 0xd2511f53, v2, 0
	v_xor3_b32 v0, v36, v7, v5
	s_delay_alu instid0(VALU_DEP_2) | instskip(NEXT) | instid1(VALU_DEP_2)
	v_xor3_b32 v2, v40, v9, v3
	v_mad_u64_u32 v[9:10], null, 0xd2511f53, v0, 0
	v_add_nc_u32_e32 v30, 0x96a522ad, v14
	s_delay_alu instid0(VALU_DEP_3) | instskip(NEXT) | instid1(VALU_DEP_3)
	v_mad_u64_u32 v[3:4], null, 0xcd9e8d57, v2, 0
	v_mov_b32_e32 v5, v9
	s_delay_alu instid0(VALU_DEP_2) | instskip(NEXT) | instid1(VALU_DEP_4)
	v_xor3_b32 v2, v4, v6, v28
	v_xor3_b32 v4, v10, v8, v30
	s_branch .LBB7_9
.LBB7_7:                                ;   in Loop: Header=BB7_9 Depth=1
	s_or_b32 exec_lo, exec_lo, s24
	s_delay_alu instid0(VALU_DEP_1)
	v_add_nc_u32_e32 v0, s20, v0
	global_store_b8 v2, v0, s[12:13]
.LBB7_8:                                ;   in Loop: Header=BB7_9 Depth=1
	s_or_b32 exec_lo, exec_lo, s38
	v_add_co_u32 v15, vcc_lo, v15, s29
	v_add_co_ci_u32_e32 v16, vcc_lo, 0, v16, vcc_lo
	v_mov_b32_e32 v9, v17
	v_dual_mov_b32 v2, v6 :: v_dual_mov_b32 v3, v7
	s_delay_alu instid0(VALU_DEP_3) | instskip(NEXT) | instid1(VALU_DEP_3)
	v_cmp_le_i64_e32 vcc_lo, s[2:3], v[15:16]
	v_dual_mov_b32 v4, v8 :: v_dual_mov_b32 v5, v9
	s_waitcnt_vscnt null, 0x0
	s_barrier
	buffer_gl0_inv
	s_or_b32 s30, vcc_lo, s30
	s_delay_alu instid0(SALU_CYCLE_1)
	s_and_not1_b32 exec_lo, exec_lo, s30
	s_cbranch_execz .LBB7_86
.LBB7_9:                                ; =>This Loop Header: Depth=1
                                        ;     Child Loop BB7_24 Depth 2
                                        ;     Child Loop BB7_29 Depth 2
	;; [unrolled: 1-line block ×8, first 2 shown]
	v_add_co_u32 v19, vcc_lo, v19, 1
	s_delay_alu instid0(VALU_DEP_1) | instskip(SKIP_1) | instid1(VALU_DEP_3)
	v_cndmask_b32_e64 v0, 0, 1, vcc_lo
	v_add_co_ci_u32_e32 v20, vcc_lo, 0, v20, vcc_lo
	v_mad_u64_u32 v[6:7], null, 0xd2511f53, v19, 0
	s_mov_b32 s24, exec_lo
	s_delay_alu instid0(VALU_DEP_2) | instskip(SKIP_1) | instid1(VALU_DEP_1)
	v_cmp_eq_u32_e32 vcc_lo, 0, v20
	v_cndmask_b32_e32 v0, 0, v0, vcc_lo
	v_add_nc_u32_e32 v38, v0, v38
	s_delay_alu instid0(VALU_DEP_1) | instskip(SKIP_2) | instid1(VALU_DEP_1)
	v_cmp_eq_u32_e32 vcc_lo, 0, v38
	v_mad_u64_u32 v[8:9], null, 0xcd9e8d57, v38, 0
	v_cndmask_b32_e32 v0, 0, v0, vcc_lo
	v_add_nc_u32_e32 v41, v0, v41
	v_xor_b32_e32 v0, v7, v14
	s_delay_alu instid0(VALU_DEP_4) | instskip(NEXT) | instid1(VALU_DEP_2)
	v_xor3_b32 v7, v9, v13, v20
	v_xor_b32_e32 v0, v41, v0
	s_delay_alu instid0(VALU_DEP_2) | instskip(NEXT) | instid1(VALU_DEP_2)
	v_mad_u64_u32 v[9:10], null, 0xd2511f53, v7, 0
	v_mad_u64_u32 v[11:12], null, 0xcd9e8d57, v0, 0
	s_delay_alu instid0(VALU_DEP_2) | instskip(NEXT) | instid1(VALU_DEP_2)
	v_xor3_b32 v0, v21, v10, v6
	v_xor3_b32 v8, v22, v12, v8
	s_delay_alu instid0(VALU_DEP_2) | instskip(NEXT) | instid1(VALU_DEP_2)
	v_mad_u64_u32 v[6:7], null, 0xcd9e8d57, v0, 0
	v_mad_u64_u32 v[17:18], null, 0xd2511f53, v8, 0
	s_delay_alu instid0(VALU_DEP_2) | instskip(NEXT) | instid1(VALU_DEP_2)
	v_xor3_b32 v0, v23, v7, v11
	v_xor3_b32 v11, v24, v18, v9
	;; [unrolled: 6-line block ×9, first 2 shown]
	s_delay_alu instid0(VALU_DEP_2)
	v_mov_b32_e32 v8, v12
	v_cmpx_lt_i32_e32 1, v27
	s_xor_b32 s24, exec_lo, s24
	s_cbranch_execnz .LBB7_12
; %bb.10:                               ;   in Loop: Header=BB7_9 Depth=1
	s_and_not1_saveexec_b32 s24, s24
	s_cbranch_execnz .LBB7_17
.LBB7_11:                               ;   in Loop: Header=BB7_9 Depth=1
	s_or_b32 exec_lo, exec_lo, s24
	s_delay_alu instid0(SALU_CYCLE_1)
	s_mov_b32 s38, exec_lo
	v_cmpx_gt_i64_e64 s[16:17], v[15:16]
	s_cbranch_execnz .LBB7_20
	s_branch .LBB7_36
.LBB7_12:                               ;   in Loop: Header=BB7_9 Depth=1
	s_mov_b32 s25, exec_lo
	v_cmpx_lt_i32_e32 2, v27
	s_xor_b32 s25, exec_lo, s25
; %bb.13:                               ;   in Loop: Header=BB7_9 Depth=1
	v_dual_mov_b32 v9, v5 :: v_dual_mov_b32 v10, v6
	v_mov_b32_e32 v11, v7
	s_delay_alu instid0(VALU_DEP_2) | instskip(NEXT) | instid1(VALU_DEP_2)
	v_dual_mov_b32 v2, v9 :: v_dual_mov_b32 v3, v10
	v_dual_mov_b32 v4, v11 :: v_dual_mov_b32 v5, v12
; %bb.14:                               ;   in Loop: Header=BB7_9 Depth=1
	s_and_not1_saveexec_b32 s25, s25
; %bb.15:                               ;   in Loop: Header=BB7_9 Depth=1
	s_delay_alu instid0(VALU_DEP_1)
	v_dual_mov_b32 v2, v4 :: v_dual_mov_b32 v3, v5
	v_dual_mov_b32 v4, v6 :: v_dual_mov_b32 v5, v7
; %bb.16:                               ;   in Loop: Header=BB7_9 Depth=1
	s_or_b32 exec_lo, exec_lo, s25
	s_and_not1_saveexec_b32 s24, s24
	s_cbranch_execz .LBB7_11
.LBB7_17:                               ;   in Loop: Header=BB7_9 Depth=1
	s_mov_b32 s25, exec_lo
	v_cmpx_eq_u32_e32 1, v27
; %bb.18:                               ;   in Loop: Header=BB7_9 Depth=1
	v_dual_mov_b32 v2, v3 :: v_dual_mov_b32 v3, v4
	v_dual_mov_b32 v4, v5 :: v_dual_mov_b32 v5, v6
; %bb.19:                               ;   in Loop: Header=BB7_9 Depth=1
	s_or_b32 exec_lo, exec_lo, s25
	s_delay_alu instid0(SALU_CYCLE_1) | instskip(NEXT) | instid1(SALU_CYCLE_1)
	s_or_b32 exec_lo, exec_lo, s24
	s_mov_b32 s38, exec_lo
	v_cmpx_gt_i64_e64 s[16:17], v[15:16]
	s_cbranch_execz .LBB7_36
.LBB7_20:                               ;   in Loop: Header=BB7_9 Depth=1
	s_and_not1_b32 vcc_lo, exec_lo, s11
	s_cbranch_vccnz .LBB7_26
; %bb.21:                               ;   in Loop: Header=BB7_9 Depth=1
	v_mov_b32_e32 v9, 0
	s_and_not1_b32 vcc_lo, exec_lo, s21
	s_cbranch_vccnz .LBB7_30
; %bb.22:                               ;   in Loop: Header=BB7_9 Depth=1
	s_and_not1_b32 vcc_lo, exec_lo, s34
	s_mov_b32 s24, 0
	s_cbranch_vccnz .LBB7_27
; %bb.23:                               ;   in Loop: Header=BB7_9 Depth=1
	v_dual_mov_b32 v9, 0 :: v_dual_mov_b32 v0, v15
	s_mov_b32 s39, 0
	s_mov_b64 s[24:25], s[18:19]
	s_mov_b64 s[26:27], s[0:1]
.LBB7_24:                               ;   Parent Loop BB7_9 Depth=1
                                        ; =>  This Inner Loop Header: Depth=2
	s_clause 0x1
	s_load_b256 s[40:47], s[24:25], 0x4
	s_load_b128 s[48:51], s[24:25], 0x24
	s_load_b128 s[52:55], s[26:27], 0x0
	s_add_u32 s24, s24, 48
	s_addc_u32 s25, s25, 0
	s_add_i32 s39, s39, 4
	s_add_u32 s26, s26, 16
	s_addc_u32 s27, s27, 0
	s_cmp_lg_u32 s35, s39
	s_waitcnt lgkmcnt(0)
	v_mul_hi_u32 v10, s41, v0
	s_delay_alu instid0(VALU_DEP_1) | instskip(NEXT) | instid1(VALU_DEP_1)
	v_add_nc_u32_e32 v10, v0, v10
	v_lshrrev_b32_e32 v10, s42, v10
	s_delay_alu instid0(VALU_DEP_1) | instskip(SKIP_1) | instid1(VALU_DEP_2)
	v_mul_hi_u32 v11, s44, v10
	v_mul_lo_u32 v42, v10, s40
	v_add_nc_u32_e32 v11, v10, v11
	s_delay_alu instid0(VALU_DEP_2) | instskip(NEXT) | instid1(VALU_DEP_2)
	v_sub_nc_u32_e32 v42, v0, v42
	v_lshrrev_b32_e32 v11, s45, v11
	s_delay_alu instid0(VALU_DEP_2) | instskip(NEXT) | instid1(VALU_DEP_2)
	v_mul_lo_u32 v42, v42, s52
	v_mul_hi_u32 v12, s47, v11
	v_mul_lo_u32 v43, v11, s43
	s_delay_alu instid0(VALU_DEP_2) | instskip(NEXT) | instid1(VALU_DEP_2)
	v_add_nc_u32_e32 v12, v11, v12
	v_sub_nc_u32_e32 v10, v10, v43
	s_delay_alu instid0(VALU_DEP_2) | instskip(NEXT) | instid1(VALU_DEP_2)
	v_lshrrev_b32_e32 v12, s48, v12
	v_mul_lo_u32 v10, v10, s53
	s_delay_alu instid0(VALU_DEP_2) | instskip(NEXT) | instid1(VALU_DEP_2)
	v_mul_hi_u32 v18, s50, v12
	v_add3_u32 v9, v42, v9, v10
	s_delay_alu instid0(VALU_DEP_2) | instskip(NEXT) | instid1(VALU_DEP_1)
	v_add_nc_u32_e32 v18, v12, v18
	v_lshrrev_b32_e32 v0, s51, v18
	v_mul_lo_u32 v18, v12, s46
	s_delay_alu instid0(VALU_DEP_2) | instskip(NEXT) | instid1(VALU_DEP_2)
	v_mul_lo_u32 v44, v0, s49
	v_sub_nc_u32_e32 v11, v11, v18
	s_delay_alu instid0(VALU_DEP_2) | instskip(NEXT) | instid1(VALU_DEP_2)
	v_sub_nc_u32_e32 v12, v12, v44
	v_mul_lo_u32 v11, v11, s54
	s_delay_alu instid0(VALU_DEP_2) | instskip(NEXT) | instid1(VALU_DEP_1)
	v_mul_lo_u32 v12, v12, s55
	v_add3_u32 v9, v11, v9, v12
	s_cbranch_scc1 .LBB7_24
; %bb.25:                               ;   in Loop: Header=BB7_9 Depth=1
	s_mov_b32 s24, s35
	s_and_not1_b32 vcc_lo, exec_lo, s37
	s_cbranch_vccz .LBB7_28
	s_branch .LBB7_30
.LBB7_26:                               ;   in Loop: Header=BB7_9 Depth=1
                                        ; implicit-def: $vgpr9
	s_branch .LBB7_31
.LBB7_27:                               ;   in Loop: Header=BB7_9 Depth=1
	v_mov_b32_e32 v0, v15
	s_and_not1_b32 vcc_lo, exec_lo, s37
	s_cbranch_vccnz .LBB7_30
.LBB7_28:                               ;   in Loop: Header=BB7_9 Depth=1
	s_lshl_b32 s25, s24, 2
	s_mul_i32 s26, s24, 12
	s_add_u32 s24, s0, s25
	s_addc_u32 s25, s1, 0
	s_add_u32 s26, s18, s26
	s_addc_u32 s27, s19, 0
	s_mov_b32 s39, s33
	.p2align	6
.LBB7_29:                               ;   Parent Loop BB7_9 Depth=1
                                        ; =>  This Inner Loop Header: Depth=2
	s_clause 0x1
	s_load_b64 s[40:41], s[26:27], 0x4
	s_load_b32 s42, s[26:27], 0xc
	s_add_u32 s26, s26, 12
	s_addc_u32 s27, s27, 0
	s_waitcnt lgkmcnt(0)
	v_mul_hi_u32 v10, s41, v0
	s_load_b32 s41, s[24:25], 0x0
	s_add_u32 s24, s24, 4
	s_addc_u32 s25, s25, 0
	s_add_i32 s39, s39, -1
	s_delay_alu instid0(SALU_CYCLE_1) | instskip(NEXT) | instid1(VALU_DEP_1)
	s_cmp_lg_u32 s39, 0
	v_add_nc_u32_e32 v10, v0, v10
	s_delay_alu instid0(VALU_DEP_1) | instskip(NEXT) | instid1(VALU_DEP_1)
	v_lshrrev_b32_e32 v12, s42, v10
	v_mul_lo_u32 v10, v12, s40
	s_delay_alu instid0(VALU_DEP_1) | instskip(SKIP_1) | instid1(VALU_DEP_1)
	v_sub_nc_u32_e32 v0, v0, v10
	s_waitcnt lgkmcnt(0)
	v_mad_u64_u32 v[10:11], null, v0, s41, v[9:10]
	s_delay_alu instid0(VALU_DEP_1)
	v_dual_mov_b32 v0, v12 :: v_dual_mov_b32 v9, v10
	s_cbranch_scc1 .LBB7_29
.LBB7_30:                               ;   in Loop: Header=BB7_9 Depth=1
	s_cbranch_execnz .LBB7_33
.LBB7_31:                               ;   in Loop: Header=BB7_9 Depth=1
	v_mul_hi_u32 v0, v15, s6
	s_and_not1_b32 vcc_lo, exec_lo, s4
	s_delay_alu instid0(VALU_DEP_1) | instskip(NEXT) | instid1(VALU_DEP_1)
	v_add_nc_u32_e32 v0, v0, v15
	v_lshrrev_b32_e32 v0, s7, v0
	s_delay_alu instid0(VALU_DEP_1) | instskip(NEXT) | instid1(VALU_DEP_1)
	v_mul_lo_u32 v9, v0, s5
	v_sub_nc_u32_e32 v9, v15, v9
	s_delay_alu instid0(VALU_DEP_1)
	v_mul_lo_u32 v9, v9, s22
	s_cbranch_vccnz .LBB7_33
; %bb.32:                               ;   in Loop: Header=BB7_9 Depth=1
	v_mul_hi_u32 v10, s9, v0
	s_delay_alu instid0(VALU_DEP_1) | instskip(NEXT) | instid1(VALU_DEP_1)
	v_add_nc_u32_e32 v10, v0, v10
	v_lshrrev_b32_e32 v10, s10, v10
	s_delay_alu instid0(VALU_DEP_1) | instskip(NEXT) | instid1(VALU_DEP_1)
	v_mul_lo_u32 v10, v10, s8
	v_sub_nc_u32_e32 v0, v0, v10
	s_delay_alu instid0(VALU_DEP_1) | instskip(NEXT) | instid1(VALU_DEP_1)
	v_mad_u64_u32 v[10:11], null, v0, s23, v[9:10]
	v_mov_b32_e32 v9, v10
.LBB7_33:                               ;   in Loop: Header=BB7_9 Depth=1
	v_mov_b32_e32 v0, v2
	s_mov_b32 s24, exec_lo
	s_delay_alu instid0(VALU_DEP_1)
	v_cmpx_le_u64_e64 s[14:15], v[0:1]
	s_cbranch_execz .LBB7_35
; %bb.34:                               ;   in Loop: Header=BB7_9 Depth=1
	v_cvt_f32_u32_e32 v2, s14
	s_sub_i32 s25, 0, s14
	s_delay_alu instid0(VALU_DEP_1) | instskip(SKIP_2) | instid1(VALU_DEP_1)
	v_rcp_iflag_f32_e32 v2, v2
	s_waitcnt_depctr 0xfff
	v_mul_f32_e32 v2, 0x4f7ffffe, v2
	v_cvt_u32_f32_e32 v2, v2
	s_delay_alu instid0(VALU_DEP_1) | instskip(NEXT) | instid1(VALU_DEP_1)
	v_mul_lo_u32 v10, s25, v2
	v_mul_hi_u32 v10, v2, v10
	s_delay_alu instid0(VALU_DEP_1) | instskip(NEXT) | instid1(VALU_DEP_1)
	v_add_nc_u32_e32 v2, v2, v10
	v_mul_hi_u32 v2, v0, v2
	s_delay_alu instid0(VALU_DEP_1) | instskip(NEXT) | instid1(VALU_DEP_1)
	v_mul_lo_u32 v2, v2, s14
	v_sub_nc_u32_e32 v0, v0, v2
	s_delay_alu instid0(VALU_DEP_1) | instskip(SKIP_1) | instid1(VALU_DEP_2)
	v_subrev_nc_u32_e32 v2, s14, v0
	v_cmp_le_u32_e32 vcc_lo, s14, v0
	v_cndmask_b32_e32 v0, v0, v2, vcc_lo
	s_delay_alu instid0(VALU_DEP_1) | instskip(SKIP_1) | instid1(VALU_DEP_2)
	v_subrev_nc_u32_e32 v2, s14, v0
	v_cmp_le_u32_e32 vcc_lo, s14, v0
	v_cndmask_b32_e32 v0, v0, v2, vcc_lo
.LBB7_35:                               ;   in Loop: Header=BB7_9 Depth=1
	s_or_b32 exec_lo, exec_lo, s24
	s_delay_alu instid0(VALU_DEP_1)
	v_add_nc_u32_e32 v0, s20, v0
	global_store_b8 v9, v0, s[12:13]
.LBB7_36:                               ;   in Loop: Header=BB7_9 Depth=1
	s_or_b32 exec_lo, exec_lo, s38
	v_add_co_u32 v9, vcc_lo, v15, s28
	v_add_co_ci_u32_e32 v10, vcc_lo, 0, v16, vcc_lo
	s_mov_b32 s38, exec_lo
	s_delay_alu instid0(VALU_DEP_1)
	v_cmpx_gt_i64_e64 s[16:17], v[9:10]
	s_cbranch_execz .LBB7_53
; %bb.37:                               ;   in Loop: Header=BB7_9 Depth=1
	s_and_not1_b32 vcc_lo, exec_lo, s11
	s_cbranch_vccnz .LBB7_43
; %bb.38:                               ;   in Loop: Header=BB7_9 Depth=1
	v_mov_b32_e32 v2, 0
	s_and_not1_b32 vcc_lo, exec_lo, s21
	s_cbranch_vccnz .LBB7_47
; %bb.39:                               ;   in Loop: Header=BB7_9 Depth=1
	s_and_not1_b32 vcc_lo, exec_lo, s34
	s_mov_b32 s24, 0
	s_cbranch_vccnz .LBB7_44
; %bb.40:                               ;   in Loop: Header=BB7_9 Depth=1
	v_mov_b32_e32 v2, 0
	v_mov_b32_e32 v0, v9
	s_mov_b32 s39, 0
	s_mov_b64 s[24:25], s[18:19]
	s_mov_b64 s[26:27], s[0:1]
.LBB7_41:                               ;   Parent Loop BB7_9 Depth=1
                                        ; =>  This Inner Loop Header: Depth=2
	s_clause 0x1
	s_load_b256 s[40:47], s[24:25], 0x4
	s_load_b128 s[48:51], s[24:25], 0x24
	s_load_b128 s[52:55], s[26:27], 0x0
	s_add_u32 s24, s24, 48
	s_addc_u32 s25, s25, 0
	s_add_i32 s39, s39, 4
	s_add_u32 s26, s26, 16
	s_addc_u32 s27, s27, 0
	s_cmp_eq_u32 s35, s39
	s_waitcnt lgkmcnt(0)
	v_mul_hi_u32 v10, s41, v0
	s_delay_alu instid0(VALU_DEP_1) | instskip(NEXT) | instid1(VALU_DEP_1)
	v_add_nc_u32_e32 v10, v0, v10
	v_lshrrev_b32_e32 v10, s42, v10
	s_delay_alu instid0(VALU_DEP_1) | instskip(SKIP_1) | instid1(VALU_DEP_2)
	v_mul_hi_u32 v11, s44, v10
	v_mul_lo_u32 v42, v10, s40
	v_add_nc_u32_e32 v11, v10, v11
	s_delay_alu instid0(VALU_DEP_2) | instskip(NEXT) | instid1(VALU_DEP_2)
	v_sub_nc_u32_e32 v42, v0, v42
	v_lshrrev_b32_e32 v11, s45, v11
	s_delay_alu instid0(VALU_DEP_2) | instskip(NEXT) | instid1(VALU_DEP_2)
	v_mul_lo_u32 v42, v42, s52
	v_mul_hi_u32 v12, s47, v11
	v_mul_lo_u32 v43, v11, s43
	s_delay_alu instid0(VALU_DEP_2) | instskip(NEXT) | instid1(VALU_DEP_2)
	v_add_nc_u32_e32 v12, v11, v12
	v_sub_nc_u32_e32 v10, v10, v43
	s_delay_alu instid0(VALU_DEP_2) | instskip(NEXT) | instid1(VALU_DEP_2)
	v_lshrrev_b32_e32 v12, s48, v12
	v_mul_lo_u32 v10, v10, s53
	s_delay_alu instid0(VALU_DEP_2) | instskip(NEXT) | instid1(VALU_DEP_2)
	v_mul_hi_u32 v18, s50, v12
	v_add3_u32 v2, v42, v2, v10
	s_delay_alu instid0(VALU_DEP_2) | instskip(NEXT) | instid1(VALU_DEP_1)
	v_add_nc_u32_e32 v18, v12, v18
	v_lshrrev_b32_e32 v0, s51, v18
	v_mul_lo_u32 v18, v12, s46
	s_delay_alu instid0(VALU_DEP_2) | instskip(NEXT) | instid1(VALU_DEP_2)
	v_mul_lo_u32 v44, v0, s49
	v_sub_nc_u32_e32 v11, v11, v18
	s_delay_alu instid0(VALU_DEP_2) | instskip(NEXT) | instid1(VALU_DEP_2)
	v_sub_nc_u32_e32 v12, v12, v44
	v_mul_lo_u32 v11, v11, s54
	s_delay_alu instid0(VALU_DEP_2) | instskip(NEXT) | instid1(VALU_DEP_1)
	v_mul_lo_u32 v12, v12, s55
	v_add3_u32 v2, v11, v2, v12
	s_cbranch_scc0 .LBB7_41
; %bb.42:                               ;   in Loop: Header=BB7_9 Depth=1
	s_mov_b32 s24, s35
	s_and_not1_b32 vcc_lo, exec_lo, s37
	s_cbranch_vccz .LBB7_45
	s_branch .LBB7_47
.LBB7_43:                               ;   in Loop: Header=BB7_9 Depth=1
                                        ; implicit-def: $vgpr2
	s_branch .LBB7_48
.LBB7_44:                               ;   in Loop: Header=BB7_9 Depth=1
	v_mov_b32_e32 v0, v9
	s_and_not1_b32 vcc_lo, exec_lo, s37
	s_cbranch_vccnz .LBB7_47
.LBB7_45:                               ;   in Loop: Header=BB7_9 Depth=1
	s_lshl_b32 s25, s24, 2
	s_mul_i32 s26, s24, 12
	s_add_u32 s24, s0, s25
	s_addc_u32 s25, s1, 0
	s_add_u32 s26, s18, s26
	s_addc_u32 s27, s19, 0
	s_mov_b32 s39, s33
	.p2align	6
.LBB7_46:                               ;   Parent Loop BB7_9 Depth=1
                                        ; =>  This Inner Loop Header: Depth=2
	s_clause 0x1
	s_load_b64 s[40:41], s[26:27], 0x4
	s_load_b32 s42, s[26:27], 0xc
	s_add_u32 s26, s26, 12
	s_addc_u32 s27, s27, 0
	s_waitcnt lgkmcnt(0)
	v_mul_hi_u32 v10, s41, v0
	s_load_b32 s41, s[24:25], 0x0
	s_add_u32 s24, s24, 4
	s_addc_u32 s25, s25, 0
	s_add_i32 s39, s39, -1
	s_delay_alu instid0(SALU_CYCLE_1) | instskip(NEXT) | instid1(VALU_DEP_1)
	s_cmp_lg_u32 s39, 0
	v_add_nc_u32_e32 v10, v0, v10
	s_delay_alu instid0(VALU_DEP_1) | instskip(NEXT) | instid1(VALU_DEP_1)
	v_lshrrev_b32_e32 v12, s42, v10
	v_mul_lo_u32 v10, v12, s40
	s_delay_alu instid0(VALU_DEP_1) | instskip(SKIP_1) | instid1(VALU_DEP_1)
	v_sub_nc_u32_e32 v0, v0, v10
	s_waitcnt lgkmcnt(0)
	v_mad_u64_u32 v[10:11], null, v0, s41, v[2:3]
	v_mov_b32_e32 v0, v12
	s_delay_alu instid0(VALU_DEP_2)
	v_mov_b32_e32 v2, v10
	s_cbranch_scc1 .LBB7_46
.LBB7_47:                               ;   in Loop: Header=BB7_9 Depth=1
	s_cbranch_execnz .LBB7_50
.LBB7_48:                               ;   in Loop: Header=BB7_9 Depth=1
	v_mul_hi_u32 v0, v9, s6
	s_and_not1_b32 vcc_lo, exec_lo, s4
	s_delay_alu instid0(VALU_DEP_1) | instskip(NEXT) | instid1(VALU_DEP_1)
	v_add_nc_u32_e32 v0, v0, v9
	v_lshrrev_b32_e32 v0, s7, v0
	s_delay_alu instid0(VALU_DEP_1) | instskip(NEXT) | instid1(VALU_DEP_1)
	v_mul_lo_u32 v2, v0, s5
	v_sub_nc_u32_e32 v2, v9, v2
	s_delay_alu instid0(VALU_DEP_1)
	v_mul_lo_u32 v2, v2, s22
	s_cbranch_vccnz .LBB7_50
; %bb.49:                               ;   in Loop: Header=BB7_9 Depth=1
	v_mul_hi_u32 v9, s9, v0
	s_delay_alu instid0(VALU_DEP_1) | instskip(NEXT) | instid1(VALU_DEP_1)
	v_add_nc_u32_e32 v9, v0, v9
	v_lshrrev_b32_e32 v9, s10, v9
	s_delay_alu instid0(VALU_DEP_1) | instskip(NEXT) | instid1(VALU_DEP_1)
	v_mul_lo_u32 v9, v9, s8
	v_sub_nc_u32_e32 v0, v0, v9
	s_delay_alu instid0(VALU_DEP_1) | instskip(NEXT) | instid1(VALU_DEP_1)
	v_mad_u64_u32 v[9:10], null, v0, s23, v[2:3]
	v_mov_b32_e32 v2, v9
.LBB7_50:                               ;   in Loop: Header=BB7_9 Depth=1
	v_mov_b32_e32 v0, v3
	s_mov_b32 s24, exec_lo
	s_delay_alu instid0(VALU_DEP_1)
	v_cmpx_le_u64_e64 s[14:15], v[0:1]
	s_cbranch_execz .LBB7_52
; %bb.51:                               ;   in Loop: Header=BB7_9 Depth=1
	v_cvt_f32_u32_e32 v3, s14
	s_sub_i32 s25, 0, s14
	s_delay_alu instid0(VALU_DEP_1) | instskip(SKIP_2) | instid1(VALU_DEP_1)
	v_rcp_iflag_f32_e32 v3, v3
	s_waitcnt_depctr 0xfff
	v_mul_f32_e32 v3, 0x4f7ffffe, v3
	v_cvt_u32_f32_e32 v3, v3
	s_delay_alu instid0(VALU_DEP_1) | instskip(NEXT) | instid1(VALU_DEP_1)
	v_mul_lo_u32 v9, s25, v3
	v_mul_hi_u32 v9, v3, v9
	s_delay_alu instid0(VALU_DEP_1) | instskip(NEXT) | instid1(VALU_DEP_1)
	v_add_nc_u32_e32 v3, v3, v9
	v_mul_hi_u32 v3, v0, v3
	s_delay_alu instid0(VALU_DEP_1) | instskip(NEXT) | instid1(VALU_DEP_1)
	v_mul_lo_u32 v3, v3, s14
	v_sub_nc_u32_e32 v0, v0, v3
	s_delay_alu instid0(VALU_DEP_1) | instskip(SKIP_1) | instid1(VALU_DEP_2)
	v_subrev_nc_u32_e32 v3, s14, v0
	v_cmp_le_u32_e32 vcc_lo, s14, v0
	v_cndmask_b32_e32 v0, v0, v3, vcc_lo
	s_delay_alu instid0(VALU_DEP_1) | instskip(SKIP_1) | instid1(VALU_DEP_2)
	v_subrev_nc_u32_e32 v3, s14, v0
	v_cmp_le_u32_e32 vcc_lo, s14, v0
	v_cndmask_b32_e32 v0, v0, v3, vcc_lo
.LBB7_52:                               ;   in Loop: Header=BB7_9 Depth=1
	s_or_b32 exec_lo, exec_lo, s24
	s_delay_alu instid0(VALU_DEP_1)
	v_add_nc_u32_e32 v0, s20, v0
	global_store_b8 v2, v0, s[12:13]
.LBB7_53:                               ;   in Loop: Header=BB7_9 Depth=1
	s_or_b32 exec_lo, exec_lo, s38
	v_add_co_u32 v9, vcc_lo, v15, s31
	v_add_co_ci_u32_e32 v10, vcc_lo, 0, v16, vcc_lo
	s_mov_b32 s38, exec_lo
	s_delay_alu instid0(VALU_DEP_1)
	v_cmpx_gt_i64_e64 s[16:17], v[9:10]
	s_cbranch_execz .LBB7_70
; %bb.54:                               ;   in Loop: Header=BB7_9 Depth=1
	s_and_not1_b32 vcc_lo, exec_lo, s11
	s_cbranch_vccnz .LBB7_60
; %bb.55:                               ;   in Loop: Header=BB7_9 Depth=1
	v_mov_b32_e32 v2, 0
	s_and_not1_b32 vcc_lo, exec_lo, s21
	s_cbranch_vccnz .LBB7_64
; %bb.56:                               ;   in Loop: Header=BB7_9 Depth=1
	s_and_not1_b32 vcc_lo, exec_lo, s34
	s_mov_b32 s24, 0
	s_cbranch_vccnz .LBB7_61
; %bb.57:                               ;   in Loop: Header=BB7_9 Depth=1
	v_mov_b32_e32 v2, 0
	v_mov_b32_e32 v0, v9
	s_mov_b32 s39, 0
	s_mov_b64 s[24:25], s[18:19]
	s_mov_b64 s[26:27], s[0:1]
.LBB7_58:                               ;   Parent Loop BB7_9 Depth=1
                                        ; =>  This Inner Loop Header: Depth=2
	s_clause 0x1
	s_load_b256 s[40:47], s[24:25], 0x4
	s_load_b128 s[48:51], s[24:25], 0x24
	s_load_b128 s[52:55], s[26:27], 0x0
	s_add_u32 s24, s24, 48
	s_addc_u32 s25, s25, 0
	s_add_i32 s39, s39, 4
	s_add_u32 s26, s26, 16
	s_addc_u32 s27, s27, 0
	s_cmp_eq_u32 s35, s39
	s_waitcnt lgkmcnt(0)
	v_mul_hi_u32 v3, s41, v0
	s_delay_alu instid0(VALU_DEP_1) | instskip(NEXT) | instid1(VALU_DEP_1)
	v_add_nc_u32_e32 v3, v0, v3
	v_lshrrev_b32_e32 v3, s42, v3
	s_delay_alu instid0(VALU_DEP_1) | instskip(SKIP_1) | instid1(VALU_DEP_2)
	v_mul_hi_u32 v10, s44, v3
	v_mul_lo_u32 v18, v3, s40
	v_add_nc_u32_e32 v10, v3, v10
	s_delay_alu instid0(VALU_DEP_2) | instskip(NEXT) | instid1(VALU_DEP_2)
	v_sub_nc_u32_e32 v18, v0, v18
	v_lshrrev_b32_e32 v10, s45, v10
	s_delay_alu instid0(VALU_DEP_2) | instskip(NEXT) | instid1(VALU_DEP_2)
	v_mul_lo_u32 v18, v18, s52
	v_mul_hi_u32 v11, s47, v10
	v_mul_lo_u32 v42, v10, s43
	s_delay_alu instid0(VALU_DEP_2) | instskip(NEXT) | instid1(VALU_DEP_2)
	v_add_nc_u32_e32 v11, v10, v11
	v_sub_nc_u32_e32 v3, v3, v42
	s_delay_alu instid0(VALU_DEP_2) | instskip(NEXT) | instid1(VALU_DEP_2)
	v_lshrrev_b32_e32 v11, s48, v11
	v_mul_lo_u32 v3, v3, s53
	s_delay_alu instid0(VALU_DEP_2) | instskip(NEXT) | instid1(VALU_DEP_2)
	v_mul_hi_u32 v12, s50, v11
	v_add3_u32 v2, v18, v2, v3
	s_delay_alu instid0(VALU_DEP_2) | instskip(NEXT) | instid1(VALU_DEP_1)
	v_add_nc_u32_e32 v12, v11, v12
	v_lshrrev_b32_e32 v0, s51, v12
	v_mul_lo_u32 v12, v11, s46
	s_delay_alu instid0(VALU_DEP_2) | instskip(NEXT) | instid1(VALU_DEP_2)
	v_mul_lo_u32 v43, v0, s49
	v_sub_nc_u32_e32 v10, v10, v12
	s_delay_alu instid0(VALU_DEP_2) | instskip(NEXT) | instid1(VALU_DEP_2)
	v_sub_nc_u32_e32 v11, v11, v43
	v_mul_lo_u32 v10, v10, s54
	s_delay_alu instid0(VALU_DEP_2) | instskip(NEXT) | instid1(VALU_DEP_1)
	v_mul_lo_u32 v11, v11, s55
	v_add3_u32 v2, v10, v2, v11
	s_cbranch_scc0 .LBB7_58
; %bb.59:                               ;   in Loop: Header=BB7_9 Depth=1
	s_mov_b32 s24, s35
	s_and_not1_b32 vcc_lo, exec_lo, s37
	s_cbranch_vccz .LBB7_62
	s_branch .LBB7_64
.LBB7_60:                               ;   in Loop: Header=BB7_9 Depth=1
                                        ; implicit-def: $vgpr2
	s_branch .LBB7_65
.LBB7_61:                               ;   in Loop: Header=BB7_9 Depth=1
	v_mov_b32_e32 v0, v9
	s_and_not1_b32 vcc_lo, exec_lo, s37
	s_cbranch_vccnz .LBB7_64
.LBB7_62:                               ;   in Loop: Header=BB7_9 Depth=1
	s_lshl_b32 s25, s24, 2
	s_mul_i32 s26, s24, 12
	s_add_u32 s24, s0, s25
	s_addc_u32 s25, s1, 0
	s_add_u32 s26, s18, s26
	s_addc_u32 s27, s19, 0
	s_mov_b32 s39, s33
	.p2align	6
.LBB7_63:                               ;   Parent Loop BB7_9 Depth=1
                                        ; =>  This Inner Loop Header: Depth=2
	s_clause 0x1
	s_load_b64 s[40:41], s[26:27], 0x4
	s_load_b32 s42, s[26:27], 0xc
	s_add_u32 s26, s26, 12
	s_addc_u32 s27, s27, 0
	s_waitcnt lgkmcnt(0)
	v_mul_hi_u32 v3, s41, v0
	s_load_b32 s41, s[24:25], 0x0
	s_add_u32 s24, s24, 4
	s_addc_u32 s25, s25, 0
	s_add_i32 s39, s39, -1
	s_delay_alu instid0(SALU_CYCLE_1) | instskip(NEXT) | instid1(VALU_DEP_1)
	s_cmp_lg_u32 s39, 0
	v_add_nc_u32_e32 v3, v0, v3
	s_delay_alu instid0(VALU_DEP_1) | instskip(NEXT) | instid1(VALU_DEP_1)
	v_lshrrev_b32_e32 v3, s42, v3
	v_mul_lo_u32 v10, v3, s40
	s_delay_alu instid0(VALU_DEP_1) | instskip(SKIP_1) | instid1(VALU_DEP_1)
	v_sub_nc_u32_e32 v0, v0, v10
	s_waitcnt lgkmcnt(0)
	v_mad_u64_u32 v[10:11], null, v0, s41, v[2:3]
	v_mov_b32_e32 v0, v3
	s_delay_alu instid0(VALU_DEP_2)
	v_mov_b32_e32 v2, v10
	s_cbranch_scc1 .LBB7_63
.LBB7_64:                               ;   in Loop: Header=BB7_9 Depth=1
	s_cbranch_execnz .LBB7_67
.LBB7_65:                               ;   in Loop: Header=BB7_9 Depth=1
	v_mul_hi_u32 v0, v9, s6
	s_and_not1_b32 vcc_lo, exec_lo, s4
	s_delay_alu instid0(VALU_DEP_1) | instskip(NEXT) | instid1(VALU_DEP_1)
	v_add_nc_u32_e32 v0, v0, v9
	v_lshrrev_b32_e32 v0, s7, v0
	s_delay_alu instid0(VALU_DEP_1) | instskip(NEXT) | instid1(VALU_DEP_1)
	v_mul_lo_u32 v2, v0, s5
	v_sub_nc_u32_e32 v2, v9, v2
	s_delay_alu instid0(VALU_DEP_1)
	v_mul_lo_u32 v2, v2, s22
	s_cbranch_vccnz .LBB7_67
; %bb.66:                               ;   in Loop: Header=BB7_9 Depth=1
	v_mul_hi_u32 v3, s9, v0
	s_delay_alu instid0(VALU_DEP_1) | instskip(NEXT) | instid1(VALU_DEP_1)
	v_add_nc_u32_e32 v3, v0, v3
	v_lshrrev_b32_e32 v3, s10, v3
	s_delay_alu instid0(VALU_DEP_1) | instskip(NEXT) | instid1(VALU_DEP_1)
	v_mul_lo_u32 v3, v3, s8
	v_sub_nc_u32_e32 v0, v0, v3
	s_delay_alu instid0(VALU_DEP_1) | instskip(NEXT) | instid1(VALU_DEP_1)
	v_mad_u64_u32 v[9:10], null, v0, s23, v[2:3]
	v_mov_b32_e32 v2, v9
.LBB7_67:                               ;   in Loop: Header=BB7_9 Depth=1
	v_mov_b32_e32 v0, v4
	s_mov_b32 s24, exec_lo
	s_delay_alu instid0(VALU_DEP_1)
	v_cmpx_le_u64_e64 s[14:15], v[0:1]
	s_cbranch_execz .LBB7_69
; %bb.68:                               ;   in Loop: Header=BB7_9 Depth=1
	v_cvt_f32_u32_e32 v3, s14
	s_sub_i32 s25, 0, s14
	s_delay_alu instid0(VALU_DEP_1) | instskip(SKIP_2) | instid1(VALU_DEP_1)
	v_rcp_iflag_f32_e32 v3, v3
	s_waitcnt_depctr 0xfff
	v_mul_f32_e32 v3, 0x4f7ffffe, v3
	v_cvt_u32_f32_e32 v3, v3
	s_delay_alu instid0(VALU_DEP_1) | instskip(NEXT) | instid1(VALU_DEP_1)
	v_mul_lo_u32 v4, s25, v3
	v_mul_hi_u32 v4, v3, v4
	s_delay_alu instid0(VALU_DEP_1) | instskip(NEXT) | instid1(VALU_DEP_1)
	v_add_nc_u32_e32 v3, v3, v4
	v_mul_hi_u32 v3, v0, v3
	s_delay_alu instid0(VALU_DEP_1) | instskip(NEXT) | instid1(VALU_DEP_1)
	v_mul_lo_u32 v3, v3, s14
	v_sub_nc_u32_e32 v0, v0, v3
	s_delay_alu instid0(VALU_DEP_1) | instskip(SKIP_1) | instid1(VALU_DEP_2)
	v_subrev_nc_u32_e32 v3, s14, v0
	v_cmp_le_u32_e32 vcc_lo, s14, v0
	v_cndmask_b32_e32 v0, v0, v3, vcc_lo
	s_delay_alu instid0(VALU_DEP_1) | instskip(SKIP_1) | instid1(VALU_DEP_2)
	v_subrev_nc_u32_e32 v3, s14, v0
	v_cmp_le_u32_e32 vcc_lo, s14, v0
	v_cndmask_b32_e32 v0, v0, v3, vcc_lo
.LBB7_69:                               ;   in Loop: Header=BB7_9 Depth=1
	s_or_b32 exec_lo, exec_lo, s24
	s_delay_alu instid0(VALU_DEP_1)
	v_add_nc_u32_e32 v0, s20, v0
	global_store_b8 v2, v0, s[12:13]
.LBB7_70:                               ;   in Loop: Header=BB7_9 Depth=1
	s_or_b32 exec_lo, exec_lo, s38
	v_add_co_u32 v3, vcc_lo, v15, s36
	v_add_co_ci_u32_e32 v4, vcc_lo, 0, v16, vcc_lo
	s_mov_b32 s38, exec_lo
	s_delay_alu instid0(VALU_DEP_1)
	v_cmpx_gt_i64_e64 s[16:17], v[3:4]
	s_cbranch_execz .LBB7_8
; %bb.71:                               ;   in Loop: Header=BB7_9 Depth=1
	s_and_not1_b32 vcc_lo, exec_lo, s11
	s_cbranch_vccnz .LBB7_77
; %bb.72:                               ;   in Loop: Header=BB7_9 Depth=1
	v_mov_b32_e32 v2, 0
	s_and_not1_b32 vcc_lo, exec_lo, s21
	s_cbranch_vccnz .LBB7_81
; %bb.73:                               ;   in Loop: Header=BB7_9 Depth=1
	s_and_not1_b32 vcc_lo, exec_lo, s34
	s_mov_b32 s24, 0
	s_cbranch_vccnz .LBB7_78
; %bb.74:                               ;   in Loop: Header=BB7_9 Depth=1
	v_mov_b32_e32 v2, 0
	v_mov_b32_e32 v0, v3
	s_mov_b32 s39, 0
	s_mov_b64 s[24:25], s[18:19]
	s_mov_b64 s[26:27], s[0:1]
.LBB7_75:                               ;   Parent Loop BB7_9 Depth=1
                                        ; =>  This Inner Loop Header: Depth=2
	s_clause 0x1
	s_load_b256 s[40:47], s[24:25], 0x4
	s_load_b128 s[48:51], s[24:25], 0x24
	s_load_b128 s[52:55], s[26:27], 0x0
	s_add_u32 s24, s24, 48
	s_addc_u32 s25, s25, 0
	s_add_i32 s39, s39, 4
	s_add_u32 s26, s26, 16
	s_addc_u32 s27, s27, 0
	s_cmp_eq_u32 s35, s39
	s_waitcnt lgkmcnt(0)
	v_mul_hi_u32 v4, s41, v0
	s_delay_alu instid0(VALU_DEP_1) | instskip(NEXT) | instid1(VALU_DEP_1)
	v_add_nc_u32_e32 v4, v0, v4
	v_lshrrev_b32_e32 v4, s42, v4
	s_delay_alu instid0(VALU_DEP_1) | instskip(SKIP_1) | instid1(VALU_DEP_2)
	v_mul_hi_u32 v9, s44, v4
	v_mul_lo_u32 v12, v4, s40
	v_add_nc_u32_e32 v9, v4, v9
	s_delay_alu instid0(VALU_DEP_2) | instskip(NEXT) | instid1(VALU_DEP_2)
	v_sub_nc_u32_e32 v12, v0, v12
	v_lshrrev_b32_e32 v9, s45, v9
	s_delay_alu instid0(VALU_DEP_2) | instskip(NEXT) | instid1(VALU_DEP_2)
	v_mul_lo_u32 v12, v12, s52
	v_mul_hi_u32 v10, s47, v9
	v_mul_lo_u32 v18, v9, s43
	s_delay_alu instid0(VALU_DEP_2) | instskip(NEXT) | instid1(VALU_DEP_2)
	v_add_nc_u32_e32 v10, v9, v10
	v_sub_nc_u32_e32 v4, v4, v18
	s_delay_alu instid0(VALU_DEP_2) | instskip(NEXT) | instid1(VALU_DEP_2)
	v_lshrrev_b32_e32 v10, s48, v10
	v_mul_lo_u32 v4, v4, s53
	s_delay_alu instid0(VALU_DEP_2) | instskip(NEXT) | instid1(VALU_DEP_2)
	v_mul_hi_u32 v11, s50, v10
	v_add3_u32 v2, v12, v2, v4
	s_delay_alu instid0(VALU_DEP_2) | instskip(NEXT) | instid1(VALU_DEP_1)
	v_add_nc_u32_e32 v11, v10, v11
	v_lshrrev_b32_e32 v0, s51, v11
	v_mul_lo_u32 v11, v10, s46
	s_delay_alu instid0(VALU_DEP_2) | instskip(NEXT) | instid1(VALU_DEP_2)
	v_mul_lo_u32 v42, v0, s49
	v_sub_nc_u32_e32 v9, v9, v11
	s_delay_alu instid0(VALU_DEP_2) | instskip(NEXT) | instid1(VALU_DEP_2)
	v_sub_nc_u32_e32 v10, v10, v42
	v_mul_lo_u32 v9, v9, s54
	s_delay_alu instid0(VALU_DEP_2) | instskip(NEXT) | instid1(VALU_DEP_1)
	v_mul_lo_u32 v10, v10, s55
	v_add3_u32 v2, v9, v2, v10
	s_cbranch_scc0 .LBB7_75
; %bb.76:                               ;   in Loop: Header=BB7_9 Depth=1
	s_mov_b32 s24, s35
	s_and_not1_b32 vcc_lo, exec_lo, s37
	s_cbranch_vccz .LBB7_79
	s_branch .LBB7_81
.LBB7_77:                               ;   in Loop: Header=BB7_9 Depth=1
                                        ; implicit-def: $vgpr2
	s_branch .LBB7_82
.LBB7_78:                               ;   in Loop: Header=BB7_9 Depth=1
	v_mov_b32_e32 v0, v3
	s_and_not1_b32 vcc_lo, exec_lo, s37
	s_cbranch_vccnz .LBB7_81
.LBB7_79:                               ;   in Loop: Header=BB7_9 Depth=1
	s_lshl_b32 s25, s24, 2
	s_mul_i32 s26, s24, 12
	s_add_u32 s24, s0, s25
	s_addc_u32 s25, s1, 0
	s_add_u32 s26, s18, s26
	s_addc_u32 s27, s19, 0
	s_mov_b32 s39, s33
	.p2align	6
.LBB7_80:                               ;   Parent Loop BB7_9 Depth=1
                                        ; =>  This Inner Loop Header: Depth=2
	s_clause 0x1
	s_load_b64 s[40:41], s[26:27], 0x4
	s_load_b32 s42, s[26:27], 0xc
	s_add_u32 s26, s26, 12
	s_addc_u32 s27, s27, 0
	s_waitcnt lgkmcnt(0)
	v_mul_hi_u32 v4, s41, v0
	s_load_b32 s41, s[24:25], 0x0
	s_add_u32 s24, s24, 4
	s_addc_u32 s25, s25, 0
	s_add_i32 s39, s39, -1
	s_delay_alu instid0(SALU_CYCLE_1) | instskip(NEXT) | instid1(VALU_DEP_1)
	s_cmp_lg_u32 s39, 0
	v_add_nc_u32_e32 v4, v0, v4
	s_delay_alu instid0(VALU_DEP_1) | instskip(NEXT) | instid1(VALU_DEP_1)
	v_lshrrev_b32_e32 v4, s42, v4
	v_mul_lo_u32 v9, v4, s40
	s_delay_alu instid0(VALU_DEP_1) | instskip(SKIP_1) | instid1(VALU_DEP_1)
	v_sub_nc_u32_e32 v0, v0, v9
	s_waitcnt lgkmcnt(0)
	v_mad_u64_u32 v[9:10], null, v0, s41, v[2:3]
	v_mov_b32_e32 v0, v4
	s_delay_alu instid0(VALU_DEP_2)
	v_mov_b32_e32 v2, v9
	s_cbranch_scc1 .LBB7_80
.LBB7_81:                               ;   in Loop: Header=BB7_9 Depth=1
	s_cbranch_execnz .LBB7_84
.LBB7_82:                               ;   in Loop: Header=BB7_9 Depth=1
	v_mul_hi_u32 v0, v3, s6
	s_and_not1_b32 vcc_lo, exec_lo, s4
	s_delay_alu instid0(VALU_DEP_1) | instskip(NEXT) | instid1(VALU_DEP_1)
	v_add_nc_u32_e32 v0, v0, v3
	v_lshrrev_b32_e32 v0, s7, v0
	s_delay_alu instid0(VALU_DEP_1) | instskip(NEXT) | instid1(VALU_DEP_1)
	v_mul_lo_u32 v2, v0, s5
	v_sub_nc_u32_e32 v2, v3, v2
	s_delay_alu instid0(VALU_DEP_1)
	v_mul_lo_u32 v2, v2, s22
	s_cbranch_vccnz .LBB7_84
; %bb.83:                               ;   in Loop: Header=BB7_9 Depth=1
	v_mul_hi_u32 v3, s9, v0
	s_delay_alu instid0(VALU_DEP_1) | instskip(NEXT) | instid1(VALU_DEP_1)
	v_add_nc_u32_e32 v3, v0, v3
	v_lshrrev_b32_e32 v3, s10, v3
	s_delay_alu instid0(VALU_DEP_1) | instskip(NEXT) | instid1(VALU_DEP_1)
	v_mul_lo_u32 v3, v3, s8
	v_sub_nc_u32_e32 v0, v0, v3
	s_delay_alu instid0(VALU_DEP_1) | instskip(NEXT) | instid1(VALU_DEP_1)
	v_mad_u64_u32 v[3:4], null, v0, s23, v[2:3]
	v_mov_b32_e32 v2, v3
.LBB7_84:                               ;   in Loop: Header=BB7_9 Depth=1
	v_mov_b32_e32 v0, v5
	s_mov_b32 s24, exec_lo
	s_delay_alu instid0(VALU_DEP_1)
	v_cmpx_le_u64_e64 s[14:15], v[0:1]
	s_cbranch_execz .LBB7_7
; %bb.85:                               ;   in Loop: Header=BB7_9 Depth=1
	v_cvt_f32_u32_e32 v3, s14
	s_sub_i32 s25, 0, s14
	s_delay_alu instid0(VALU_DEP_1) | instskip(SKIP_2) | instid1(VALU_DEP_1)
	v_rcp_iflag_f32_e32 v3, v3
	s_waitcnt_depctr 0xfff
	v_mul_f32_e32 v3, 0x4f7ffffe, v3
	v_cvt_u32_f32_e32 v3, v3
	s_delay_alu instid0(VALU_DEP_1) | instskip(NEXT) | instid1(VALU_DEP_1)
	v_mul_lo_u32 v4, s25, v3
	v_mul_hi_u32 v4, v3, v4
	s_delay_alu instid0(VALU_DEP_1) | instskip(NEXT) | instid1(VALU_DEP_1)
	v_add_nc_u32_e32 v3, v3, v4
	v_mul_hi_u32 v3, v0, v3
	s_delay_alu instid0(VALU_DEP_1) | instskip(NEXT) | instid1(VALU_DEP_1)
	v_mul_lo_u32 v3, v3, s14
	v_sub_nc_u32_e32 v0, v0, v3
	s_delay_alu instid0(VALU_DEP_1) | instskip(SKIP_1) | instid1(VALU_DEP_2)
	v_subrev_nc_u32_e32 v3, s14, v0
	v_cmp_le_u32_e32 vcc_lo, s14, v0
	v_cndmask_b32_e32 v0, v0, v3, vcc_lo
	s_delay_alu instid0(VALU_DEP_1) | instskip(SKIP_1) | instid1(VALU_DEP_2)
	v_subrev_nc_u32_e32 v3, s14, v0
	v_cmp_le_u32_e32 vcc_lo, s14, v0
	v_cndmask_b32_e32 v0, v0, v3, vcc_lo
	s_branch .LBB7_7
.LBB7_86:
	s_endpgm
.LBB7_87:
                                        ; implicit-def: $sgpr2_sgpr3
	s_branch .LBB7_4
	.section	.rodata,"a",@progbits
	.p2align	6, 0x0
	.amdhsa_kernel _ZN2at6native12_GLOBAL__N_143distribution_elementwise_grid_stride_kernelIjLi4EZZZNS0_9templates4cuda21random_from_to_kernelIPNS_17CUDAGeneratorImplEEEvRNS_18TensorIteratorBaseEmlT_ENKUlvE_clEvENKUlvE0_clEvEUlP25hiprandStatePhilox4_32_10E0_ZNS1_27distribution_nullary_kernelIaj15HIP_vector_typeIjLj4EES7_SF_ZZZNS5_IS7_EEvS9_mlSA_ENKSB_clEvENKSC_clEvEUljE_EEvS9_T2_RKT3_T4_EUlijE0_EEvlNS_15PhiloxCudaStateET1_SK_
		.amdhsa_group_segment_fixed_size 0
		.amdhsa_private_segment_fixed_size 0
		.amdhsa_kernarg_size 592
		.amdhsa_user_sgpr_count 15
		.amdhsa_user_sgpr_dispatch_ptr 0
		.amdhsa_user_sgpr_queue_ptr 0
		.amdhsa_user_sgpr_kernarg_segment_ptr 1
		.amdhsa_user_sgpr_dispatch_id 0
		.amdhsa_user_sgpr_private_segment_size 0
		.amdhsa_wavefront_size32 1
		.amdhsa_uses_dynamic_stack 0
		.amdhsa_enable_private_segment 0
		.amdhsa_system_sgpr_workgroup_id_x 1
		.amdhsa_system_sgpr_workgroup_id_y 0
		.amdhsa_system_sgpr_workgroup_id_z 0
		.amdhsa_system_sgpr_workgroup_info 0
		.amdhsa_system_vgpr_workitem_id 0
		.amdhsa_next_free_vgpr 45
		.amdhsa_next_free_sgpr 56
		.amdhsa_reserve_vcc 1
		.amdhsa_float_round_mode_32 0
		.amdhsa_float_round_mode_16_64 0
		.amdhsa_float_denorm_mode_32 3
		.amdhsa_float_denorm_mode_16_64 3
		.amdhsa_dx10_clamp 1
		.amdhsa_ieee_mode 1
		.amdhsa_fp16_overflow 0
		.amdhsa_workgroup_processor_mode 1
		.amdhsa_memory_ordered 1
		.amdhsa_forward_progress 0
		.amdhsa_shared_vgpr_count 0
		.amdhsa_exception_fp_ieee_invalid_op 0
		.amdhsa_exception_fp_denorm_src 0
		.amdhsa_exception_fp_ieee_div_zero 0
		.amdhsa_exception_fp_ieee_overflow 0
		.amdhsa_exception_fp_ieee_underflow 0
		.amdhsa_exception_fp_ieee_inexact 0
		.amdhsa_exception_int_div_zero 0
	.end_amdhsa_kernel
	.section	.text._ZN2at6native12_GLOBAL__N_143distribution_elementwise_grid_stride_kernelIjLi4EZZZNS0_9templates4cuda21random_from_to_kernelIPNS_17CUDAGeneratorImplEEEvRNS_18TensorIteratorBaseEmlT_ENKUlvE_clEvENKUlvE0_clEvEUlP25hiprandStatePhilox4_32_10E0_ZNS1_27distribution_nullary_kernelIaj15HIP_vector_typeIjLj4EES7_SF_ZZZNS5_IS7_EEvS9_mlSA_ENKSB_clEvENKSC_clEvEUljE_EEvS9_T2_RKT3_T4_EUlijE0_EEvlNS_15PhiloxCudaStateET1_SK_,"axG",@progbits,_ZN2at6native12_GLOBAL__N_143distribution_elementwise_grid_stride_kernelIjLi4EZZZNS0_9templates4cuda21random_from_to_kernelIPNS_17CUDAGeneratorImplEEEvRNS_18TensorIteratorBaseEmlT_ENKUlvE_clEvENKUlvE0_clEvEUlP25hiprandStatePhilox4_32_10E0_ZNS1_27distribution_nullary_kernelIaj15HIP_vector_typeIjLj4EES7_SF_ZZZNS5_IS7_EEvS9_mlSA_ENKSB_clEvENKSC_clEvEUljE_EEvS9_T2_RKT3_T4_EUlijE0_EEvlNS_15PhiloxCudaStateET1_SK_,comdat
.Lfunc_end7:
	.size	_ZN2at6native12_GLOBAL__N_143distribution_elementwise_grid_stride_kernelIjLi4EZZZNS0_9templates4cuda21random_from_to_kernelIPNS_17CUDAGeneratorImplEEEvRNS_18TensorIteratorBaseEmlT_ENKUlvE_clEvENKUlvE0_clEvEUlP25hiprandStatePhilox4_32_10E0_ZNS1_27distribution_nullary_kernelIaj15HIP_vector_typeIjLj4EES7_SF_ZZZNS5_IS7_EEvS9_mlSA_ENKSB_clEvENKSC_clEvEUljE_EEvS9_T2_RKT3_T4_EUlijE0_EEvlNS_15PhiloxCudaStateET1_SK_, .Lfunc_end7-_ZN2at6native12_GLOBAL__N_143distribution_elementwise_grid_stride_kernelIjLi4EZZZNS0_9templates4cuda21random_from_to_kernelIPNS_17CUDAGeneratorImplEEEvRNS_18TensorIteratorBaseEmlT_ENKUlvE_clEvENKUlvE0_clEvEUlP25hiprandStatePhilox4_32_10E0_ZNS1_27distribution_nullary_kernelIaj15HIP_vector_typeIjLj4EES7_SF_ZZZNS5_IS7_EEvS9_mlSA_ENKSB_clEvENKSC_clEvEUljE_EEvS9_T2_RKT3_T4_EUlijE0_EEvlNS_15PhiloxCudaStateET1_SK_
                                        ; -- End function
	.section	.AMDGPU.csdata,"",@progbits
; Kernel info:
; codeLenInByte = 5748
; NumSgprs: 58
; NumVgprs: 45
; ScratchSize: 0
; MemoryBound: 0
; FloatMode: 240
; IeeeMode: 1
; LDSByteSize: 0 bytes/workgroup (compile time only)
; SGPRBlocks: 7
; VGPRBlocks: 5
; NumSGPRsForWavesPerEU: 58
; NumVGPRsForWavesPerEU: 45
; Occupancy: 16
; WaveLimiterHint : 1
; COMPUTE_PGM_RSRC2:SCRATCH_EN: 0
; COMPUTE_PGM_RSRC2:USER_SGPR: 15
; COMPUTE_PGM_RSRC2:TRAP_HANDLER: 0
; COMPUTE_PGM_RSRC2:TGID_X_EN: 1
; COMPUTE_PGM_RSRC2:TGID_Y_EN: 0
; COMPUTE_PGM_RSRC2:TGID_Z_EN: 0
; COMPUTE_PGM_RSRC2:TIDIG_COMP_CNT: 0
	.section	.text._ZN2at6native12_GLOBAL__N_143distribution_elementwise_grid_stride_kernelImLi2EZZZNS0_9templates4cuda21random_from_to_kernelIPNS_17CUDAGeneratorImplEEEvRNS_18TensorIteratorBaseEmlT_ENKUlvE_clEvENKUlvE1_clEvEUlP25hiprandStatePhilox4_32_10E_ZNS1_27distribution_nullary_kernelIim15HIP_vector_typeIyLj2EES7_SF_ZZZNS5_IS7_EEvS9_mlSA_ENKSB_clEvENKSC_clEvEUlmE_EEvS9_T2_RKT3_T4_EUlimE_EEvlNS_15PhiloxCudaStateET1_SK_,"axG",@progbits,_ZN2at6native12_GLOBAL__N_143distribution_elementwise_grid_stride_kernelImLi2EZZZNS0_9templates4cuda21random_from_to_kernelIPNS_17CUDAGeneratorImplEEEvRNS_18TensorIteratorBaseEmlT_ENKUlvE_clEvENKUlvE1_clEvEUlP25hiprandStatePhilox4_32_10E_ZNS1_27distribution_nullary_kernelIim15HIP_vector_typeIyLj2EES7_SF_ZZZNS5_IS7_EEvS9_mlSA_ENKSB_clEvENKSC_clEvEUlmE_EEvS9_T2_RKT3_T4_EUlimE_EEvlNS_15PhiloxCudaStateET1_SK_,comdat
	.globl	_ZN2at6native12_GLOBAL__N_143distribution_elementwise_grid_stride_kernelImLi2EZZZNS0_9templates4cuda21random_from_to_kernelIPNS_17CUDAGeneratorImplEEEvRNS_18TensorIteratorBaseEmlT_ENKUlvE_clEvENKUlvE1_clEvEUlP25hiprandStatePhilox4_32_10E_ZNS1_27distribution_nullary_kernelIim15HIP_vector_typeIyLj2EES7_SF_ZZZNS5_IS7_EEvS9_mlSA_ENKSB_clEvENKSC_clEvEUlmE_EEvS9_T2_RKT3_T4_EUlimE_EEvlNS_15PhiloxCudaStateET1_SK_ ; -- Begin function _ZN2at6native12_GLOBAL__N_143distribution_elementwise_grid_stride_kernelImLi2EZZZNS0_9templates4cuda21random_from_to_kernelIPNS_17CUDAGeneratorImplEEEvRNS_18TensorIteratorBaseEmlT_ENKUlvE_clEvENKUlvE1_clEvEUlP25hiprandStatePhilox4_32_10E_ZNS1_27distribution_nullary_kernelIim15HIP_vector_typeIyLj2EES7_SF_ZZZNS5_IS7_EEvS9_mlSA_ENKSB_clEvENKSC_clEvEUlmE_EEvS9_T2_RKT3_T4_EUlimE_EEvlNS_15PhiloxCudaStateET1_SK_
	.p2align	8
	.type	_ZN2at6native12_GLOBAL__N_143distribution_elementwise_grid_stride_kernelImLi2EZZZNS0_9templates4cuda21random_from_to_kernelIPNS_17CUDAGeneratorImplEEEvRNS_18TensorIteratorBaseEmlT_ENKUlvE_clEvENKUlvE1_clEvEUlP25hiprandStatePhilox4_32_10E_ZNS1_27distribution_nullary_kernelIim15HIP_vector_typeIyLj2EES7_SF_ZZZNS5_IS7_EEvS9_mlSA_ENKSB_clEvENKSC_clEvEUlmE_EEvS9_T2_RKT3_T4_EUlimE_EEvlNS_15PhiloxCudaStateET1_SK_,@function
_ZN2at6native12_GLOBAL__N_143distribution_elementwise_grid_stride_kernelImLi2EZZZNS0_9templates4cuda21random_from_to_kernelIPNS_17CUDAGeneratorImplEEEvRNS_18TensorIteratorBaseEmlT_ENKUlvE_clEvENKUlvE1_clEvEUlP25hiprandStatePhilox4_32_10E_ZNS1_27distribution_nullary_kernelIim15HIP_vector_typeIyLj2EES7_SF_ZZZNS5_IS7_EEvS9_mlSA_ENKSB_clEvENKSC_clEvEUlmE_EEvS9_T2_RKT3_T4_EUlimE_EEvlNS_15PhiloxCudaStateET1_SK_: ; @_ZN2at6native12_GLOBAL__N_143distribution_elementwise_grid_stride_kernelImLi2EZZZNS0_9templates4cuda21random_from_to_kernelIPNS_17CUDAGeneratorImplEEEvRNS_18TensorIteratorBaseEmlT_ENKUlvE_clEvENKUlvE1_clEvEUlP25hiprandStatePhilox4_32_10E_ZNS1_27distribution_nullary_kernelIim15HIP_vector_typeIyLj2EES7_SF_ZZZNS5_IS7_EEvS9_mlSA_ENKSB_clEvENKSC_clEvEUlmE_EEvS9_T2_RKT3_T4_EUlimE_EEvlNS_15PhiloxCudaStateET1_SK_
; %bb.0:
	s_clause 0x2
	s_load_b64 s[8:9], s[0:1], 0x10
	s_load_b128 s[4:7], s[0:1], 0x0
	s_load_b32 s2, s[0:1], 0x20
	s_waitcnt lgkmcnt(0)
	v_dual_mov_b32 v2, s8 :: v_dual_mov_b32 v3, s9
	v_dual_mov_b32 v12, s7 :: v_dual_mov_b32 v11, s6
	s_bitcmp0_b32 s2, 0
	s_mov_b32 s2, 0
	s_cbranch_scc1 .LBB8_2
; %bb.1:
	v_dual_mov_b32 v1, s8 :: v_dual_mov_b32 v2, s9
	v_dual_mov_b32 v4, s6 :: v_dual_mov_b32 v5, s7
	s_load_b64 s[6:7], s[0:1], 0x18
	flat_load_b64 v[2:3], v[1:2]
	flat_load_b64 v[11:12], v[4:5]
	s_waitcnt vmcnt(1) lgkmcnt(0)
	v_add_co_u32 v2, vcc_lo, v2, s6
	v_add_co_ci_u32_e32 v3, vcc_lo, s7, v3, vcc_lo
.LBB8_2:
	s_clause 0x1
	s_load_b32 s3, s[0:1], 0x5c
	s_load_b32 s16, s[0:1], 0x50
	s_waitcnt lgkmcnt(0)
	s_and_b32 s14, s3, 0xffff
	s_add_u32 s6, s4, -1
	s_mul_i32 s12, s16, s14
	s_addc_u32 s3, s5, -1
	s_lshl_b32 s13, s12, 1
	s_cmp_lg_u64 s[2:3], 0
	s_cbranch_scc0 .LBB8_31
; %bb.3:
	v_cvt_f32_ubyte0_e32 v1, 0
	v_cvt_f32_u32_e32 v4, s13
	s_sub_u32 s8, 0, s13
	s_subb_u32 s9, 0, 0
	s_delay_alu instid0(VALU_DEP_1) | instskip(NEXT) | instid1(VALU_DEP_1)
	v_fmamk_f32 v1, v1, 0x4f800000, v4
	v_rcp_f32_e32 v1, v1
	s_waitcnt_depctr 0xfff
	v_mul_f32_e32 v1, 0x5f7ffffc, v1
	s_delay_alu instid0(VALU_DEP_1) | instskip(NEXT) | instid1(VALU_DEP_1)
	v_mul_f32_e32 v4, 0x2f800000, v1
	v_trunc_f32_e32 v4, v4
	s_delay_alu instid0(VALU_DEP_1) | instskip(SKIP_1) | instid1(VALU_DEP_2)
	v_fmamk_f32 v1, v4, 0xcf800000, v1
	v_cvt_u32_f32_e32 v4, v4
	v_cvt_u32_f32_e32 v1, v1
	s_delay_alu instid0(VALU_DEP_2) | instskip(NEXT) | instid1(VALU_DEP_2)
	v_readfirstlane_b32 s2, v4
	v_readfirstlane_b32 s7, v1
	s_delay_alu instid0(VALU_DEP_2) | instskip(NEXT) | instid1(VALU_DEP_1)
	s_mul_i32 s10, s8, s2
	s_mul_hi_u32 s17, s8, s7
	s_mul_i32 s11, s9, s7
	s_add_i32 s10, s17, s10
	s_mul_i32 s18, s8, s7
	s_add_i32 s10, s10, s11
	s_mul_hi_u32 s17, s7, s18
	s_mul_hi_u32 s19, s2, s18
	s_mul_i32 s11, s2, s18
	s_mul_hi_u32 s18, s7, s10
	s_mul_i32 s7, s7, s10
	s_mul_hi_u32 s20, s2, s10
	s_add_u32 s7, s17, s7
	s_addc_u32 s17, 0, s18
	s_add_u32 s7, s7, s11
	s_mul_i32 s10, s2, s10
	s_addc_u32 s7, s17, s19
	s_addc_u32 s11, s20, 0
	s_add_u32 s7, s7, s10
	s_addc_u32 s10, 0, s11
	v_add_co_u32 v1, s7, v1, s7
	s_delay_alu instid0(VALU_DEP_1) | instskip(SKIP_1) | instid1(VALU_DEP_1)
	s_cmp_lg_u32 s7, 0
	s_addc_u32 s2, s2, s10
	v_readfirstlane_b32 s7, v1
	s_mul_i32 s10, s8, s2
	s_delay_alu instid0(VALU_DEP_1)
	s_mul_hi_u32 s11, s8, s7
	s_mul_i32 s9, s9, s7
	s_add_i32 s10, s11, s10
	s_mul_i32 s8, s8, s7
	s_add_i32 s10, s10, s9
	s_mul_hi_u32 s11, s2, s8
	s_mul_i32 s17, s2, s8
	s_mul_hi_u32 s8, s7, s8
	s_mul_hi_u32 s18, s7, s10
	s_mul_i32 s7, s7, s10
	s_mul_hi_u32 s9, s2, s10
	s_add_u32 s7, s8, s7
	s_addc_u32 s8, 0, s18
	s_add_u32 s7, s7, s17
	s_mul_i32 s10, s2, s10
	s_addc_u32 s7, s8, s11
	s_addc_u32 s8, s9, 0
	s_add_u32 s7, s7, s10
	s_addc_u32 s8, 0, s8
	v_add_co_u32 v1, s7, v1, s7
	s_delay_alu instid0(VALU_DEP_1) | instskip(SKIP_2) | instid1(VALU_DEP_1)
	s_cmp_lg_u32 s7, 0
	s_addc_u32 s7, s2, s8
	s_ashr_i32 s8, s3, 31
	v_readfirstlane_b32 s10, v1
	s_add_u32 s2, s6, s8
	s_mov_b32 s9, s8
	s_addc_u32 s3, s3, s8
	s_delay_alu instid0(SALU_CYCLE_1) | instskip(NEXT) | instid1(SALU_CYCLE_1)
	s_xor_b64 s[2:3], s[2:3], s[8:9]
	s_mul_i32 s17, s2, s7
	s_mul_hi_u32 s18, s2, s10
	s_mul_hi_u32 s11, s2, s7
	;; [unrolled: 1-line block ×3, first 2 shown]
	s_mul_i32 s10, s3, s10
	s_add_u32 s17, s18, s17
	s_addc_u32 s11, 0, s11
	s_mul_hi_u32 s19, s3, s7
	s_add_u32 s10, s17, s10
	s_mul_i32 s7, s3, s7
	s_addc_u32 s10, s11, s20
	s_addc_u32 s11, s19, 0
	s_add_u32 s7, s10, s7
	s_addc_u32 s10, 0, s11
	s_mul_i32 s17, s13, s7
	s_add_u32 s11, s7, 1
	v_sub_co_u32 v1, s2, s2, s17
	s_mul_hi_u32 s17, s13, s7
	s_addc_u32 s18, s10, 0
	s_mul_i32 s19, s13, s10
	s_delay_alu instid0(VALU_DEP_1)
	v_sub_co_u32 v4, s20, v1, s13
	s_add_u32 s21, s7, 2
	s_addc_u32 s22, s10, 0
	s_add_i32 s17, s17, s19
	s_cmp_lg_u32 s2, 0
	v_readfirstlane_b32 s2, v4
	s_subb_u32 s3, s3, s17
	s_cmp_lg_u32 s20, 0
	s_subb_u32 s17, s3, 0
	s_delay_alu instid0(VALU_DEP_1) | instskip(SKIP_4) | instid1(SALU_CYCLE_1)
	s_cmp_ge_u32 s2, s13
	s_cselect_b32 s2, -1, 0
	s_cmp_eq_u32 s17, 0
	v_readfirstlane_b32 s17, v1
	s_cselect_b32 s2, s2, -1
	s_cmp_lg_u32 s2, 0
	s_cselect_b32 s2, s21, s11
	s_cselect_b32 s11, s22, s18
	s_cmp_ge_u32 s17, s13
	s_cselect_b32 s17, -1, 0
	s_cmp_eq_u32 s3, 0
	s_cselect_b32 s3, s17, -1
	s_delay_alu instid0(SALU_CYCLE_1) | instskip(SKIP_2) | instid1(SALU_CYCLE_1)
	s_cmp_lg_u32 s3, 0
	s_cselect_b32 s3, s11, s10
	s_cselect_b32 s2, s2, s7
	s_xor_b64 s[2:3], s[2:3], s[8:9]
	s_delay_alu instid0(SALU_CYCLE_1)
	s_sub_u32 s2, s2, s8
	s_subb_u32 s3, s3, s8
	s_cbranch_execnz .LBB8_5
.LBB8_4:
	v_cvt_f32_u32_e32 v1, s13
	s_sub_i32 s3, 0, s13
	s_delay_alu instid0(VALU_DEP_1) | instskip(SKIP_2) | instid1(VALU_DEP_1)
	v_rcp_iflag_f32_e32 v1, v1
	s_waitcnt_depctr 0xfff
	v_mul_f32_e32 v1, 0x4f7ffffe, v1
	v_cvt_u32_f32_e32 v1, v1
	s_delay_alu instid0(VALU_DEP_1) | instskip(NEXT) | instid1(VALU_DEP_1)
	v_readfirstlane_b32 s2, v1
	s_mul_i32 s3, s3, s2
	s_delay_alu instid0(SALU_CYCLE_1) | instskip(NEXT) | instid1(SALU_CYCLE_1)
	s_mul_hi_u32 s3, s2, s3
	s_add_i32 s2, s2, s3
	s_delay_alu instid0(SALU_CYCLE_1) | instskip(NEXT) | instid1(SALU_CYCLE_1)
	s_mul_hi_u32 s2, s6, s2
	s_mul_i32 s3, s2, s13
	s_delay_alu instid0(SALU_CYCLE_1)
	s_sub_i32 s3, s6, s3
	s_add_i32 s6, s2, 1
	s_sub_i32 s7, s3, s13
	s_cmp_ge_u32 s3, s13
	s_cselect_b32 s2, s6, s2
	s_cselect_b32 s3, s7, s3
	s_add_i32 s6, s2, 1
	s_cmp_ge_u32 s3, s13
	s_mov_b32 s3, 0
	s_cselect_b32 s2, s6, s2
.LBB8_5:
	v_mov_b32_e32 v13, 0
	s_add_u32 s2, s2, 1
	s_addc_u32 s3, s3, 0
	s_mul_hi_u32 s6, s16, s14
	s_mul_hi_u32 s7, s12, s2
	v_mov_b32_e32 v1, v13
	s_mul_i32 s3, s12, s3
	s_mul_i32 s6, s6, s2
	s_add_i32 s3, s7, s3
	s_mul_i32 s2, s12, s2
	v_mad_u64_u32 v[15:16], null, s14, s15, v[0:1]
	s_add_i32 s3, s3, s6
	s_mov_b32 s6, exec_lo
	s_lshl_b64 s[2:3], s[2:3], 1
	s_delay_alu instid0(VALU_DEP_1) | instid1(SALU_CYCLE_1)
	v_cmpx_gt_i64_e64 s[2:3], v[15:16]
	s_cbranch_execz .LBB8_30
; %bb.6:
	v_alignbit_b32 v19, v3, v2, 2
	v_mad_u64_u32 v[6:7], null, 0xcd9e8d57, v15, 0
	v_lshrrev_b32_e32 v20, 2, v3
	s_waitcnt vmcnt(0)
	v_dual_mov_b32 v14, v12 :: v_dual_and_b32 v35, 3, v2
	v_mad_u64_u32 v[4:5], null, 0xd2511f53, v19, 0
	v_add_co_u32 v22, null, 0x9e3779b9, v11
	v_xor3_b32 v3, v11, v7, v20
	s_delay_alu instid0(VALU_DEP_4) | instskip(SKIP_2) | instid1(VALU_DEP_4)
	v_add_co_u32 v21, null, 0xbb67ae85, v14
	v_add_co_u32 v23, null, 0x3c6ef372, v11
	v_xor_b32_e32 v1, v5, v12
	v_mad_u64_u32 v[7:8], null, 0xd2511f53, v3, 0
	v_add_co_u32 v24, null, 0x76cf5d0a, v14
	s_delay_alu instid0(VALU_DEP_3) | instskip(SKIP_2) | instid1(VALU_DEP_3)
	v_xor_b32_e32 v1, v1, v16
	v_add_co_u32 v25, null, 0x32370b8f, v14
	v_add_co_u32 v26, null, 0xdaa66d2b, v11
	v_mad_u64_u32 v[9:10], null, 0xcd9e8d57, v1, 0
	v_xor3_b32 v1, v21, v8, v4
	v_add_co_u32 v27, null, 0x78dde6e4, v11
	v_add_co_u32 v28, null, 0xed9eba14, v14
	s_delay_alu instid0(VALU_DEP_3) | instskip(SKIP_3) | instid1(VALU_DEP_3)
	v_mad_u64_u32 v[3:4], null, 0xcd9e8d57, v1, 0
	v_xor3_b32 v8, v22, v10, v6
	v_add_co_u32 v29, null, 0xa9066899, v14
	v_add_co_u32 v30, null, 0x1715609d, v11
	v_mad_u64_u32 v[5:6], null, 0xd2511f53, v8, 0
	v_xor3_b32 v1, v23, v4, v9
	v_add_co_u32 v31, null, 0xb54cda56, v11
	v_add_co_u32 v32, null, 0x646e171e, v14
	;; [unrolled: 1-line block ×3, first 2 shown]
	v_xor3_b32 v4, v24, v6, v7
	v_mad_u64_u32 v[6:7], null, 0xd2511f53, v1, 0
	v_add_co_u32 v34, null, 0x5384540f, v11
	s_delay_alu instid0(VALU_DEP_3)
	v_mad_u64_u32 v[8:9], null, 0xcd9e8d57, v4, 0
	s_clause 0x2
	s_load_b64 s[6:7], s[0:1], 0x30
	s_load_b32 s17, s[0:1], 0x38
	s_load_b128 s[8:11], s[0:1], 0x40
	v_add_co_u32 v37, null, 0xf1bbcdc8, v11
	v_xor3_b32 v1, v25, v7, v5
	v_add_co_u32 v38, null, 0xdb3d7428, v14
	v_xor3_b32 v5, v26, v9, v3
	v_dual_mov_b32 v40, v15 :: v_dual_add_nc_u32 v39, 0x96a522ad, v12
	s_delay_alu instid0(VALU_DEP_4) | instskip(NEXT) | instid1(VALU_DEP_3)
	v_mad_u64_u32 v[3:4], null, 0xcd9e8d57, v1, 0
	v_mad_u64_u32 v[9:10], null, 0xd2511f53, v5, 0
	v_mov_b32_e32 v43, v16
	s_mov_b32 s1, 0
	s_delay_alu instid0(VALU_DEP_3) | instskip(NEXT) | instid1(VALU_DEP_3)
	v_xor3_b32 v1, v27, v4, v8
	v_xor3_b32 v8, v28, v10, v6
	s_waitcnt lgkmcnt(0)
	s_mul_i32 s0, s16, s17
	s_delay_alu instid0(VALU_DEP_2) | instskip(NEXT) | instid1(VALU_DEP_2)
	v_mad_u64_u32 v[4:5], null, 0xd2511f53, v1, 0
	v_mad_u64_u32 v[6:7], null, 0xcd9e8d57, v8, 0
	s_mul_i32 s0, s0, s14
	s_delay_alu instid0(SALU_CYCLE_1) | instskip(NEXT) | instid1(VALU_DEP_2)
	s_lshl_b32 s11, s0, 1
	v_xor3_b32 v1, v29, v5, v9
	s_delay_alu instid0(VALU_DEP_2) | instskip(NEXT) | instid1(VALU_DEP_2)
	v_xor3_b32 v3, v30, v7, v3
	v_mad_u64_u32 v[7:8], null, 0xcd9e8d57, v1, 0
	s_delay_alu instid0(VALU_DEP_2) | instskip(NEXT) | instid1(VALU_DEP_2)
	v_mad_u64_u32 v[9:10], null, 0xd2511f53, v3, 0
	v_xor3_b32 v1, v31, v8, v6
	s_delay_alu instid0(VALU_DEP_2) | instskip(NEXT) | instid1(VALU_DEP_2)
	v_xor3_b32 v8, v32, v10, v4
	v_mad_u64_u32 v[3:4], null, 0xd2511f53, v1, 0
	s_delay_alu instid0(VALU_DEP_2) | instskip(NEXT) | instid1(VALU_DEP_2)
	v_mad_u64_u32 v[5:6], null, 0xcd9e8d57, v8, 0
	v_xor3_b32 v1, v33, v4, v9
	s_delay_alu instid0(VALU_DEP_2) | instskip(NEXT) | instid1(VALU_DEP_2)
	v_xor3_b32 v2, v34, v6, v7
	v_mad_u64_u32 v[6:7], null, 0xcd9e8d57, v1, 0
	s_delay_alu instid0(VALU_DEP_2) | instskip(SKIP_2) | instid1(VALU_DEP_3)
	v_mad_u64_u32 v[8:9], null, 0xd2511f53, v2, 0
	v_mad_u64_u32 v[17:18], null, s15, s14, v[0:1]
	s_add_i32 s15, s15, s16
	v_xor3_b32 v1, v37, v7, v5
	s_delay_alu instid0(VALU_DEP_3) | instskip(NEXT) | instid1(VALU_DEP_3)
	v_xor3_b32 v7, v38, v9, v3
	v_mul_lo_u32 v41, s17, v17
	s_delay_alu instid0(VALU_DEP_3) | instskip(SKIP_1) | instid1(VALU_DEP_4)
	v_mad_u64_u32 v[3:4], null, s15, s14, v[0:1]
	v_mad_u64_u32 v[4:5], null, 0xd2511f53, v1, 0
	;; [unrolled: 1-line block ×3, first 2 shown]
	v_add_nc_u32_e32 v36, 0x8ff34781, v11
	s_mov_b32 s14, 0
	s_delay_alu instid0(VALU_DEP_4) | instskip(NEXT) | instid1(VALU_DEP_4)
	v_mul_lo_u32 v42, s17, v3
	v_mov_b32_e32 v3, v4
	s_delay_alu instid0(VALU_DEP_3)
	v_xor3_b32 v0, v2, v6, v36
	v_xor3_b32 v2, v5, v8, v39
	s_branch .LBB8_9
.LBB8_7:                                ;   in Loop: Header=BB8_9 Depth=1
	s_or_b32 exec_lo, exec_lo, s0
	v_add_nc_u32_e32 v0, s14, v42
	s_delay_alu instid0(VALU_DEP_2) | instskip(NEXT) | instid1(VALU_DEP_2)
	v_add_nc_u32_e32 v2, s10, v7
	v_ashrrev_i32_e32 v1, 31, v0
	v_add_co_u32 v0, vcc_lo, s6, v0
	s_delay_alu instid0(VALU_DEP_2)
	v_add_co_ci_u32_e32 v1, vcc_lo, s7, v1, vcc_lo
	global_store_b32 v[0:1], v2, off
.LBB8_8:                                ;   in Loop: Header=BB8_9 Depth=1
	s_or_b32 exec_lo, exec_lo, s15
	v_add_co_u32 v15, vcc_lo, v15, s13
	v_add_co_ci_u32_e32 v16, vcc_lo, 0, v16, vcc_lo
	v_mov_b32_e32 v7, v17
	v_dual_mov_b32 v0, v4 :: v_dual_mov_b32 v1, v5
	s_delay_alu instid0(VALU_DEP_3) | instskip(NEXT) | instid1(VALU_DEP_3)
	v_cmp_le_i64_e32 vcc_lo, s[2:3], v[15:16]
	v_dual_mov_b32 v2, v6 :: v_dual_mov_b32 v3, v7
	s_add_i32 s14, s14, s11
	s_waitcnt_vscnt null, 0x0
	s_barrier
	s_or_b32 s1, vcc_lo, s1
	buffer_gl0_inv
	s_and_not1_b32 exec_lo, exec_lo, s1
	s_cbranch_execz .LBB8_30
.LBB8_9:                                ; =>This Inner Loop Header: Depth=1
	v_add_co_u32 v19, vcc_lo, v19, 1
	s_delay_alu instid0(VALU_DEP_1) | instskip(SKIP_2) | instid1(VALU_DEP_1)
	v_cndmask_b32_e64 v4, 0, 1, vcc_lo
	v_add_co_ci_u32_e32 v20, vcc_lo, 0, v20, vcc_lo
	s_mov_b32 s0, exec_lo
	v_cmp_eq_u32_e32 vcc_lo, 0, v20
	s_delay_alu instid0(VALU_DEP_3) | instskip(NEXT) | instid1(VALU_DEP_1)
	v_cndmask_b32_e32 v4, 0, v4, vcc_lo
	v_add_nc_u32_e32 v40, v4, v40
	s_delay_alu instid0(VALU_DEP_1) | instskip(SKIP_2) | instid1(VALU_DEP_2)
	v_cmp_eq_u32_e32 vcc_lo, 0, v40
	v_mad_u64_u32 v[6:7], null, 0xcd9e8d57, v40, 0
	v_cndmask_b32_e32 v4, 0, v4, vcc_lo
	v_xor3_b32 v9, v7, v11, v20
	s_delay_alu instid0(VALU_DEP_2) | instskip(SKIP_1) | instid1(VALU_DEP_3)
	v_add_nc_u32_e32 v43, v4, v43
	v_mad_u64_u32 v[4:5], null, 0xd2511f53, v19, 0
	v_mad_u64_u32 v[7:8], null, 0xd2511f53, v9, 0
	s_delay_alu instid0(VALU_DEP_2) | instskip(NEXT) | instid1(VALU_DEP_2)
	v_xor_b32_e32 v5, v5, v12
	v_xor3_b32 v8, v21, v8, v4
	s_delay_alu instid0(VALU_DEP_2) | instskip(NEXT) | instid1(VALU_DEP_1)
	v_xor_b32_e32 v5, v43, v5
	v_mad_u64_u32 v[9:10], null, 0xcd9e8d57, v5, 0
	s_delay_alu instid0(VALU_DEP_3) | instskip(NEXT) | instid1(VALU_DEP_2)
	v_mad_u64_u32 v[4:5], null, 0xcd9e8d57, v8, 0
	v_xor3_b32 v6, v22, v10, v6
	s_delay_alu instid0(VALU_DEP_2) | instskip(NEXT) | instid1(VALU_DEP_2)
	v_xor3_b32 v8, v23, v5, v9
	v_mad_u64_u32 v[17:18], null, 0xd2511f53, v6, 0
	s_delay_alu instid0(VALU_DEP_2) | instskip(NEXT) | instid1(VALU_DEP_2)
	v_mad_u64_u32 v[5:6], null, 0xd2511f53, v8, 0
	v_xor3_b32 v9, v24, v18, v7
	s_delay_alu instid0(VALU_DEP_2) | instskip(NEXT) | instid1(VALU_DEP_2)
	v_xor3_b32 v6, v25, v6, v17
	v_mad_u64_u32 v[7:8], null, 0xcd9e8d57, v9, 0
	s_delay_alu instid0(VALU_DEP_1) | instskip(NEXT) | instid1(VALU_DEP_3)
	v_xor3_b32 v4, v26, v8, v4
	v_mad_u64_u32 v[8:9], null, 0xcd9e8d57, v6, 0
	s_delay_alu instid0(VALU_DEP_2) | instskip(NEXT) | instid1(VALU_DEP_2)
	v_mad_u64_u32 v[17:18], null, 0xd2511f53, v4, 0
	v_xor3_b32 v6, v27, v9, v7
	s_delay_alu instid0(VALU_DEP_2) | instskip(NEXT) | instid1(VALU_DEP_2)
	v_xor3_b32 v9, v28, v18, v5
	v_mad_u64_u32 v[4:5], null, 0xd2511f53, v6, 0
	s_delay_alu instid0(VALU_DEP_2) | instskip(NEXT) | instid1(VALU_DEP_2)
	v_mad_u64_u32 v[6:7], null, 0xcd9e8d57, v9, 0
	v_xor3_b32 v5, v29, v5, v17
	s_delay_alu instid0(VALU_DEP_2) | instskip(NEXT) | instid1(VALU_DEP_2)
	;; [unrolled: 6-line block ×6, first 2 shown]
	v_xor3_b32 v4, v6, v7, v36
	v_mov_b32_e32 v6, v10
	v_cmpx_lt_i32_e32 1, v35
	s_xor_b32 s0, exec_lo, s0
	s_cbranch_execnz .LBB8_12
; %bb.10:                               ;   in Loop: Header=BB8_9 Depth=1
	s_and_not1_saveexec_b32 s0, s0
	s_cbranch_execnz .LBB8_17
.LBB8_11:                               ;   in Loop: Header=BB8_9 Depth=1
	s_or_b32 exec_lo, exec_lo, s0
	s_delay_alu instid0(SALU_CYCLE_1)
	s_mov_b32 s15, exec_lo
	v_cmpx_gt_i64_e64 s[4:5], v[15:16]
	s_cbranch_execnz .LBB8_20
	s_branch .LBB8_25
.LBB8_12:                               ;   in Loop: Header=BB8_9 Depth=1
	s_mov_b32 s15, exec_lo
	v_cmpx_lt_i32_e32 2, v35
	s_xor_b32 s15, exec_lo, s15
; %bb.13:                               ;   in Loop: Header=BB8_9 Depth=1
	v_dual_mov_b32 v7, v3 :: v_dual_mov_b32 v8, v4
	v_mov_b32_e32 v9, v5
	s_delay_alu instid0(VALU_DEP_2) | instskip(NEXT) | instid1(VALU_DEP_2)
	v_dual_mov_b32 v0, v7 :: v_dual_mov_b32 v1, v8
	v_dual_mov_b32 v2, v9 :: v_dual_mov_b32 v3, v10
; %bb.14:                               ;   in Loop: Header=BB8_9 Depth=1
	s_and_not1_saveexec_b32 s15, s15
; %bb.15:                               ;   in Loop: Header=BB8_9 Depth=1
	s_delay_alu instid0(VALU_DEP_1)
	v_dual_mov_b32 v0, v2 :: v_dual_mov_b32 v1, v3
	v_dual_mov_b32 v2, v4 :: v_dual_mov_b32 v3, v5
; %bb.16:                               ;   in Loop: Header=BB8_9 Depth=1
	s_or_b32 exec_lo, exec_lo, s15
	s_and_not1_saveexec_b32 s0, s0
	s_cbranch_execz .LBB8_11
.LBB8_17:                               ;   in Loop: Header=BB8_9 Depth=1
	s_mov_b32 s15, exec_lo
	v_cmpx_eq_u32_e32 1, v35
; %bb.18:                               ;   in Loop: Header=BB8_9 Depth=1
	v_dual_mov_b32 v0, v1 :: v_dual_mov_b32 v1, v2
	v_dual_mov_b32 v2, v3 :: v_dual_mov_b32 v3, v4
; %bb.19:                               ;   in Loop: Header=BB8_9 Depth=1
	s_or_b32 exec_lo, exec_lo, s15
	s_delay_alu instid0(SALU_CYCLE_1) | instskip(NEXT) | instid1(SALU_CYCLE_1)
	s_or_b32 exec_lo, exec_lo, s0
	s_mov_b32 s15, exec_lo
	v_cmpx_gt_i64_e64 s[4:5], v[15:16]
	s_cbranch_execz .LBB8_25
.LBB8_20:                               ;   in Loop: Header=BB8_9 Depth=1
	v_or_b32_e32 v14, s9, v0
                                        ; implicit-def: $vgpr7_vgpr8
	s_mov_b32 s0, exec_lo
	s_delay_alu instid0(VALU_DEP_1)
	v_cmpx_ne_u64_e32 0, v[13:14]
	s_xor_b32 s16, exec_lo, s0
	s_cbranch_execz .LBB8_22
; %bb.21:                               ;   in Loop: Header=BB8_9 Depth=1
	v_cvt_f32_u32_e32 v7, s8
	v_cvt_f32_u32_e32 v8, s9
	s_sub_u32 s0, 0, s8
	s_subb_u32 s17, 0, s9
	s_delay_alu instid0(VALU_DEP_1) | instskip(NEXT) | instid1(VALU_DEP_1)
	v_fmac_f32_e32 v7, 0x4f800000, v8
	v_rcp_f32_e32 v7, v7
	s_waitcnt_depctr 0xfff
	v_mul_f32_e32 v7, 0x5f7ffffc, v7
	s_delay_alu instid0(VALU_DEP_1) | instskip(NEXT) | instid1(VALU_DEP_1)
	v_mul_f32_e32 v8, 0x2f800000, v7
	v_trunc_f32_e32 v8, v8
	s_delay_alu instid0(VALU_DEP_1) | instskip(SKIP_1) | instid1(VALU_DEP_2)
	v_fmac_f32_e32 v7, 0xcf800000, v8
	v_cvt_u32_f32_e32 v8, v8
	v_cvt_u32_f32_e32 v7, v7
	s_delay_alu instid0(VALU_DEP_2) | instskip(NEXT) | instid1(VALU_DEP_2)
	v_mul_lo_u32 v9, s0, v8
	v_mul_hi_u32 v10, s0, v7
	v_mul_lo_u32 v14, s17, v7
	s_delay_alu instid0(VALU_DEP_2) | instskip(SKIP_1) | instid1(VALU_DEP_2)
	v_add_nc_u32_e32 v9, v10, v9
	v_mul_lo_u32 v10, s0, v7
	v_add_nc_u32_e32 v9, v9, v14
	s_delay_alu instid0(VALU_DEP_2) | instskip(NEXT) | instid1(VALU_DEP_2)
	v_mul_hi_u32 v14, v7, v10
	v_mul_lo_u32 v18, v7, v9
	v_mul_hi_u32 v44, v7, v9
	v_mul_hi_u32 v45, v8, v10
	v_mul_lo_u32 v10, v8, v10
	v_mul_hi_u32 v46, v8, v9
	v_mul_lo_u32 v9, v8, v9
	v_add_co_u32 v14, vcc_lo, v14, v18
	v_add_co_ci_u32_e32 v18, vcc_lo, 0, v44, vcc_lo
	s_delay_alu instid0(VALU_DEP_2) | instskip(NEXT) | instid1(VALU_DEP_2)
	v_add_co_u32 v10, vcc_lo, v14, v10
	v_add_co_ci_u32_e32 v10, vcc_lo, v18, v45, vcc_lo
	v_add_co_ci_u32_e32 v14, vcc_lo, 0, v46, vcc_lo
	s_delay_alu instid0(VALU_DEP_2) | instskip(NEXT) | instid1(VALU_DEP_2)
	v_add_co_u32 v9, vcc_lo, v10, v9
	v_add_co_ci_u32_e32 v10, vcc_lo, 0, v14, vcc_lo
	s_delay_alu instid0(VALU_DEP_2) | instskip(NEXT) | instid1(VALU_DEP_2)
	v_add_co_u32 v7, vcc_lo, v7, v9
	v_add_co_ci_u32_e32 v8, vcc_lo, v8, v10, vcc_lo
	s_delay_alu instid0(VALU_DEP_2) | instskip(SKIP_1) | instid1(VALU_DEP_3)
	v_mul_hi_u32 v9, s0, v7
	v_mul_lo_u32 v14, s17, v7
	v_mul_lo_u32 v10, s0, v8
	s_delay_alu instid0(VALU_DEP_1) | instskip(SKIP_1) | instid1(VALU_DEP_2)
	v_add_nc_u32_e32 v9, v9, v10
	v_mul_lo_u32 v10, s0, v7
	v_add_nc_u32_e32 v9, v9, v14
	s_delay_alu instid0(VALU_DEP_2) | instskip(NEXT) | instid1(VALU_DEP_2)
	v_mul_hi_u32 v14, v7, v10
	v_mul_lo_u32 v18, v7, v9
	v_mul_hi_u32 v44, v7, v9
	v_mul_hi_u32 v45, v8, v10
	v_mul_lo_u32 v10, v8, v10
	v_mul_hi_u32 v46, v8, v9
	v_mul_lo_u32 v9, v8, v9
	v_add_co_u32 v14, vcc_lo, v14, v18
	v_add_co_ci_u32_e32 v18, vcc_lo, 0, v44, vcc_lo
	s_delay_alu instid0(VALU_DEP_2) | instskip(NEXT) | instid1(VALU_DEP_2)
	v_add_co_u32 v10, vcc_lo, v14, v10
	v_add_co_ci_u32_e32 v10, vcc_lo, v18, v45, vcc_lo
	v_add_co_ci_u32_e32 v14, vcc_lo, 0, v46, vcc_lo
	s_delay_alu instid0(VALU_DEP_2) | instskip(NEXT) | instid1(VALU_DEP_2)
	v_add_co_u32 v9, vcc_lo, v10, v9
	v_add_co_ci_u32_e32 v10, vcc_lo, 0, v14, vcc_lo
	s_delay_alu instid0(VALU_DEP_2) | instskip(NEXT) | instid1(VALU_DEP_2)
	v_add_co_u32 v14, vcc_lo, v7, v9
	v_add_co_ci_u32_e32 v18, vcc_lo, v8, v10, vcc_lo
	s_delay_alu instid0(VALU_DEP_2) | instskip(SKIP_1) | instid1(VALU_DEP_3)
	v_mul_hi_u32 v46, v1, v14
	v_mad_u64_u32 v[9:10], null, v0, v14, 0
	v_mad_u64_u32 v[7:8], null, v1, v18, 0
	;; [unrolled: 1-line block ×3, first 2 shown]
	s_delay_alu instid0(VALU_DEP_2) | instskip(NEXT) | instid1(VALU_DEP_3)
	v_add_co_u32 v7, vcc_lo, v46, v7
	v_add_co_ci_u32_e32 v8, vcc_lo, 0, v8, vcc_lo
	s_delay_alu instid0(VALU_DEP_2) | instskip(NEXT) | instid1(VALU_DEP_2)
	v_add_co_u32 v7, vcc_lo, v7, v9
	v_add_co_ci_u32_e32 v7, vcc_lo, v8, v10, vcc_lo
	v_add_co_ci_u32_e32 v8, vcc_lo, 0, v45, vcc_lo
	s_delay_alu instid0(VALU_DEP_2) | instskip(NEXT) | instid1(VALU_DEP_2)
	v_add_co_u32 v9, vcc_lo, v7, v44
	v_add_co_ci_u32_e32 v10, vcc_lo, 0, v8, vcc_lo
	s_delay_alu instid0(VALU_DEP_2) | instskip(SKIP_1) | instid1(VALU_DEP_3)
	v_mul_lo_u32 v14, s9, v9
	v_mad_u64_u32 v[7:8], null, s8, v9, 0
	v_mul_lo_u32 v9, s8, v10
	s_delay_alu instid0(VALU_DEP_2) | instskip(NEXT) | instid1(VALU_DEP_2)
	v_sub_co_u32 v7, vcc_lo, v1, v7
	v_add3_u32 v8, v8, v9, v14
	s_delay_alu instid0(VALU_DEP_1) | instskip(NEXT) | instid1(VALU_DEP_1)
	v_sub_nc_u32_e32 v9, v0, v8
	v_subrev_co_ci_u32_e64 v9, s0, s9, v9, vcc_lo
	s_delay_alu instid0(VALU_DEP_4) | instskip(SKIP_1) | instid1(VALU_DEP_3)
	v_sub_co_u32 v10, s0, v7, s8
	v_sub_co_ci_u32_e32 v0, vcc_lo, v0, v8, vcc_lo
	v_subrev_co_ci_u32_e64 v9, s0, 0, v9, s0
	s_delay_alu instid0(VALU_DEP_3) | instskip(SKIP_1) | instid1(VALU_DEP_3)
	v_cmp_le_u32_e32 vcc_lo, s8, v10
	v_cndmask_b32_e64 v8, 0, -1, vcc_lo
	v_cmp_le_u32_e32 vcc_lo, s9, v9
	v_cndmask_b32_e64 v14, 0, -1, vcc_lo
	;; [unrolled: 2-line block ×4, first 2 shown]
	v_cmp_eq_u32_e32 vcc_lo, s9, v9
	v_cndmask_b32_e32 v8, v14, v8, vcc_lo
	v_sub_co_u32 v9, vcc_lo, v10, s8
	v_cmp_eq_u32_e32 vcc_lo, s9, v0
	v_cndmask_b32_e32 v0, v44, v18, vcc_lo
	s_delay_alu instid0(VALU_DEP_4) | instskip(NEXT) | instid1(VALU_DEP_4)
	v_cmp_ne_u32_e32 vcc_lo, 0, v8
	v_cndmask_b32_e32 v8, v10, v9, vcc_lo
	s_delay_alu instid0(VALU_DEP_3) | instskip(NEXT) | instid1(VALU_DEP_2)
	v_cmp_ne_u32_e32 vcc_lo, 0, v0
	v_cndmask_b32_e32 v7, v7, v8, vcc_lo
.LBB8_22:                               ;   in Loop: Header=BB8_9 Depth=1
	s_and_not1_saveexec_b32 s0, s16
	s_cbranch_execz .LBB8_24
; %bb.23:                               ;   in Loop: Header=BB8_9 Depth=1
	v_cvt_f32_u32_e32 v0, s8
	s_sub_i32 s16, 0, s8
	s_delay_alu instid0(VALU_DEP_1) | instskip(SKIP_2) | instid1(VALU_DEP_1)
	v_rcp_iflag_f32_e32 v0, v0
	s_waitcnt_depctr 0xfff
	v_mul_f32_e32 v0, 0x4f7ffffe, v0
	v_cvt_u32_f32_e32 v0, v0
	s_delay_alu instid0(VALU_DEP_1) | instskip(NEXT) | instid1(VALU_DEP_1)
	v_mul_lo_u32 v7, s16, v0
	v_mul_hi_u32 v7, v0, v7
	s_delay_alu instid0(VALU_DEP_1) | instskip(NEXT) | instid1(VALU_DEP_1)
	v_add_nc_u32_e32 v0, v0, v7
	v_mul_hi_u32 v0, v1, v0
	s_delay_alu instid0(VALU_DEP_1) | instskip(NEXT) | instid1(VALU_DEP_1)
	v_mul_lo_u32 v0, v0, s8
	v_sub_nc_u32_e32 v0, v1, v0
	s_delay_alu instid0(VALU_DEP_1) | instskip(SKIP_1) | instid1(VALU_DEP_2)
	v_subrev_nc_u32_e32 v1, s8, v0
	v_cmp_le_u32_e32 vcc_lo, s8, v0
	v_cndmask_b32_e32 v0, v0, v1, vcc_lo
	s_delay_alu instid0(VALU_DEP_1) | instskip(SKIP_1) | instid1(VALU_DEP_2)
	v_subrev_nc_u32_e32 v1, s8, v0
	v_cmp_le_u32_e32 vcc_lo, s8, v0
	v_cndmask_b32_e32 v7, v0, v1, vcc_lo
.LBB8_24:                               ;   in Loop: Header=BB8_9 Depth=1
	s_or_b32 exec_lo, exec_lo, s0
	v_add_nc_u32_e32 v0, s14, v41
	s_delay_alu instid0(VALU_DEP_2) | instskip(NEXT) | instid1(VALU_DEP_2)
	v_add_nc_u32_e32 v7, s10, v7
	v_ashrrev_i32_e32 v1, 31, v0
	v_add_co_u32 v0, vcc_lo, s6, v0
	s_delay_alu instid0(VALU_DEP_2)
	v_add_co_ci_u32_e32 v1, vcc_lo, s7, v1, vcc_lo
	global_store_b32 v[0:1], v7, off
.LBB8_25:                               ;   in Loop: Header=BB8_9 Depth=1
	s_or_b32 exec_lo, exec_lo, s15
	v_add_co_u32 v0, vcc_lo, s12, v15
	v_add_co_ci_u32_e32 v1, vcc_lo, 0, v16, vcc_lo
	s_mov_b32 s15, exec_lo
	s_delay_alu instid0(VALU_DEP_1)
	v_cmpx_gt_i64_e64 s[4:5], v[0:1]
	s_cbranch_execz .LBB8_8
; %bb.26:                               ;   in Loop: Header=BB8_9 Depth=1
	v_or_b32_e32 v14, s9, v2
                                        ; implicit-def: $vgpr7_vgpr8
	s_mov_b32 s0, exec_lo
	s_delay_alu instid0(VALU_DEP_1)
	v_cmpx_ne_u64_e32 0, v[13:14]
	s_xor_b32 s16, exec_lo, s0
	s_cbranch_execz .LBB8_28
; %bb.27:                               ;   in Loop: Header=BB8_9 Depth=1
	v_cvt_f32_u32_e32 v0, s8
	v_cvt_f32_u32_e32 v1, s9
	s_sub_u32 s0, 0, s8
	s_subb_u32 s17, 0, s9
	s_delay_alu instid0(VALU_DEP_1) | instskip(NEXT) | instid1(VALU_DEP_1)
	v_fmac_f32_e32 v0, 0x4f800000, v1
	v_rcp_f32_e32 v0, v0
	s_waitcnt_depctr 0xfff
	v_mul_f32_e32 v0, 0x5f7ffffc, v0
	s_delay_alu instid0(VALU_DEP_1) | instskip(NEXT) | instid1(VALU_DEP_1)
	v_mul_f32_e32 v1, 0x2f800000, v0
	v_trunc_f32_e32 v1, v1
	s_delay_alu instid0(VALU_DEP_1) | instskip(SKIP_1) | instid1(VALU_DEP_2)
	v_fmac_f32_e32 v0, 0xcf800000, v1
	v_cvt_u32_f32_e32 v1, v1
	v_cvt_u32_f32_e32 v0, v0
	s_delay_alu instid0(VALU_DEP_2) | instskip(NEXT) | instid1(VALU_DEP_2)
	v_mul_lo_u32 v7, s0, v1
	v_mul_hi_u32 v8, s0, v0
	v_mul_lo_u32 v9, s17, v0
	s_delay_alu instid0(VALU_DEP_2) | instskip(SKIP_1) | instid1(VALU_DEP_2)
	v_add_nc_u32_e32 v7, v8, v7
	v_mul_lo_u32 v8, s0, v0
	v_add_nc_u32_e32 v7, v7, v9
	s_delay_alu instid0(VALU_DEP_2) | instskip(NEXT) | instid1(VALU_DEP_2)
	v_mul_hi_u32 v9, v0, v8
	v_mul_lo_u32 v10, v0, v7
	v_mul_hi_u32 v14, v0, v7
	v_mul_hi_u32 v18, v1, v8
	v_mul_lo_u32 v8, v1, v8
	v_mul_hi_u32 v44, v1, v7
	v_mul_lo_u32 v7, v1, v7
	v_add_co_u32 v9, vcc_lo, v9, v10
	v_add_co_ci_u32_e32 v10, vcc_lo, 0, v14, vcc_lo
	s_delay_alu instid0(VALU_DEP_2) | instskip(NEXT) | instid1(VALU_DEP_2)
	v_add_co_u32 v8, vcc_lo, v9, v8
	v_add_co_ci_u32_e32 v8, vcc_lo, v10, v18, vcc_lo
	v_add_co_ci_u32_e32 v9, vcc_lo, 0, v44, vcc_lo
	s_delay_alu instid0(VALU_DEP_2) | instskip(NEXT) | instid1(VALU_DEP_2)
	v_add_co_u32 v7, vcc_lo, v8, v7
	v_add_co_ci_u32_e32 v8, vcc_lo, 0, v9, vcc_lo
	s_delay_alu instid0(VALU_DEP_2) | instskip(NEXT) | instid1(VALU_DEP_2)
	v_add_co_u32 v0, vcc_lo, v0, v7
	v_add_co_ci_u32_e32 v1, vcc_lo, v1, v8, vcc_lo
	s_delay_alu instid0(VALU_DEP_2) | instskip(SKIP_1) | instid1(VALU_DEP_3)
	v_mul_hi_u32 v7, s0, v0
	v_mul_lo_u32 v9, s17, v0
	v_mul_lo_u32 v8, s0, v1
	s_delay_alu instid0(VALU_DEP_1) | instskip(SKIP_1) | instid1(VALU_DEP_2)
	v_add_nc_u32_e32 v7, v7, v8
	v_mul_lo_u32 v8, s0, v0
	v_add_nc_u32_e32 v7, v7, v9
	s_delay_alu instid0(VALU_DEP_2) | instskip(NEXT) | instid1(VALU_DEP_2)
	v_mul_hi_u32 v9, v0, v8
	v_mul_lo_u32 v10, v0, v7
	v_mul_hi_u32 v14, v0, v7
	v_mul_hi_u32 v18, v1, v8
	v_mul_lo_u32 v8, v1, v8
	v_mul_hi_u32 v44, v1, v7
	v_mul_lo_u32 v7, v1, v7
	v_add_co_u32 v9, vcc_lo, v9, v10
	v_add_co_ci_u32_e32 v10, vcc_lo, 0, v14, vcc_lo
	s_delay_alu instid0(VALU_DEP_2) | instskip(NEXT) | instid1(VALU_DEP_2)
	v_add_co_u32 v8, vcc_lo, v9, v8
	v_add_co_ci_u32_e32 v8, vcc_lo, v10, v18, vcc_lo
	v_add_co_ci_u32_e32 v9, vcc_lo, 0, v44, vcc_lo
	s_delay_alu instid0(VALU_DEP_2) | instskip(NEXT) | instid1(VALU_DEP_2)
	v_add_co_u32 v7, vcc_lo, v8, v7
	v_add_co_ci_u32_e32 v8, vcc_lo, 0, v9, vcc_lo
	s_delay_alu instid0(VALU_DEP_2) | instskip(NEXT) | instid1(VALU_DEP_2)
	v_add_co_u32 v9, vcc_lo, v0, v7
	v_add_co_ci_u32_e32 v14, vcc_lo, v1, v8, vcc_lo
	s_delay_alu instid0(VALU_DEP_2) | instskip(SKIP_1) | instid1(VALU_DEP_3)
	v_mul_hi_u32 v18, v3, v9
	v_mad_u64_u32 v[7:8], null, v2, v9, 0
	v_mad_u64_u32 v[0:1], null, v3, v14, 0
	v_mad_u64_u32 v[9:10], null, v2, v14, 0
	s_delay_alu instid0(VALU_DEP_2) | instskip(NEXT) | instid1(VALU_DEP_3)
	v_add_co_u32 v0, vcc_lo, v18, v0
	v_add_co_ci_u32_e32 v1, vcc_lo, 0, v1, vcc_lo
	s_delay_alu instid0(VALU_DEP_2) | instskip(NEXT) | instid1(VALU_DEP_2)
	v_add_co_u32 v0, vcc_lo, v0, v7
	v_add_co_ci_u32_e32 v0, vcc_lo, v1, v8, vcc_lo
	v_add_co_ci_u32_e32 v1, vcc_lo, 0, v10, vcc_lo
	s_delay_alu instid0(VALU_DEP_2) | instskip(NEXT) | instid1(VALU_DEP_2)
	v_add_co_u32 v7, vcc_lo, v0, v9
	v_add_co_ci_u32_e32 v8, vcc_lo, 0, v1, vcc_lo
	s_delay_alu instid0(VALU_DEP_2) | instskip(SKIP_1) | instid1(VALU_DEP_3)
	v_mul_lo_u32 v9, s9, v7
	v_mad_u64_u32 v[0:1], null, s8, v7, 0
	v_mul_lo_u32 v7, s8, v8
	s_delay_alu instid0(VALU_DEP_2) | instskip(NEXT) | instid1(VALU_DEP_2)
	v_sub_co_u32 v0, vcc_lo, v3, v0
	v_add3_u32 v1, v1, v7, v9
	s_delay_alu instid0(VALU_DEP_1) | instskip(NEXT) | instid1(VALU_DEP_1)
	v_sub_nc_u32_e32 v7, v2, v1
	v_subrev_co_ci_u32_e64 v3, s0, s9, v7, vcc_lo
	s_delay_alu instid0(VALU_DEP_4) | instskip(SKIP_1) | instid1(VALU_DEP_3)
	v_sub_co_u32 v7, s0, v0, s8
	v_sub_co_ci_u32_e32 v1, vcc_lo, v2, v1, vcc_lo
	v_subrev_co_ci_u32_e64 v3, s0, 0, v3, s0
	s_delay_alu instid0(VALU_DEP_3) | instskip(SKIP_1) | instid1(VALU_DEP_3)
	v_cmp_le_u32_e32 vcc_lo, s8, v7
	v_cndmask_b32_e64 v2, 0, -1, vcc_lo
	v_cmp_le_u32_e32 vcc_lo, s9, v3
	v_cndmask_b32_e64 v8, 0, -1, vcc_lo
	v_cmp_le_u32_e32 vcc_lo, s8, v0
	v_cndmask_b32_e64 v9, 0, -1, vcc_lo
	v_cmp_le_u32_e32 vcc_lo, s9, v1
	v_cndmask_b32_e64 v10, 0, -1, vcc_lo
	v_cmp_eq_u32_e32 vcc_lo, s9, v3
	v_cndmask_b32_e32 v2, v8, v2, vcc_lo
	v_sub_co_u32 v3, vcc_lo, v7, s8
	v_cmp_eq_u32_e32 vcc_lo, s9, v1
	v_cndmask_b32_e32 v1, v10, v9, vcc_lo
	s_delay_alu instid0(VALU_DEP_4) | instskip(NEXT) | instid1(VALU_DEP_4)
	v_cmp_ne_u32_e32 vcc_lo, 0, v2
	v_cndmask_b32_e32 v2, v7, v3, vcc_lo
	s_delay_alu instid0(VALU_DEP_3) | instskip(NEXT) | instid1(VALU_DEP_2)
	v_cmp_ne_u32_e32 vcc_lo, 0, v1
	v_cndmask_b32_e32 v7, v0, v2, vcc_lo
                                        ; implicit-def: $vgpr0_vgpr1_vgpr2_vgpr3
.LBB8_28:                               ;   in Loop: Header=BB8_9 Depth=1
	s_and_not1_saveexec_b32 s0, s16
	s_cbranch_execz .LBB8_7
; %bb.29:                               ;   in Loop: Header=BB8_9 Depth=1
	v_cvt_f32_u32_e32 v0, s8
	s_sub_i32 s16, 0, s8
	s_delay_alu instid0(VALU_DEP_1) | instskip(SKIP_2) | instid1(VALU_DEP_1)
	v_rcp_iflag_f32_e32 v0, v0
	s_waitcnt_depctr 0xfff
	v_mul_f32_e32 v0, 0x4f7ffffe, v0
	v_cvt_u32_f32_e32 v0, v0
	s_delay_alu instid0(VALU_DEP_1) | instskip(NEXT) | instid1(VALU_DEP_1)
	v_mul_lo_u32 v1, s16, v0
	v_mul_hi_u32 v1, v0, v1
	s_delay_alu instid0(VALU_DEP_1) | instskip(NEXT) | instid1(VALU_DEP_1)
	v_add_nc_u32_e32 v0, v0, v1
	v_mul_hi_u32 v0, v3, v0
	s_delay_alu instid0(VALU_DEP_1) | instskip(NEXT) | instid1(VALU_DEP_1)
	v_mul_lo_u32 v0, v0, s8
	v_sub_nc_u32_e32 v0, v3, v0
	s_delay_alu instid0(VALU_DEP_1) | instskip(SKIP_1) | instid1(VALU_DEP_2)
	v_subrev_nc_u32_e32 v1, s8, v0
	v_cmp_le_u32_e32 vcc_lo, s8, v0
	v_cndmask_b32_e32 v0, v0, v1, vcc_lo
	s_delay_alu instid0(VALU_DEP_1) | instskip(SKIP_1) | instid1(VALU_DEP_2)
	v_subrev_nc_u32_e32 v1, s8, v0
	v_cmp_le_u32_e32 vcc_lo, s8, v0
	v_cndmask_b32_e32 v7, v0, v1, vcc_lo
	s_branch .LBB8_7
.LBB8_30:
	s_endpgm
.LBB8_31:
                                        ; implicit-def: $sgpr2_sgpr3
	s_branch .LBB8_4
	.section	.rodata,"a",@progbits
	.p2align	6, 0x0
	.amdhsa_kernel _ZN2at6native12_GLOBAL__N_143distribution_elementwise_grid_stride_kernelImLi2EZZZNS0_9templates4cuda21random_from_to_kernelIPNS_17CUDAGeneratorImplEEEvRNS_18TensorIteratorBaseEmlT_ENKUlvE_clEvENKUlvE1_clEvEUlP25hiprandStatePhilox4_32_10E_ZNS1_27distribution_nullary_kernelIim15HIP_vector_typeIyLj2EES7_SF_ZZZNS5_IS7_EEvS9_mlSA_ENKSB_clEvENKSC_clEvEUlmE_EEvS9_T2_RKT3_T4_EUlimE_EEvlNS_15PhiloxCudaStateET1_SK_
		.amdhsa_group_segment_fixed_size 0
		.amdhsa_private_segment_fixed_size 0
		.amdhsa_kernarg_size 336
		.amdhsa_user_sgpr_count 15
		.amdhsa_user_sgpr_dispatch_ptr 0
		.amdhsa_user_sgpr_queue_ptr 0
		.amdhsa_user_sgpr_kernarg_segment_ptr 1
		.amdhsa_user_sgpr_dispatch_id 0
		.amdhsa_user_sgpr_private_segment_size 0
		.amdhsa_wavefront_size32 1
		.amdhsa_uses_dynamic_stack 0
		.amdhsa_enable_private_segment 0
		.amdhsa_system_sgpr_workgroup_id_x 1
		.amdhsa_system_sgpr_workgroup_id_y 0
		.amdhsa_system_sgpr_workgroup_id_z 0
		.amdhsa_system_sgpr_workgroup_info 0
		.amdhsa_system_vgpr_workitem_id 0
		.amdhsa_next_free_vgpr 47
		.amdhsa_next_free_sgpr 23
		.amdhsa_reserve_vcc 1
		.amdhsa_float_round_mode_32 0
		.amdhsa_float_round_mode_16_64 0
		.amdhsa_float_denorm_mode_32 3
		.amdhsa_float_denorm_mode_16_64 3
		.amdhsa_dx10_clamp 1
		.amdhsa_ieee_mode 1
		.amdhsa_fp16_overflow 0
		.amdhsa_workgroup_processor_mode 1
		.amdhsa_memory_ordered 1
		.amdhsa_forward_progress 0
		.amdhsa_shared_vgpr_count 0
		.amdhsa_exception_fp_ieee_invalid_op 0
		.amdhsa_exception_fp_denorm_src 0
		.amdhsa_exception_fp_ieee_div_zero 0
		.amdhsa_exception_fp_ieee_overflow 0
		.amdhsa_exception_fp_ieee_underflow 0
		.amdhsa_exception_fp_ieee_inexact 0
		.amdhsa_exception_int_div_zero 0
	.end_amdhsa_kernel
	.section	.text._ZN2at6native12_GLOBAL__N_143distribution_elementwise_grid_stride_kernelImLi2EZZZNS0_9templates4cuda21random_from_to_kernelIPNS_17CUDAGeneratorImplEEEvRNS_18TensorIteratorBaseEmlT_ENKUlvE_clEvENKUlvE1_clEvEUlP25hiprandStatePhilox4_32_10E_ZNS1_27distribution_nullary_kernelIim15HIP_vector_typeIyLj2EES7_SF_ZZZNS5_IS7_EEvS9_mlSA_ENKSB_clEvENKSC_clEvEUlmE_EEvS9_T2_RKT3_T4_EUlimE_EEvlNS_15PhiloxCudaStateET1_SK_,"axG",@progbits,_ZN2at6native12_GLOBAL__N_143distribution_elementwise_grid_stride_kernelImLi2EZZZNS0_9templates4cuda21random_from_to_kernelIPNS_17CUDAGeneratorImplEEEvRNS_18TensorIteratorBaseEmlT_ENKUlvE_clEvENKUlvE1_clEvEUlP25hiprandStatePhilox4_32_10E_ZNS1_27distribution_nullary_kernelIim15HIP_vector_typeIyLj2EES7_SF_ZZZNS5_IS7_EEvS9_mlSA_ENKSB_clEvENKSC_clEvEUlmE_EEvS9_T2_RKT3_T4_EUlimE_EEvlNS_15PhiloxCudaStateET1_SK_,comdat
.Lfunc_end8:
	.size	_ZN2at6native12_GLOBAL__N_143distribution_elementwise_grid_stride_kernelImLi2EZZZNS0_9templates4cuda21random_from_to_kernelIPNS_17CUDAGeneratorImplEEEvRNS_18TensorIteratorBaseEmlT_ENKUlvE_clEvENKUlvE1_clEvEUlP25hiprandStatePhilox4_32_10E_ZNS1_27distribution_nullary_kernelIim15HIP_vector_typeIyLj2EES7_SF_ZZZNS5_IS7_EEvS9_mlSA_ENKSB_clEvENKSC_clEvEUlmE_EEvS9_T2_RKT3_T4_EUlimE_EEvlNS_15PhiloxCudaStateET1_SK_, .Lfunc_end8-_ZN2at6native12_GLOBAL__N_143distribution_elementwise_grid_stride_kernelImLi2EZZZNS0_9templates4cuda21random_from_to_kernelIPNS_17CUDAGeneratorImplEEEvRNS_18TensorIteratorBaseEmlT_ENKUlvE_clEvENKUlvE1_clEvEUlP25hiprandStatePhilox4_32_10E_ZNS1_27distribution_nullary_kernelIim15HIP_vector_typeIyLj2EES7_SF_ZZZNS5_IS7_EEvS9_mlSA_ENKSB_clEvENKSC_clEvEUlmE_EEvS9_T2_RKT3_T4_EUlimE_EEvlNS_15PhiloxCudaStateET1_SK_
                                        ; -- End function
	.section	.AMDGPU.csdata,"",@progbits
; Kernel info:
; codeLenInByte = 4348
; NumSgprs: 25
; NumVgprs: 47
; ScratchSize: 0
; MemoryBound: 0
; FloatMode: 240
; IeeeMode: 1
; LDSByteSize: 0 bytes/workgroup (compile time only)
; SGPRBlocks: 3
; VGPRBlocks: 5
; NumSGPRsForWavesPerEU: 25
; NumVGPRsForWavesPerEU: 47
; Occupancy: 16
; WaveLimiterHint : 0
; COMPUTE_PGM_RSRC2:SCRATCH_EN: 0
; COMPUTE_PGM_RSRC2:USER_SGPR: 15
; COMPUTE_PGM_RSRC2:TRAP_HANDLER: 0
; COMPUTE_PGM_RSRC2:TGID_X_EN: 1
; COMPUTE_PGM_RSRC2:TGID_Y_EN: 0
; COMPUTE_PGM_RSRC2:TGID_Z_EN: 0
; COMPUTE_PGM_RSRC2:TIDIG_COMP_CNT: 0
	.section	.text._ZN2at6native12_GLOBAL__N_143distribution_elementwise_grid_stride_kernelImLi2EZZZNS0_9templates4cuda21random_from_to_kernelIPNS_17CUDAGeneratorImplEEEvRNS_18TensorIteratorBaseEmlT_ENKUlvE_clEvENKUlvE1_clEvEUlP25hiprandStatePhilox4_32_10E_ZNS1_27distribution_nullary_kernelIim15HIP_vector_typeIyLj2EES7_SF_ZZZNS5_IS7_EEvS9_mlSA_ENKSB_clEvENKSC_clEvEUlmE_EEvS9_T2_RKT3_T4_EUlimE0_EEvlNS_15PhiloxCudaStateET1_SK_,"axG",@progbits,_ZN2at6native12_GLOBAL__N_143distribution_elementwise_grid_stride_kernelImLi2EZZZNS0_9templates4cuda21random_from_to_kernelIPNS_17CUDAGeneratorImplEEEvRNS_18TensorIteratorBaseEmlT_ENKUlvE_clEvENKUlvE1_clEvEUlP25hiprandStatePhilox4_32_10E_ZNS1_27distribution_nullary_kernelIim15HIP_vector_typeIyLj2EES7_SF_ZZZNS5_IS7_EEvS9_mlSA_ENKSB_clEvENKSC_clEvEUlmE_EEvS9_T2_RKT3_T4_EUlimE0_EEvlNS_15PhiloxCudaStateET1_SK_,comdat
	.globl	_ZN2at6native12_GLOBAL__N_143distribution_elementwise_grid_stride_kernelImLi2EZZZNS0_9templates4cuda21random_from_to_kernelIPNS_17CUDAGeneratorImplEEEvRNS_18TensorIteratorBaseEmlT_ENKUlvE_clEvENKUlvE1_clEvEUlP25hiprandStatePhilox4_32_10E_ZNS1_27distribution_nullary_kernelIim15HIP_vector_typeIyLj2EES7_SF_ZZZNS5_IS7_EEvS9_mlSA_ENKSB_clEvENKSC_clEvEUlmE_EEvS9_T2_RKT3_T4_EUlimE0_EEvlNS_15PhiloxCudaStateET1_SK_ ; -- Begin function _ZN2at6native12_GLOBAL__N_143distribution_elementwise_grid_stride_kernelImLi2EZZZNS0_9templates4cuda21random_from_to_kernelIPNS_17CUDAGeneratorImplEEEvRNS_18TensorIteratorBaseEmlT_ENKUlvE_clEvENKUlvE1_clEvEUlP25hiprandStatePhilox4_32_10E_ZNS1_27distribution_nullary_kernelIim15HIP_vector_typeIyLj2EES7_SF_ZZZNS5_IS7_EEvS9_mlSA_ENKSB_clEvENKSC_clEvEUlmE_EEvS9_T2_RKT3_T4_EUlimE0_EEvlNS_15PhiloxCudaStateET1_SK_
	.p2align	8
	.type	_ZN2at6native12_GLOBAL__N_143distribution_elementwise_grid_stride_kernelImLi2EZZZNS0_9templates4cuda21random_from_to_kernelIPNS_17CUDAGeneratorImplEEEvRNS_18TensorIteratorBaseEmlT_ENKUlvE_clEvENKUlvE1_clEvEUlP25hiprandStatePhilox4_32_10E_ZNS1_27distribution_nullary_kernelIim15HIP_vector_typeIyLj2EES7_SF_ZZZNS5_IS7_EEvS9_mlSA_ENKSB_clEvENKSC_clEvEUlmE_EEvS9_T2_RKT3_T4_EUlimE0_EEvlNS_15PhiloxCudaStateET1_SK_,@function
_ZN2at6native12_GLOBAL__N_143distribution_elementwise_grid_stride_kernelImLi2EZZZNS0_9templates4cuda21random_from_to_kernelIPNS_17CUDAGeneratorImplEEEvRNS_18TensorIteratorBaseEmlT_ENKUlvE_clEvENKUlvE1_clEvEUlP25hiprandStatePhilox4_32_10E_ZNS1_27distribution_nullary_kernelIim15HIP_vector_typeIyLj2EES7_SF_ZZZNS5_IS7_EEvS9_mlSA_ENKSB_clEvENKSC_clEvEUlmE_EEvS9_T2_RKT3_T4_EUlimE0_EEvlNS_15PhiloxCudaStateET1_SK_: ; @_ZN2at6native12_GLOBAL__N_143distribution_elementwise_grid_stride_kernelImLi2EZZZNS0_9templates4cuda21random_from_to_kernelIPNS_17CUDAGeneratorImplEEEvRNS_18TensorIteratorBaseEmlT_ENKUlvE_clEvENKUlvE1_clEvEUlP25hiprandStatePhilox4_32_10E_ZNS1_27distribution_nullary_kernelIim15HIP_vector_typeIyLj2EES7_SF_ZZZNS5_IS7_EEvS9_mlSA_ENKSB_clEvENKSC_clEvEUlmE_EEvS9_T2_RKT3_T4_EUlimE0_EEvlNS_15PhiloxCudaStateET1_SK_
; %bb.0:
	s_clause 0x2
	s_load_b64 s[4:5], s[0:1], 0x10
	s_load_b128 s[16:19], s[0:1], 0x0
	s_load_b32 s2, s[0:1], 0x20
	s_waitcnt lgkmcnt(0)
	v_dual_mov_b32 v2, s4 :: v_dual_mov_b32 v3, s5
	v_dual_mov_b32 v11, s18 :: v_dual_mov_b32 v12, s19
	s_bitcmp0_b32 s2, 0
	s_mov_b32 s2, 0
	s_cbranch_scc1 .LBB9_2
; %bb.1:
	v_dual_mov_b32 v1, s4 :: v_dual_mov_b32 v2, s5
	v_dual_mov_b32 v4, s18 :: v_dual_mov_b32 v5, s19
	s_load_b64 s[4:5], s[0:1], 0x18
	flat_load_b64 v[2:3], v[1:2]
	flat_load_b64 v[11:12], v[4:5]
	s_waitcnt vmcnt(1) lgkmcnt(0)
	v_add_co_u32 v2, vcc_lo, v2, s4
	v_add_co_ci_u32_e32 v3, vcc_lo, s5, v3, vcc_lo
.LBB9_2:
	s_clause 0x1
	s_load_b32 s3, s[0:1], 0x15c
	s_load_b32 s5, s[0:1], 0x150
	s_waitcnt lgkmcnt(0)
	s_and_b32 s4, s3, 0xffff
	s_add_u32 s6, s16, -1
	s_mul_i32 s28, s5, s4
	s_addc_u32 s3, s17, -1
	s_lshl_b32 s29, s28, 1
	s_cmp_lg_u64 s[2:3], 0
	s_cbranch_scc0 .LBB9_57
; %bb.3:
	v_cvt_f32_ubyte0_e32 v1, 0
	v_cvt_f32_u32_e32 v4, s29
	s_sub_u32 s8, 0, s29
	s_subb_u32 s9, 0, 0
	s_delay_alu instid0(VALU_DEP_1) | instskip(NEXT) | instid1(VALU_DEP_1)
	v_fmamk_f32 v1, v1, 0x4f800000, v4
	v_rcp_f32_e32 v1, v1
	s_waitcnt_depctr 0xfff
	v_mul_f32_e32 v1, 0x5f7ffffc, v1
	s_delay_alu instid0(VALU_DEP_1) | instskip(NEXT) | instid1(VALU_DEP_1)
	v_mul_f32_e32 v4, 0x2f800000, v1
	v_trunc_f32_e32 v4, v4
	s_delay_alu instid0(VALU_DEP_1) | instskip(SKIP_1) | instid1(VALU_DEP_2)
	v_fmamk_f32 v1, v4, 0xcf800000, v1
	v_cvt_u32_f32_e32 v4, v4
	v_cvt_u32_f32_e32 v1, v1
	s_delay_alu instid0(VALU_DEP_2) | instskip(NEXT) | instid1(VALU_DEP_2)
	v_readfirstlane_b32 s2, v4
	v_readfirstlane_b32 s7, v1
	s_delay_alu instid0(VALU_DEP_2) | instskip(NEXT) | instid1(VALU_DEP_1)
	s_mul_i32 s10, s8, s2
	s_mul_hi_u32 s12, s8, s7
	s_mul_i32 s11, s9, s7
	s_add_i32 s10, s12, s10
	s_mul_i32 s13, s8, s7
	s_add_i32 s10, s10, s11
	s_mul_hi_u32 s12, s7, s13
	s_mul_hi_u32 s14, s2, s13
	s_mul_i32 s11, s2, s13
	s_mul_hi_u32 s13, s7, s10
	s_mul_i32 s7, s7, s10
	s_mul_hi_u32 s18, s2, s10
	s_add_u32 s7, s12, s7
	s_addc_u32 s12, 0, s13
	s_add_u32 s7, s7, s11
	s_mul_i32 s10, s2, s10
	s_addc_u32 s7, s12, s14
	s_addc_u32 s11, s18, 0
	s_add_u32 s7, s7, s10
	s_addc_u32 s10, 0, s11
	v_add_co_u32 v1, s7, v1, s7
	s_delay_alu instid0(VALU_DEP_1) | instskip(SKIP_1) | instid1(VALU_DEP_1)
	s_cmp_lg_u32 s7, 0
	s_addc_u32 s2, s2, s10
	v_readfirstlane_b32 s7, v1
	s_mul_i32 s10, s8, s2
	s_delay_alu instid0(VALU_DEP_1)
	s_mul_hi_u32 s11, s8, s7
	s_mul_i32 s9, s9, s7
	s_add_i32 s10, s11, s10
	s_mul_i32 s8, s8, s7
	s_add_i32 s10, s10, s9
	s_mul_hi_u32 s11, s2, s8
	s_mul_i32 s12, s2, s8
	s_mul_hi_u32 s8, s7, s8
	s_mul_hi_u32 s13, s7, s10
	s_mul_i32 s7, s7, s10
	s_mul_hi_u32 s9, s2, s10
	s_add_u32 s7, s8, s7
	s_addc_u32 s8, 0, s13
	s_add_u32 s7, s7, s12
	s_mul_i32 s10, s2, s10
	s_addc_u32 s7, s8, s11
	s_addc_u32 s8, s9, 0
	s_add_u32 s7, s7, s10
	s_addc_u32 s8, 0, s8
	v_add_co_u32 v1, s7, v1, s7
	s_delay_alu instid0(VALU_DEP_1) | instskip(SKIP_2) | instid1(VALU_DEP_1)
	s_cmp_lg_u32 s7, 0
	s_addc_u32 s7, s2, s8
	s_ashr_i32 s8, s3, 31
	v_readfirstlane_b32 s10, v1
	s_add_u32 s2, s6, s8
	s_mov_b32 s9, s8
	s_addc_u32 s3, s3, s8
	s_delay_alu instid0(SALU_CYCLE_1) | instskip(NEXT) | instid1(SALU_CYCLE_1)
	s_xor_b64 s[2:3], s[2:3], s[8:9]
	s_mul_i32 s12, s2, s7
	s_mul_hi_u32 s13, s2, s10
	s_mul_hi_u32 s11, s2, s7
	s_mul_hi_u32 s18, s3, s10
	s_mul_i32 s10, s3, s10
	s_add_u32 s12, s13, s12
	s_addc_u32 s11, 0, s11
	s_mul_hi_u32 s14, s3, s7
	s_add_u32 s10, s12, s10
	s_mul_i32 s7, s3, s7
	s_addc_u32 s10, s11, s18
	s_addc_u32 s11, s14, 0
	s_add_u32 s7, s10, s7
	s_addc_u32 s10, 0, s11
	s_mul_i32 s12, s29, s7
	s_add_u32 s11, s7, 1
	v_sub_co_u32 v1, s2, s2, s12
	s_mul_hi_u32 s12, s29, s7
	s_addc_u32 s13, s10, 0
	s_mul_i32 s14, s29, s10
	s_delay_alu instid0(VALU_DEP_1)
	v_sub_co_u32 v4, s18, v1, s29
	s_add_u32 s19, s7, 2
	s_addc_u32 s20, s10, 0
	s_add_i32 s12, s12, s14
	s_cmp_lg_u32 s2, 0
	v_readfirstlane_b32 s2, v4
	s_subb_u32 s3, s3, s12
	s_cmp_lg_u32 s18, 0
	s_subb_u32 s12, s3, 0
	s_delay_alu instid0(VALU_DEP_1) | instskip(SKIP_4) | instid1(SALU_CYCLE_1)
	s_cmp_ge_u32 s2, s29
	s_cselect_b32 s2, -1, 0
	s_cmp_eq_u32 s12, 0
	v_readfirstlane_b32 s12, v1
	s_cselect_b32 s2, s2, -1
	s_cmp_lg_u32 s2, 0
	s_cselect_b32 s2, s19, s11
	s_cselect_b32 s11, s20, s13
	s_cmp_ge_u32 s12, s29
	s_cselect_b32 s12, -1, 0
	s_cmp_eq_u32 s3, 0
	s_cselect_b32 s3, s12, -1
	s_delay_alu instid0(SALU_CYCLE_1) | instskip(SKIP_2) | instid1(SALU_CYCLE_1)
	s_cmp_lg_u32 s3, 0
	s_cselect_b32 s3, s11, s10
	s_cselect_b32 s2, s2, s7
	s_xor_b64 s[2:3], s[2:3], s[8:9]
	s_delay_alu instid0(SALU_CYCLE_1)
	s_sub_u32 s2, s2, s8
	s_subb_u32 s3, s3, s8
	s_cbranch_execnz .LBB9_5
.LBB9_4:
	v_cvt_f32_u32_e32 v1, s29
	s_sub_i32 s3, 0, s29
	s_delay_alu instid0(VALU_DEP_1) | instskip(SKIP_2) | instid1(VALU_DEP_1)
	v_rcp_iflag_f32_e32 v1, v1
	s_waitcnt_depctr 0xfff
	v_mul_f32_e32 v1, 0x4f7ffffe, v1
	v_cvt_u32_f32_e32 v1, v1
	s_delay_alu instid0(VALU_DEP_1) | instskip(NEXT) | instid1(VALU_DEP_1)
	v_readfirstlane_b32 s2, v1
	s_mul_i32 s3, s3, s2
	s_delay_alu instid0(SALU_CYCLE_1) | instskip(NEXT) | instid1(SALU_CYCLE_1)
	s_mul_hi_u32 s3, s2, s3
	s_add_i32 s2, s2, s3
	s_delay_alu instid0(SALU_CYCLE_1) | instskip(NEXT) | instid1(SALU_CYCLE_1)
	s_mul_hi_u32 s2, s6, s2
	s_mul_i32 s3, s2, s29
	s_delay_alu instid0(SALU_CYCLE_1)
	s_sub_i32 s3, s6, s3
	s_add_i32 s6, s2, 1
	s_sub_i32 s7, s3, s29
	s_cmp_ge_u32 s3, s29
	s_cselect_b32 s2, s6, s2
	s_cselect_b32 s3, s7, s3
	s_add_i32 s6, s2, 1
	s_cmp_ge_u32 s3, s29
	s_mov_b32 s3, 0
	s_cselect_b32 s2, s6, s2
.LBB9_5:
	v_mov_b32_e32 v13, 0
	s_add_u32 s2, s2, 1
	s_addc_u32 s3, s3, 0
	s_mul_hi_u32 s5, s5, s4
	s_mul_hi_u32 s6, s28, s2
	v_mov_b32_e32 v1, v13
	s_mul_i32 s3, s28, s3
	s_mul_i32 s5, s5, s2
	s_add_i32 s3, s6, s3
	s_mul_i32 s2, s28, s2
	v_mad_u64_u32 v[15:16], null, s4, s15, v[0:1]
	s_add_i32 s3, s3, s5
	s_mov_b32 s4, exec_lo
	s_lshl_b64 s[2:3], s[2:3], 1
	s_delay_alu instid0(VALU_DEP_1) | instid1(SALU_CYCLE_1)
	v_cmpx_gt_i64_e64 s[2:3], v[15:16]
	s_cbranch_execz .LBB9_56
; %bb.6:
	v_alignbit_b32 v19, v3, v2, 2
	v_mad_u64_u32 v[4:5], null, 0xcd9e8d57, v15, 0
	v_lshrrev_b32_e32 v20, 2, v3
	s_waitcnt vmcnt(0)
	v_dual_mov_b32 v9, v12 :: v_dual_add_nc_u32 v30, 0x8ff34781, v11
	v_mad_u64_u32 v[0:1], null, 0xd2511f53, v19, 0
	v_add_co_u32 v22, null, 0x9e3779b9, v11
	v_xor3_b32 v3, v11, v5, v20
	s_delay_alu instid0(VALU_DEP_4) | instskip(SKIP_2) | instid1(VALU_DEP_4)
	v_add_co_u32 v21, null, 0xbb67ae85, v9
	v_add_co_u32 v23, null, 0x3c6ef372, v11
	v_xor_b32_e32 v1, v1, v12
	v_mad_u64_u32 v[5:6], null, 0xd2511f53, v3, 0
	v_add_co_u32 v24, null, 0x76cf5d0a, v9
	s_delay_alu instid0(VALU_DEP_3) | instskip(SKIP_2) | instid1(VALU_DEP_3)
	v_xor_b32_e32 v1, v1, v16
	v_add_co_u32 v25, null, 0x32370b8f, v9
	v_add_co_u32 v26, null, 0xdaa66d2b, v11
	v_mad_u64_u32 v[7:8], null, 0xcd9e8d57, v1, 0
	v_xor3_b32 v3, v21, v6, v0
	v_add_co_u32 v27, null, 0x78dde6e4, v11
	v_add_co_u32 v28, null, 0xed9eba14, v9
	s_delay_alu instid0(VALU_DEP_3) | instskip(SKIP_3) | instid1(VALU_DEP_3)
	v_mad_u64_u32 v[0:1], null, 0xcd9e8d57, v3, 0
	v_xor3_b32 v6, v22, v8, v4
	v_dual_mov_b32 v40, v15 :: v_dual_and_b32 v29, 3, v2
	v_add_co_u32 v31, null, 0xa9066899, v9
	v_mad_u64_u32 v[3:4], null, 0xd2511f53, v6, 0
	v_xor3_b32 v1, v23, v1, v7
	v_add_co_u32 v32, null, 0x1715609d, v11
	v_add_co_u32 v34, null, 0xb54cda56, v11
	;; [unrolled: 1-line block ×3, first 2 shown]
	v_xor3_b32 v8, v24, v4, v5
	v_mad_u64_u32 v[4:5], null, 0xd2511f53, v1, 0
	s_load_b256 s[4:11], s[0:1], 0x30
	v_add_co_u32 v33, null, 0x5384540f, v11
	s_delay_alu instid0(VALU_DEP_3) | instskip(SKIP_1) | instid1(VALU_DEP_4)
	v_mad_u64_u32 v[6:7], null, 0xcd9e8d57, v8, 0
	v_add_co_u32 v37, null, 0x1fd5c5a3, v9
	v_xor3_b32 v3, v25, v5, v3
	v_add_co_u32 v35, null, 0xf1bbcdc8, v11
	v_add_co_u32 v38, null, 0xdb3d7428, v9
	v_xor3_b32 v5, v26, v7, v0
	s_delay_alu instid0(VALU_DEP_4) | instskip(SKIP_2) | instid1(VALU_DEP_2)
	v_mad_u64_u32 v[0:1], null, 0xcd9e8d57, v3, 0
	s_add_u32 s18, s0, 48
	s_load_b64 s[20:21], s[0:1], 0x148
	v_mad_u64_u32 v[7:8], null, 0xd2511f53, v5, 0
	s_clause 0x1
	s_load_b64 s[22:23], s[0:1], 0xf4
	s_load_b128 s[12:15], s[0:1], 0x138
	s_addc_u32 s19, s1, 0
	v_xor3_b32 v3, v27, v1, v6
	s_waitcnt lgkmcnt(0)
	s_add_i32 s26, s4, -1
	v_add_nc_u32_e32 v39, 0x96a522ad, v12
	s_cmp_gt_u32 s26, 1
	v_xor3_b32 v5, v28, v8, v4
	v_mad_u64_u32 v[1:2], null, 0xd2511f53, v3, 0
	s_cselect_b32 s11, -1, 0
	s_cmp_lg_u32 s4, 0
	s_delay_alu instid0(VALU_DEP_2) | instskip(SKIP_2) | instid1(VALU_DEP_2)
	v_mad_u64_u32 v[3:4], null, 0xcd9e8d57, v5, 0
	s_cselect_b32 s21, -1, 0
	s_add_u32 s24, s0, 0xf4
	v_xor3_b32 v2, v31, v2, v7
	s_addc_u32 s25, s1, 0
	s_min_u32 s0, s26, 15
	s_cmp_gt_u32 s4, 1
	s_delay_alu instid0(VALU_DEP_2) | instskip(SKIP_3) | instid1(VALU_DEP_2)
	v_xor3_b32 v0, v32, v4, v0
	v_mad_u64_u32 v[4:5], null, 0xcd9e8d57, v2, 0
	s_cselect_b32 s4, -1, 0
	s_add_i32 s0, s0, 1
	v_mad_u64_u32 v[6:7], null, 0xd2511f53, v0, 0
	s_and_b32 s31, s0, 3
	s_cmp_lg_u32 s26, 2
	s_delay_alu instid0(VALU_DEP_2) | instskip(SKIP_3) | instid1(VALU_DEP_3)
	v_xor3_b32 v2, v34, v5, v3
	s_cselect_b32 s33, -1, 0
	s_and_b32 s34, s0, 28
	v_mov_b32_e32 v41, v16
	v_xor3_b32 v5, v36, v7, v1
	v_mad_u64_u32 v[0:1], null, 0xd2511f53, v2, 0
	s_cmp_lg_u32 s31, 0
	s_mov_b32 s30, 0
	s_delay_alu instid0(VALU_DEP_2) | instskip(SKIP_1) | instid1(VALU_DEP_2)
	v_mad_u64_u32 v[2:3], null, 0xcd9e8d57, v5, 0
	s_cselect_b32 s35, -1, 0
	v_xor3_b32 v1, v37, v1, v6
	s_delay_alu instid0(VALU_DEP_2) | instskip(NEXT) | instid1(VALU_DEP_2)
	v_xor3_b32 v3, v33, v3, v4
	v_mad_u64_u32 v[4:5], null, 0xcd9e8d57, v1, 0
	s_delay_alu instid0(VALU_DEP_2) | instskip(NEXT) | instid1(VALU_DEP_2)
	v_mad_u64_u32 v[6:7], null, 0xd2511f53, v3, 0
	v_xor3_b32 v1, v35, v5, v2
	s_delay_alu instid0(VALU_DEP_2) | instskip(NEXT) | instid1(VALU_DEP_2)
	v_xor3_b32 v0, v38, v7, v0
	v_mad_u64_u32 v[7:8], null, 0xd2511f53, v1, 0
	s_delay_alu instid0(VALU_DEP_2) | instskip(NEXT) | instid1(VALU_DEP_2)
	v_mad_u64_u32 v[1:2], null, 0xcd9e8d57, v0, 0
	v_mov_b32_e32 v3, v7
	s_delay_alu instid0(VALU_DEP_2) | instskip(NEXT) | instid1(VALU_DEP_4)
	v_xor3_b32 v0, v2, v4, v30
	v_xor3_b32 v2, v8, v6, v39
	s_branch .LBB9_9
.LBB9_7:                                ;   in Loop: Header=BB9_9 Depth=1
	s_or_b32 exec_lo, exec_lo, s0
	s_delay_alu instid0(VALU_DEP_1)
	v_add_nc_u32_e32 v0, s20, v8
	global_store_b32 v7, v0, s[12:13]
.LBB9_8:                                ;   in Loop: Header=BB9_9 Depth=1
	s_or_b32 exec_lo, exec_lo, s36
	v_add_co_u32 v15, vcc_lo, v15, s29
	v_add_co_ci_u32_e32 v16, vcc_lo, 0, v16, vcc_lo
	v_mov_b32_e32 v7, v17
	v_dual_mov_b32 v0, v4 :: v_dual_mov_b32 v1, v5
	s_delay_alu instid0(VALU_DEP_3) | instskip(NEXT) | instid1(VALU_DEP_3)
	v_cmp_le_i64_e32 vcc_lo, s[2:3], v[15:16]
	v_dual_mov_b32 v2, v6 :: v_dual_mov_b32 v3, v7
	s_waitcnt_vscnt null, 0x0
	s_barrier
	buffer_gl0_inv
	s_or_b32 s30, vcc_lo, s30
	s_delay_alu instid0(SALU_CYCLE_1)
	s_and_not1_b32 exec_lo, exec_lo, s30
	s_cbranch_execz .LBB9_56
.LBB9_9:                                ; =>This Loop Header: Depth=1
                                        ;     Child Loop BB9_24 Depth 2
                                        ;     Child Loop BB9_29 Depth 2
	;; [unrolled: 1-line block ×4, first 2 shown]
	v_add_co_u32 v19, vcc_lo, v19, 1
	s_delay_alu instid0(VALU_DEP_1) | instskip(SKIP_2) | instid1(VALU_DEP_1)
	v_cndmask_b32_e64 v4, 0, 1, vcc_lo
	v_add_co_ci_u32_e32 v20, vcc_lo, 0, v20, vcc_lo
	s_mov_b32 s0, exec_lo
	v_cmp_eq_u32_e32 vcc_lo, 0, v20
	s_delay_alu instid0(VALU_DEP_3) | instskip(NEXT) | instid1(VALU_DEP_1)
	v_cndmask_b32_e32 v4, 0, v4, vcc_lo
	v_add_nc_u32_e32 v40, v4, v40
	s_delay_alu instid0(VALU_DEP_1) | instskip(SKIP_2) | instid1(VALU_DEP_2)
	v_cmp_eq_u32_e32 vcc_lo, 0, v40
	v_mad_u64_u32 v[6:7], null, 0xcd9e8d57, v40, 0
	v_cndmask_b32_e32 v4, 0, v4, vcc_lo
	v_xor3_b32 v9, v7, v11, v20
	s_delay_alu instid0(VALU_DEP_2) | instskip(SKIP_1) | instid1(VALU_DEP_3)
	v_add_nc_u32_e32 v41, v4, v41
	v_mad_u64_u32 v[4:5], null, 0xd2511f53, v19, 0
	v_mad_u64_u32 v[7:8], null, 0xd2511f53, v9, 0
	s_delay_alu instid0(VALU_DEP_2) | instskip(NEXT) | instid1(VALU_DEP_2)
	v_xor_b32_e32 v5, v5, v12
	v_xor3_b32 v8, v21, v8, v4
	s_delay_alu instid0(VALU_DEP_2) | instskip(NEXT) | instid1(VALU_DEP_1)
	v_xor_b32_e32 v5, v41, v5
	v_mad_u64_u32 v[9:10], null, 0xcd9e8d57, v5, 0
	s_delay_alu instid0(VALU_DEP_3) | instskip(NEXT) | instid1(VALU_DEP_2)
	v_mad_u64_u32 v[4:5], null, 0xcd9e8d57, v8, 0
	v_xor3_b32 v6, v22, v10, v6
	s_delay_alu instid0(VALU_DEP_2) | instskip(NEXT) | instid1(VALU_DEP_2)
	v_xor3_b32 v8, v23, v5, v9
	v_mad_u64_u32 v[17:18], null, 0xd2511f53, v6, 0
	s_delay_alu instid0(VALU_DEP_2) | instskip(NEXT) | instid1(VALU_DEP_2)
	v_mad_u64_u32 v[5:6], null, 0xd2511f53, v8, 0
	v_xor3_b32 v9, v24, v18, v7
	s_delay_alu instid0(VALU_DEP_2) | instskip(NEXT) | instid1(VALU_DEP_2)
	v_xor3_b32 v6, v25, v6, v17
	v_mad_u64_u32 v[7:8], null, 0xcd9e8d57, v9, 0
	s_delay_alu instid0(VALU_DEP_1) | instskip(NEXT) | instid1(VALU_DEP_3)
	v_xor3_b32 v4, v26, v8, v4
	v_mad_u64_u32 v[8:9], null, 0xcd9e8d57, v6, 0
	s_delay_alu instid0(VALU_DEP_2) | instskip(NEXT) | instid1(VALU_DEP_2)
	v_mad_u64_u32 v[17:18], null, 0xd2511f53, v4, 0
	v_xor3_b32 v6, v27, v9, v7
	s_delay_alu instid0(VALU_DEP_2) | instskip(NEXT) | instid1(VALU_DEP_2)
	v_xor3_b32 v9, v28, v18, v5
	v_mad_u64_u32 v[4:5], null, 0xd2511f53, v6, 0
	s_delay_alu instid0(VALU_DEP_2) | instskip(NEXT) | instid1(VALU_DEP_2)
	v_mad_u64_u32 v[6:7], null, 0xcd9e8d57, v9, 0
	v_xor3_b32 v5, v31, v5, v17
	s_delay_alu instid0(VALU_DEP_2) | instskip(NEXT) | instid1(VALU_DEP_2)
	;; [unrolled: 6-line block ×6, first 2 shown]
	v_xor3_b32 v4, v6, v7, v30
	v_mov_b32_e32 v6, v10
	v_cmpx_lt_i32_e32 1, v29
	s_xor_b32 s0, exec_lo, s0
	s_cbranch_execnz .LBB9_12
; %bb.10:                               ;   in Loop: Header=BB9_9 Depth=1
	s_and_not1_saveexec_b32 s0, s0
	s_cbranch_execnz .LBB9_17
.LBB9_11:                               ;   in Loop: Header=BB9_9 Depth=1
	s_or_b32 exec_lo, exec_lo, s0
	s_delay_alu instid0(SALU_CYCLE_1)
	s_mov_b32 s36, exec_lo
	v_cmpx_gt_i64_e64 s[16:17], v[15:16]
	s_cbranch_execnz .LBB9_20
	s_branch .LBB9_38
.LBB9_12:                               ;   in Loop: Header=BB9_9 Depth=1
	s_mov_b32 s1, exec_lo
	v_cmpx_lt_i32_e32 2, v29
	s_xor_b32 s1, exec_lo, s1
; %bb.13:                               ;   in Loop: Header=BB9_9 Depth=1
	v_dual_mov_b32 v7, v3 :: v_dual_mov_b32 v8, v4
	v_mov_b32_e32 v9, v5
	s_delay_alu instid0(VALU_DEP_2) | instskip(NEXT) | instid1(VALU_DEP_2)
	v_dual_mov_b32 v0, v7 :: v_dual_mov_b32 v1, v8
	v_dual_mov_b32 v2, v9 :: v_dual_mov_b32 v3, v10
; %bb.14:                               ;   in Loop: Header=BB9_9 Depth=1
	s_and_not1_saveexec_b32 s1, s1
; %bb.15:                               ;   in Loop: Header=BB9_9 Depth=1
	s_delay_alu instid0(VALU_DEP_1)
	v_dual_mov_b32 v0, v2 :: v_dual_mov_b32 v1, v3
	v_dual_mov_b32 v2, v4 :: v_dual_mov_b32 v3, v5
; %bb.16:                               ;   in Loop: Header=BB9_9 Depth=1
	s_or_b32 exec_lo, exec_lo, s1
	s_and_not1_saveexec_b32 s0, s0
	s_cbranch_execz .LBB9_11
.LBB9_17:                               ;   in Loop: Header=BB9_9 Depth=1
	s_mov_b32 s1, exec_lo
	v_cmpx_eq_u32_e32 1, v29
; %bb.18:                               ;   in Loop: Header=BB9_9 Depth=1
	v_dual_mov_b32 v0, v1 :: v_dual_mov_b32 v1, v2
	v_dual_mov_b32 v2, v3 :: v_dual_mov_b32 v3, v4
; %bb.19:                               ;   in Loop: Header=BB9_9 Depth=1
	s_or_b32 exec_lo, exec_lo, s1
	s_delay_alu instid0(SALU_CYCLE_1) | instskip(NEXT) | instid1(SALU_CYCLE_1)
	s_or_b32 exec_lo, exec_lo, s0
	s_mov_b32 s36, exec_lo
	v_cmpx_gt_i64_e64 s[16:17], v[15:16]
	s_cbranch_execz .LBB9_38
.LBB9_20:                               ;   in Loop: Header=BB9_9 Depth=1
	s_and_not1_b32 vcc_lo, exec_lo, s11
	s_cbranch_vccnz .LBB9_26
; %bb.21:                               ;   in Loop: Header=BB9_9 Depth=1
	v_mov_b32_e32 v7, 0
	s_and_not1_b32 vcc_lo, exec_lo, s21
	s_cbranch_vccnz .LBB9_30
; %bb.22:                               ;   in Loop: Header=BB9_9 Depth=1
	s_and_not1_b32 vcc_lo, exec_lo, s33
	s_mov_b32 s0, 0
	s_cbranch_vccnz .LBB9_27
; %bb.23:                               ;   in Loop: Header=BB9_9 Depth=1
	v_dual_mov_b32 v7, 0 :: v_dual_mov_b32 v8, v15
	s_mov_b32 s37, 0
	s_mov_b64 s[0:1], s[18:19]
	s_mov_b64 s[26:27], s[24:25]
.LBB9_24:                               ;   Parent Loop BB9_9 Depth=1
                                        ; =>  This Inner Loop Header: Depth=2
	s_clause 0x1
	s_load_b256 s[40:47], s[0:1], 0x4
	s_load_b128 s[48:51], s[0:1], 0x24
	s_load_b128 s[52:55], s[26:27], 0x0
	s_add_u32 s0, s0, 48
	s_addc_u32 s1, s1, 0
	s_add_i32 s37, s37, 4
	s_add_u32 s26, s26, 16
	s_addc_u32 s27, s27, 0
	s_cmp_lg_u32 s34, s37
	s_waitcnt lgkmcnt(0)
	v_mul_hi_u32 v9, s41, v8
	s_delay_alu instid0(VALU_DEP_1) | instskip(NEXT) | instid1(VALU_DEP_1)
	v_add_nc_u32_e32 v9, v8, v9
	v_lshrrev_b32_e32 v9, s42, v9
	s_delay_alu instid0(VALU_DEP_1) | instskip(SKIP_1) | instid1(VALU_DEP_2)
	v_mul_hi_u32 v10, s44, v9
	v_mul_lo_u32 v42, v9, s40
	v_add_nc_u32_e32 v10, v9, v10
	s_delay_alu instid0(VALU_DEP_2) | instskip(NEXT) | instid1(VALU_DEP_2)
	v_sub_nc_u32_e32 v42, v8, v42
	v_lshrrev_b32_e32 v10, s45, v10
	s_delay_alu instid0(VALU_DEP_2) | instskip(NEXT) | instid1(VALU_DEP_2)
	v_mul_lo_u32 v42, v42, s52
	v_mul_hi_u32 v14, s47, v10
	v_mul_lo_u32 v43, v10, s43
	s_delay_alu instid0(VALU_DEP_2) | instskip(NEXT) | instid1(VALU_DEP_2)
	v_add_nc_u32_e32 v14, v10, v14
	v_sub_nc_u32_e32 v9, v9, v43
	s_delay_alu instid0(VALU_DEP_2) | instskip(NEXT) | instid1(VALU_DEP_2)
	v_lshrrev_b32_e32 v14, s48, v14
	v_mul_lo_u32 v9, v9, s53
	s_delay_alu instid0(VALU_DEP_2) | instskip(NEXT) | instid1(VALU_DEP_2)
	v_mul_hi_u32 v18, s50, v14
	v_add3_u32 v7, v42, v7, v9
	s_delay_alu instid0(VALU_DEP_2) | instskip(NEXT) | instid1(VALU_DEP_1)
	v_add_nc_u32_e32 v18, v14, v18
	v_lshrrev_b32_e32 v8, s51, v18
	v_mul_lo_u32 v18, v14, s46
	s_delay_alu instid0(VALU_DEP_2) | instskip(NEXT) | instid1(VALU_DEP_2)
	v_mul_lo_u32 v44, v8, s49
	v_sub_nc_u32_e32 v10, v10, v18
	s_delay_alu instid0(VALU_DEP_2) | instskip(NEXT) | instid1(VALU_DEP_2)
	v_sub_nc_u32_e32 v14, v14, v44
	v_mul_lo_u32 v10, v10, s54
	s_delay_alu instid0(VALU_DEP_2) | instskip(NEXT) | instid1(VALU_DEP_1)
	v_mul_lo_u32 v14, v14, s55
	v_add3_u32 v7, v10, v7, v14
	s_cbranch_scc1 .LBB9_24
; %bb.25:                               ;   in Loop: Header=BB9_9 Depth=1
	s_mov_b32 s0, s34
	s_and_not1_b32 vcc_lo, exec_lo, s35
	s_cbranch_vccz .LBB9_28
	s_branch .LBB9_30
.LBB9_26:                               ;   in Loop: Header=BB9_9 Depth=1
                                        ; implicit-def: $vgpr7
	s_branch .LBB9_31
.LBB9_27:                               ;   in Loop: Header=BB9_9 Depth=1
	v_mov_b32_e32 v8, v15
	s_and_not1_b32 vcc_lo, exec_lo, s35
	s_cbranch_vccnz .LBB9_30
.LBB9_28:                               ;   in Loop: Header=BB9_9 Depth=1
	s_lshl_b32 s1, s0, 2
	s_mul_i32 s26, s0, 12
	s_add_u32 s0, s24, s1
	s_addc_u32 s1, s25, 0
	s_add_u32 s26, s18, s26
	s_addc_u32 s27, s19, 0
	s_mov_b32 s37, s31
	.p2align	6
.LBB9_29:                               ;   Parent Loop BB9_9 Depth=1
                                        ; =>  This Inner Loop Header: Depth=2
	s_clause 0x1
	s_load_b64 s[38:39], s[26:27], 0x4
	s_load_b32 s40, s[26:27], 0xc
	s_add_u32 s26, s26, 12
	s_addc_u32 s27, s27, 0
	s_waitcnt lgkmcnt(0)
	v_mul_hi_u32 v9, s39, v8
	s_load_b32 s39, s[0:1], 0x0
	s_add_u32 s0, s0, 4
	s_addc_u32 s1, s1, 0
	s_add_i32 s37, s37, -1
	s_delay_alu instid0(SALU_CYCLE_1) | instskip(NEXT) | instid1(VALU_DEP_1)
	s_cmp_lg_u32 s37, 0
	v_add_nc_u32_e32 v9, v8, v9
	s_delay_alu instid0(VALU_DEP_1) | instskip(NEXT) | instid1(VALU_DEP_1)
	v_lshrrev_b32_e32 v14, s40, v9
	v_mul_lo_u32 v9, v14, s38
	s_delay_alu instid0(VALU_DEP_1) | instskip(SKIP_1) | instid1(VALU_DEP_1)
	v_sub_nc_u32_e32 v8, v8, v9
	s_waitcnt lgkmcnt(0)
	v_mad_u64_u32 v[9:10], null, v8, s39, v[7:8]
	s_delay_alu instid0(VALU_DEP_1)
	v_dual_mov_b32 v8, v14 :: v_dual_mov_b32 v7, v9
	s_cbranch_scc1 .LBB9_29
.LBB9_30:                               ;   in Loop: Header=BB9_9 Depth=1
	s_cbranch_execnz .LBB9_33
.LBB9_31:                               ;   in Loop: Header=BB9_9 Depth=1
	v_mul_hi_u32 v7, v15, s6
	s_and_not1_b32 vcc_lo, exec_lo, s4
	s_delay_alu instid0(VALU_DEP_1) | instskip(NEXT) | instid1(VALU_DEP_1)
	v_add_nc_u32_e32 v7, v7, v15
	v_lshrrev_b32_e32 v8, s7, v7
	s_delay_alu instid0(VALU_DEP_1) | instskip(NEXT) | instid1(VALU_DEP_1)
	v_mul_lo_u32 v7, v8, s5
	v_sub_nc_u32_e32 v7, v15, v7
	s_delay_alu instid0(VALU_DEP_1)
	v_mul_lo_u32 v7, v7, s22
	s_cbranch_vccnz .LBB9_33
; %bb.32:                               ;   in Loop: Header=BB9_9 Depth=1
	v_mul_hi_u32 v9, s9, v8
	s_delay_alu instid0(VALU_DEP_1) | instskip(NEXT) | instid1(VALU_DEP_1)
	v_add_nc_u32_e32 v9, v8, v9
	v_lshrrev_b32_e32 v9, s10, v9
	s_delay_alu instid0(VALU_DEP_1) | instskip(NEXT) | instid1(VALU_DEP_1)
	v_mul_lo_u32 v9, v9, s8
	v_sub_nc_u32_e32 v10, v8, v9
	s_delay_alu instid0(VALU_DEP_1) | instskip(NEXT) | instid1(VALU_DEP_1)
	v_mad_u64_u32 v[8:9], null, v10, s23, v[7:8]
	v_mov_b32_e32 v7, v8
.LBB9_33:                               ;   in Loop: Header=BB9_9 Depth=1
	v_or_b32_e32 v14, s15, v0
                                        ; implicit-def: $vgpr8_vgpr9
	s_mov_b32 s0, exec_lo
	s_delay_alu instid0(VALU_DEP_1)
	v_cmpx_ne_u64_e32 0, v[13:14]
	s_xor_b32 s1, exec_lo, s0
	s_cbranch_execz .LBB9_35
; %bb.34:                               ;   in Loop: Header=BB9_9 Depth=1
	v_cvt_f32_u32_e32 v8, s14
	v_cvt_f32_u32_e32 v9, s15
	s_sub_u32 s0, 0, s14
	s_subb_u32 s26, 0, s15
	s_delay_alu instid0(VALU_DEP_1) | instskip(NEXT) | instid1(VALU_DEP_1)
	v_fmac_f32_e32 v8, 0x4f800000, v9
	v_rcp_f32_e32 v8, v8
	s_waitcnt_depctr 0xfff
	v_mul_f32_e32 v8, 0x5f7ffffc, v8
	s_delay_alu instid0(VALU_DEP_1) | instskip(NEXT) | instid1(VALU_DEP_1)
	v_mul_f32_e32 v9, 0x2f800000, v8
	v_trunc_f32_e32 v9, v9
	s_delay_alu instid0(VALU_DEP_1) | instskip(SKIP_1) | instid1(VALU_DEP_2)
	v_fmac_f32_e32 v8, 0xcf800000, v9
	v_cvt_u32_f32_e32 v9, v9
	v_cvt_u32_f32_e32 v8, v8
	s_delay_alu instid0(VALU_DEP_2) | instskip(NEXT) | instid1(VALU_DEP_2)
	v_mul_lo_u32 v10, s0, v9
	v_mul_hi_u32 v14, s0, v8
	v_mul_lo_u32 v18, s26, v8
	s_delay_alu instid0(VALU_DEP_2) | instskip(SKIP_1) | instid1(VALU_DEP_2)
	v_add_nc_u32_e32 v10, v14, v10
	v_mul_lo_u32 v14, s0, v8
	v_add_nc_u32_e32 v10, v10, v18
	s_delay_alu instid0(VALU_DEP_2) | instskip(NEXT) | instid1(VALU_DEP_2)
	v_mul_hi_u32 v18, v8, v14
	v_mul_lo_u32 v42, v8, v10
	v_mul_hi_u32 v43, v8, v10
	v_mul_hi_u32 v44, v9, v14
	v_mul_lo_u32 v14, v9, v14
	v_mul_hi_u32 v45, v9, v10
	v_mul_lo_u32 v10, v9, v10
	v_add_co_u32 v18, vcc_lo, v18, v42
	v_add_co_ci_u32_e32 v42, vcc_lo, 0, v43, vcc_lo
	s_delay_alu instid0(VALU_DEP_2) | instskip(NEXT) | instid1(VALU_DEP_2)
	v_add_co_u32 v14, vcc_lo, v18, v14
	v_add_co_ci_u32_e32 v14, vcc_lo, v42, v44, vcc_lo
	v_add_co_ci_u32_e32 v18, vcc_lo, 0, v45, vcc_lo
	s_delay_alu instid0(VALU_DEP_2) | instskip(NEXT) | instid1(VALU_DEP_2)
	v_add_co_u32 v10, vcc_lo, v14, v10
	v_add_co_ci_u32_e32 v14, vcc_lo, 0, v18, vcc_lo
	s_delay_alu instid0(VALU_DEP_2) | instskip(NEXT) | instid1(VALU_DEP_2)
	v_add_co_u32 v8, vcc_lo, v8, v10
	v_add_co_ci_u32_e32 v9, vcc_lo, v9, v14, vcc_lo
	s_delay_alu instid0(VALU_DEP_2) | instskip(SKIP_1) | instid1(VALU_DEP_3)
	v_mul_hi_u32 v10, s0, v8
	v_mul_lo_u32 v18, s26, v8
	v_mul_lo_u32 v14, s0, v9
	s_delay_alu instid0(VALU_DEP_1) | instskip(SKIP_1) | instid1(VALU_DEP_2)
	v_add_nc_u32_e32 v10, v10, v14
	v_mul_lo_u32 v14, s0, v8
	v_add_nc_u32_e32 v10, v10, v18
	s_delay_alu instid0(VALU_DEP_2) | instskip(NEXT) | instid1(VALU_DEP_2)
	v_mul_hi_u32 v18, v8, v14
	v_mul_lo_u32 v42, v8, v10
	v_mul_hi_u32 v43, v8, v10
	v_mul_hi_u32 v44, v9, v14
	v_mul_lo_u32 v14, v9, v14
	v_mul_hi_u32 v45, v9, v10
	v_mul_lo_u32 v10, v9, v10
	v_add_co_u32 v18, vcc_lo, v18, v42
	v_add_co_ci_u32_e32 v42, vcc_lo, 0, v43, vcc_lo
	s_delay_alu instid0(VALU_DEP_2) | instskip(NEXT) | instid1(VALU_DEP_2)
	v_add_co_u32 v14, vcc_lo, v18, v14
	v_add_co_ci_u32_e32 v14, vcc_lo, v42, v44, vcc_lo
	v_add_co_ci_u32_e32 v18, vcc_lo, 0, v45, vcc_lo
	s_delay_alu instid0(VALU_DEP_2) | instskip(NEXT) | instid1(VALU_DEP_2)
	v_add_co_u32 v10, vcc_lo, v14, v10
	v_add_co_ci_u32_e32 v14, vcc_lo, 0, v18, vcc_lo
	s_delay_alu instid0(VALU_DEP_2) | instskip(NEXT) | instid1(VALU_DEP_2)
	v_add_co_u32 v10, vcc_lo, v8, v10
	v_add_co_ci_u32_e32 v14, vcc_lo, v9, v14, vcc_lo
	s_delay_alu instid0(VALU_DEP_2) | instskip(SKIP_1) | instid1(VALU_DEP_3)
	v_mul_hi_u32 v18, v1, v10
	v_mad_u64_u32 v[42:43], null, v0, v10, 0
	v_mad_u64_u32 v[8:9], null, v1, v14, 0
	;; [unrolled: 1-line block ×3, first 2 shown]
	s_delay_alu instid0(VALU_DEP_2) | instskip(NEXT) | instid1(VALU_DEP_3)
	v_add_co_u32 v8, vcc_lo, v18, v8
	v_add_co_ci_u32_e32 v9, vcc_lo, 0, v9, vcc_lo
	s_delay_alu instid0(VALU_DEP_2) | instskip(NEXT) | instid1(VALU_DEP_2)
	v_add_co_u32 v8, vcc_lo, v8, v42
	v_add_co_ci_u32_e32 v8, vcc_lo, v9, v43, vcc_lo
	v_add_co_ci_u32_e32 v9, vcc_lo, 0, v45, vcc_lo
	s_delay_alu instid0(VALU_DEP_2) | instskip(NEXT) | instid1(VALU_DEP_2)
	v_add_co_u32 v10, vcc_lo, v8, v44
	v_add_co_ci_u32_e32 v14, vcc_lo, 0, v9, vcc_lo
	s_delay_alu instid0(VALU_DEP_2) | instskip(SKIP_1) | instid1(VALU_DEP_3)
	v_mul_lo_u32 v18, s15, v10
	v_mad_u64_u32 v[8:9], null, s14, v10, 0
	v_mul_lo_u32 v10, s14, v14
	s_delay_alu instid0(VALU_DEP_2) | instskip(NEXT) | instid1(VALU_DEP_2)
	v_sub_co_u32 v8, vcc_lo, v1, v8
	v_add3_u32 v9, v9, v10, v18
	s_delay_alu instid0(VALU_DEP_1) | instskip(NEXT) | instid1(VALU_DEP_1)
	v_sub_nc_u32_e32 v10, v0, v9
	v_subrev_co_ci_u32_e64 v10, s0, s15, v10, vcc_lo
	s_delay_alu instid0(VALU_DEP_4) | instskip(SKIP_1) | instid1(VALU_DEP_3)
	v_sub_co_u32 v14, s0, v8, s14
	v_sub_co_ci_u32_e32 v0, vcc_lo, v0, v9, vcc_lo
	v_subrev_co_ci_u32_e64 v10, s0, 0, v10, s0
	s_delay_alu instid0(VALU_DEP_3) | instskip(SKIP_1) | instid1(VALU_DEP_3)
	v_cmp_le_u32_e32 vcc_lo, s14, v14
	v_cndmask_b32_e64 v9, 0, -1, vcc_lo
	v_cmp_le_u32_e32 vcc_lo, s15, v10
	v_cndmask_b32_e64 v18, 0, -1, vcc_lo
	;; [unrolled: 2-line block ×4, first 2 shown]
	v_cmp_eq_u32_e32 vcc_lo, s15, v10
	v_cndmask_b32_e32 v9, v18, v9, vcc_lo
	v_sub_co_u32 v10, vcc_lo, v14, s14
	v_cmp_eq_u32_e32 vcc_lo, s15, v0
	v_cndmask_b32_e32 v0, v43, v42, vcc_lo
	s_delay_alu instid0(VALU_DEP_4) | instskip(NEXT) | instid1(VALU_DEP_4)
	v_cmp_ne_u32_e32 vcc_lo, 0, v9
	v_cndmask_b32_e32 v9, v14, v10, vcc_lo
	s_delay_alu instid0(VALU_DEP_3) | instskip(NEXT) | instid1(VALU_DEP_2)
	v_cmp_ne_u32_e32 vcc_lo, 0, v0
	v_cndmask_b32_e32 v8, v8, v9, vcc_lo
.LBB9_35:                               ;   in Loop: Header=BB9_9 Depth=1
	s_and_not1_saveexec_b32 s0, s1
	s_cbranch_execz .LBB9_37
; %bb.36:                               ;   in Loop: Header=BB9_9 Depth=1
	v_cvt_f32_u32_e32 v0, s14
	s_sub_i32 s1, 0, s14
	s_delay_alu instid0(VALU_DEP_1) | instskip(SKIP_2) | instid1(VALU_DEP_1)
	v_rcp_iflag_f32_e32 v0, v0
	s_waitcnt_depctr 0xfff
	v_mul_f32_e32 v0, 0x4f7ffffe, v0
	v_cvt_u32_f32_e32 v0, v0
	s_delay_alu instid0(VALU_DEP_1) | instskip(NEXT) | instid1(VALU_DEP_1)
	v_mul_lo_u32 v8, s1, v0
	v_mul_hi_u32 v8, v0, v8
	s_delay_alu instid0(VALU_DEP_1) | instskip(NEXT) | instid1(VALU_DEP_1)
	v_add_nc_u32_e32 v0, v0, v8
	v_mul_hi_u32 v0, v1, v0
	s_delay_alu instid0(VALU_DEP_1) | instskip(NEXT) | instid1(VALU_DEP_1)
	v_mul_lo_u32 v0, v0, s14
	v_sub_nc_u32_e32 v0, v1, v0
	s_delay_alu instid0(VALU_DEP_1) | instskip(SKIP_1) | instid1(VALU_DEP_2)
	v_subrev_nc_u32_e32 v1, s14, v0
	v_cmp_le_u32_e32 vcc_lo, s14, v0
	v_cndmask_b32_e32 v0, v0, v1, vcc_lo
	s_delay_alu instid0(VALU_DEP_1) | instskip(SKIP_1) | instid1(VALU_DEP_2)
	v_subrev_nc_u32_e32 v1, s14, v0
	v_cmp_le_u32_e32 vcc_lo, s14, v0
	v_cndmask_b32_e32 v8, v0, v1, vcc_lo
.LBB9_37:                               ;   in Loop: Header=BB9_9 Depth=1
	s_or_b32 exec_lo, exec_lo, s0
	s_delay_alu instid0(VALU_DEP_1)
	v_add_nc_u32_e32 v0, s20, v8
	global_store_b32 v7, v0, s[12:13]
.LBB9_38:                               ;   in Loop: Header=BB9_9 Depth=1
	s_or_b32 exec_lo, exec_lo, s36
	v_add_co_u32 v0, vcc_lo, v15, s28
	v_add_co_ci_u32_e32 v1, vcc_lo, 0, v16, vcc_lo
	s_mov_b32 s36, exec_lo
	s_delay_alu instid0(VALU_DEP_1)
	v_cmpx_gt_i64_e64 s[16:17], v[0:1]
	s_cbranch_execz .LBB9_8
; %bb.39:                               ;   in Loop: Header=BB9_9 Depth=1
	s_and_not1_b32 vcc_lo, exec_lo, s11
	s_cbranch_vccnz .LBB9_45
; %bb.40:                               ;   in Loop: Header=BB9_9 Depth=1
	v_mov_b32_e32 v7, 0
	s_and_not1_b32 vcc_lo, exec_lo, s21
	s_cbranch_vccnz .LBB9_49
; %bb.41:                               ;   in Loop: Header=BB9_9 Depth=1
	s_and_not1_b32 vcc_lo, exec_lo, s33
	s_mov_b32 s0, 0
	s_cbranch_vccnz .LBB9_46
; %bb.42:                               ;   in Loop: Header=BB9_9 Depth=1
	v_mov_b32_e32 v7, 0
	v_mov_b32_e32 v1, v0
	s_mov_b32 s37, 0
	s_mov_b64 s[0:1], s[18:19]
	s_mov_b64 s[26:27], s[24:25]
.LBB9_43:                               ;   Parent Loop BB9_9 Depth=1
                                        ; =>  This Inner Loop Header: Depth=2
	s_clause 0x1
	s_load_b256 s[40:47], s[0:1], 0x4
	s_load_b128 s[48:51], s[0:1], 0x24
	s_load_b128 s[52:55], s[26:27], 0x0
	s_add_u32 s0, s0, 48
	s_addc_u32 s1, s1, 0
	s_add_i32 s37, s37, 4
	s_add_u32 s26, s26, 16
	s_addc_u32 s27, s27, 0
	s_cmp_eq_u32 s34, s37
	s_waitcnt lgkmcnt(0)
	v_mul_hi_u32 v8, s41, v1
	s_delay_alu instid0(VALU_DEP_1) | instskip(NEXT) | instid1(VALU_DEP_1)
	v_add_nc_u32_e32 v8, v1, v8
	v_lshrrev_b32_e32 v8, s42, v8
	s_delay_alu instid0(VALU_DEP_1) | instskip(SKIP_1) | instid1(VALU_DEP_2)
	v_mul_hi_u32 v9, s44, v8
	v_mul_lo_u32 v18, v8, s40
	v_add_nc_u32_e32 v9, v8, v9
	s_delay_alu instid0(VALU_DEP_2) | instskip(NEXT) | instid1(VALU_DEP_2)
	v_sub_nc_u32_e32 v18, v1, v18
	v_lshrrev_b32_e32 v9, s45, v9
	s_delay_alu instid0(VALU_DEP_2) | instskip(NEXT) | instid1(VALU_DEP_2)
	v_mul_lo_u32 v18, v18, s52
	v_mul_hi_u32 v10, s47, v9
	v_mul_lo_u32 v42, v9, s43
	s_delay_alu instid0(VALU_DEP_2) | instskip(NEXT) | instid1(VALU_DEP_2)
	v_add_nc_u32_e32 v10, v9, v10
	v_sub_nc_u32_e32 v8, v8, v42
	s_delay_alu instid0(VALU_DEP_2) | instskip(NEXT) | instid1(VALU_DEP_2)
	v_lshrrev_b32_e32 v10, s48, v10
	v_mul_lo_u32 v8, v8, s53
	s_delay_alu instid0(VALU_DEP_2) | instskip(NEXT) | instid1(VALU_DEP_2)
	v_mul_hi_u32 v14, s50, v10
	v_add3_u32 v7, v18, v7, v8
	s_delay_alu instid0(VALU_DEP_2) | instskip(NEXT) | instid1(VALU_DEP_1)
	v_add_nc_u32_e32 v14, v10, v14
	v_lshrrev_b32_e32 v1, s51, v14
	v_mul_lo_u32 v14, v10, s46
	s_delay_alu instid0(VALU_DEP_2) | instskip(NEXT) | instid1(VALU_DEP_2)
	v_mul_lo_u32 v43, v1, s49
	v_sub_nc_u32_e32 v9, v9, v14
	s_delay_alu instid0(VALU_DEP_2) | instskip(NEXT) | instid1(VALU_DEP_2)
	v_sub_nc_u32_e32 v10, v10, v43
	v_mul_lo_u32 v9, v9, s54
	s_delay_alu instid0(VALU_DEP_2) | instskip(NEXT) | instid1(VALU_DEP_1)
	v_mul_lo_u32 v10, v10, s55
	v_add3_u32 v7, v9, v7, v10
	s_cbranch_scc0 .LBB9_43
; %bb.44:                               ;   in Loop: Header=BB9_9 Depth=1
	s_mov_b32 s0, s34
	s_and_not1_b32 vcc_lo, exec_lo, s35
	s_cbranch_vccz .LBB9_47
	s_branch .LBB9_49
.LBB9_45:                               ;   in Loop: Header=BB9_9 Depth=1
                                        ; implicit-def: $vgpr7
	s_branch .LBB9_50
.LBB9_46:                               ;   in Loop: Header=BB9_9 Depth=1
	v_mov_b32_e32 v1, v0
	s_and_not1_b32 vcc_lo, exec_lo, s35
	s_cbranch_vccnz .LBB9_49
.LBB9_47:                               ;   in Loop: Header=BB9_9 Depth=1
	s_lshl_b32 s1, s0, 2
	s_mul_i32 s26, s0, 12
	s_add_u32 s0, s24, s1
	s_addc_u32 s1, s25, 0
	s_add_u32 s26, s18, s26
	s_addc_u32 s27, s19, 0
	s_mov_b32 s37, s31
	.p2align	6
.LBB9_48:                               ;   Parent Loop BB9_9 Depth=1
                                        ; =>  This Inner Loop Header: Depth=2
	s_clause 0x1
	s_load_b64 s[38:39], s[26:27], 0x4
	s_load_b32 s40, s[26:27], 0xc
	s_add_u32 s26, s26, 12
	s_addc_u32 s27, s27, 0
	s_waitcnt lgkmcnt(0)
	v_mul_hi_u32 v8, s39, v1
	s_load_b32 s39, s[0:1], 0x0
	s_add_u32 s0, s0, 4
	s_addc_u32 s1, s1, 0
	s_add_i32 s37, s37, -1
	s_delay_alu instid0(SALU_CYCLE_1) | instskip(NEXT) | instid1(VALU_DEP_1)
	s_cmp_lg_u32 s37, 0
	v_add_nc_u32_e32 v8, v1, v8
	s_delay_alu instid0(VALU_DEP_1) | instskip(NEXT) | instid1(VALU_DEP_1)
	v_lshrrev_b32_e32 v10, s40, v8
	v_mul_lo_u32 v8, v10, s38
	s_delay_alu instid0(VALU_DEP_1) | instskip(SKIP_1) | instid1(VALU_DEP_1)
	v_sub_nc_u32_e32 v1, v1, v8
	s_waitcnt lgkmcnt(0)
	v_mad_u64_u32 v[8:9], null, v1, s39, v[7:8]
	v_mov_b32_e32 v1, v10
	s_delay_alu instid0(VALU_DEP_2)
	v_mov_b32_e32 v7, v8
	s_cbranch_scc1 .LBB9_48
.LBB9_49:                               ;   in Loop: Header=BB9_9 Depth=1
	s_cbranch_execnz .LBB9_52
.LBB9_50:                               ;   in Loop: Header=BB9_9 Depth=1
	v_mul_hi_u32 v1, v0, s6
	s_and_not1_b32 vcc_lo, exec_lo, s4
	s_delay_alu instid0(VALU_DEP_1) | instskip(NEXT) | instid1(VALU_DEP_1)
	v_add_nc_u32_e32 v1, v1, v0
	v_lshrrev_b32_e32 v1, s7, v1
	s_delay_alu instid0(VALU_DEP_1) | instskip(NEXT) | instid1(VALU_DEP_1)
	v_mul_lo_u32 v7, v1, s5
	v_sub_nc_u32_e32 v0, v0, v7
	s_delay_alu instid0(VALU_DEP_1)
	v_mul_lo_u32 v7, v0, s22
	s_cbranch_vccnz .LBB9_52
; %bb.51:                               ;   in Loop: Header=BB9_9 Depth=1
	v_mul_hi_u32 v0, s9, v1
	s_delay_alu instid0(VALU_DEP_1) | instskip(NEXT) | instid1(VALU_DEP_1)
	v_add_nc_u32_e32 v0, v1, v0
	v_lshrrev_b32_e32 v0, s10, v0
	s_delay_alu instid0(VALU_DEP_1) | instskip(NEXT) | instid1(VALU_DEP_1)
	v_mul_lo_u32 v0, v0, s8
	v_sub_nc_u32_e32 v8, v1, v0
	s_delay_alu instid0(VALU_DEP_1) | instskip(NEXT) | instid1(VALU_DEP_1)
	v_mad_u64_u32 v[0:1], null, v8, s23, v[7:8]
	v_mov_b32_e32 v7, v0
.LBB9_52:                               ;   in Loop: Header=BB9_9 Depth=1
	v_or_b32_e32 v14, s15, v2
                                        ; implicit-def: $vgpr8_vgpr9
	s_mov_b32 s0, exec_lo
	s_delay_alu instid0(VALU_DEP_1)
	v_cmpx_ne_u64_e32 0, v[13:14]
	s_xor_b32 s1, exec_lo, s0
	s_cbranch_execz .LBB9_54
; %bb.53:                               ;   in Loop: Header=BB9_9 Depth=1
	v_cvt_f32_u32_e32 v0, s14
	v_cvt_f32_u32_e32 v1, s15
	s_sub_u32 s0, 0, s14
	s_subb_u32 s26, 0, s15
	s_delay_alu instid0(VALU_DEP_1) | instskip(NEXT) | instid1(VALU_DEP_1)
	v_fmac_f32_e32 v0, 0x4f800000, v1
	v_rcp_f32_e32 v0, v0
	s_waitcnt_depctr 0xfff
	v_mul_f32_e32 v0, 0x5f7ffffc, v0
	s_delay_alu instid0(VALU_DEP_1) | instskip(NEXT) | instid1(VALU_DEP_1)
	v_mul_f32_e32 v1, 0x2f800000, v0
	v_trunc_f32_e32 v1, v1
	s_delay_alu instid0(VALU_DEP_1) | instskip(SKIP_1) | instid1(VALU_DEP_2)
	v_fmac_f32_e32 v0, 0xcf800000, v1
	v_cvt_u32_f32_e32 v1, v1
	v_cvt_u32_f32_e32 v0, v0
	s_delay_alu instid0(VALU_DEP_2) | instskip(NEXT) | instid1(VALU_DEP_2)
	v_mul_lo_u32 v8, s0, v1
	v_mul_hi_u32 v9, s0, v0
	v_mul_lo_u32 v10, s26, v0
	s_delay_alu instid0(VALU_DEP_2) | instskip(SKIP_1) | instid1(VALU_DEP_2)
	v_add_nc_u32_e32 v8, v9, v8
	v_mul_lo_u32 v9, s0, v0
	v_add_nc_u32_e32 v8, v8, v10
	s_delay_alu instid0(VALU_DEP_2) | instskip(NEXT) | instid1(VALU_DEP_2)
	v_mul_hi_u32 v10, v0, v9
	v_mul_lo_u32 v14, v0, v8
	v_mul_hi_u32 v18, v0, v8
	v_mul_hi_u32 v42, v1, v9
	v_mul_lo_u32 v9, v1, v9
	v_mul_hi_u32 v43, v1, v8
	v_mul_lo_u32 v8, v1, v8
	v_add_co_u32 v10, vcc_lo, v10, v14
	v_add_co_ci_u32_e32 v14, vcc_lo, 0, v18, vcc_lo
	s_delay_alu instid0(VALU_DEP_2) | instskip(NEXT) | instid1(VALU_DEP_2)
	v_add_co_u32 v9, vcc_lo, v10, v9
	v_add_co_ci_u32_e32 v9, vcc_lo, v14, v42, vcc_lo
	v_add_co_ci_u32_e32 v10, vcc_lo, 0, v43, vcc_lo
	s_delay_alu instid0(VALU_DEP_2) | instskip(NEXT) | instid1(VALU_DEP_2)
	v_add_co_u32 v8, vcc_lo, v9, v8
	v_add_co_ci_u32_e32 v9, vcc_lo, 0, v10, vcc_lo
	s_delay_alu instid0(VALU_DEP_2) | instskip(NEXT) | instid1(VALU_DEP_2)
	v_add_co_u32 v0, vcc_lo, v0, v8
	v_add_co_ci_u32_e32 v1, vcc_lo, v1, v9, vcc_lo
	s_delay_alu instid0(VALU_DEP_2) | instskip(SKIP_1) | instid1(VALU_DEP_3)
	v_mul_hi_u32 v8, s0, v0
	v_mul_lo_u32 v10, s26, v0
	v_mul_lo_u32 v9, s0, v1
	s_delay_alu instid0(VALU_DEP_1) | instskip(SKIP_1) | instid1(VALU_DEP_2)
	v_add_nc_u32_e32 v8, v8, v9
	v_mul_lo_u32 v9, s0, v0
	v_add_nc_u32_e32 v8, v8, v10
	s_delay_alu instid0(VALU_DEP_2) | instskip(NEXT) | instid1(VALU_DEP_2)
	v_mul_hi_u32 v10, v0, v9
	v_mul_lo_u32 v14, v0, v8
	v_mul_hi_u32 v18, v0, v8
	v_mul_hi_u32 v42, v1, v9
	v_mul_lo_u32 v9, v1, v9
	v_mul_hi_u32 v43, v1, v8
	v_mul_lo_u32 v8, v1, v8
	v_add_co_u32 v10, vcc_lo, v10, v14
	v_add_co_ci_u32_e32 v14, vcc_lo, 0, v18, vcc_lo
	s_delay_alu instid0(VALU_DEP_2) | instskip(NEXT) | instid1(VALU_DEP_2)
	v_add_co_u32 v9, vcc_lo, v10, v9
	v_add_co_ci_u32_e32 v9, vcc_lo, v14, v42, vcc_lo
	v_add_co_ci_u32_e32 v10, vcc_lo, 0, v43, vcc_lo
	s_delay_alu instid0(VALU_DEP_2) | instskip(NEXT) | instid1(VALU_DEP_2)
	v_add_co_u32 v8, vcc_lo, v9, v8
	v_add_co_ci_u32_e32 v9, vcc_lo, 0, v10, vcc_lo
	s_delay_alu instid0(VALU_DEP_2) | instskip(NEXT) | instid1(VALU_DEP_2)
	v_add_co_u32 v10, vcc_lo, v0, v8
	v_add_co_ci_u32_e32 v14, vcc_lo, v1, v9, vcc_lo
	s_delay_alu instid0(VALU_DEP_2) | instskip(SKIP_1) | instid1(VALU_DEP_3)
	v_mul_hi_u32 v18, v3, v10
	v_mad_u64_u32 v[8:9], null, v2, v10, 0
	v_mad_u64_u32 v[0:1], null, v3, v14, 0
	;; [unrolled: 1-line block ×3, first 2 shown]
	s_delay_alu instid0(VALU_DEP_2) | instskip(NEXT) | instid1(VALU_DEP_3)
	v_add_co_u32 v0, vcc_lo, v18, v0
	v_add_co_ci_u32_e32 v1, vcc_lo, 0, v1, vcc_lo
	s_delay_alu instid0(VALU_DEP_2) | instskip(NEXT) | instid1(VALU_DEP_2)
	v_add_co_u32 v0, vcc_lo, v0, v8
	v_add_co_ci_u32_e32 v0, vcc_lo, v1, v9, vcc_lo
	v_add_co_ci_u32_e32 v1, vcc_lo, 0, v43, vcc_lo
	s_delay_alu instid0(VALU_DEP_2) | instskip(NEXT) | instid1(VALU_DEP_2)
	v_add_co_u32 v8, vcc_lo, v0, v42
	v_add_co_ci_u32_e32 v9, vcc_lo, 0, v1, vcc_lo
	s_delay_alu instid0(VALU_DEP_2) | instskip(SKIP_1) | instid1(VALU_DEP_3)
	v_mul_lo_u32 v10, s15, v8
	v_mad_u64_u32 v[0:1], null, s14, v8, 0
	v_mul_lo_u32 v8, s14, v9
	s_delay_alu instid0(VALU_DEP_2) | instskip(NEXT) | instid1(VALU_DEP_2)
	v_sub_co_u32 v0, vcc_lo, v3, v0
	v_add3_u32 v1, v1, v8, v10
	s_delay_alu instid0(VALU_DEP_1) | instskip(NEXT) | instid1(VALU_DEP_1)
	v_sub_nc_u32_e32 v8, v2, v1
	v_subrev_co_ci_u32_e64 v3, s0, s15, v8, vcc_lo
	s_delay_alu instid0(VALU_DEP_4) | instskip(SKIP_1) | instid1(VALU_DEP_3)
	v_sub_co_u32 v8, s0, v0, s14
	v_sub_co_ci_u32_e32 v1, vcc_lo, v2, v1, vcc_lo
	v_subrev_co_ci_u32_e64 v3, s0, 0, v3, s0
	s_delay_alu instid0(VALU_DEP_3) | instskip(SKIP_1) | instid1(VALU_DEP_3)
	v_cmp_le_u32_e32 vcc_lo, s14, v8
	v_cndmask_b32_e64 v2, 0, -1, vcc_lo
	v_cmp_le_u32_e32 vcc_lo, s15, v3
	v_cndmask_b32_e64 v9, 0, -1, vcc_lo
	;; [unrolled: 2-line block ×4, first 2 shown]
	v_cmp_eq_u32_e32 vcc_lo, s15, v3
	v_cndmask_b32_e32 v2, v9, v2, vcc_lo
	v_sub_co_u32 v3, vcc_lo, v8, s14
	v_cmp_eq_u32_e32 vcc_lo, s15, v1
	v_cndmask_b32_e32 v1, v14, v10, vcc_lo
	s_delay_alu instid0(VALU_DEP_4) | instskip(NEXT) | instid1(VALU_DEP_4)
	v_cmp_ne_u32_e32 vcc_lo, 0, v2
	v_cndmask_b32_e32 v2, v8, v3, vcc_lo
	s_delay_alu instid0(VALU_DEP_3) | instskip(NEXT) | instid1(VALU_DEP_2)
	v_cmp_ne_u32_e32 vcc_lo, 0, v1
	v_cndmask_b32_e32 v8, v0, v2, vcc_lo
                                        ; implicit-def: $vgpr0_vgpr1_vgpr2_vgpr3
.LBB9_54:                               ;   in Loop: Header=BB9_9 Depth=1
	s_and_not1_saveexec_b32 s0, s1
	s_cbranch_execz .LBB9_7
; %bb.55:                               ;   in Loop: Header=BB9_9 Depth=1
	v_cvt_f32_u32_e32 v0, s14
	s_sub_i32 s1, 0, s14
	s_delay_alu instid0(VALU_DEP_1) | instskip(SKIP_2) | instid1(VALU_DEP_1)
	v_rcp_iflag_f32_e32 v0, v0
	s_waitcnt_depctr 0xfff
	v_mul_f32_e32 v0, 0x4f7ffffe, v0
	v_cvt_u32_f32_e32 v0, v0
	s_delay_alu instid0(VALU_DEP_1) | instskip(NEXT) | instid1(VALU_DEP_1)
	v_mul_lo_u32 v1, s1, v0
	v_mul_hi_u32 v1, v0, v1
	s_delay_alu instid0(VALU_DEP_1) | instskip(NEXT) | instid1(VALU_DEP_1)
	v_add_nc_u32_e32 v0, v0, v1
	v_mul_hi_u32 v0, v3, v0
	s_delay_alu instid0(VALU_DEP_1) | instskip(NEXT) | instid1(VALU_DEP_1)
	v_mul_lo_u32 v0, v0, s14
	v_sub_nc_u32_e32 v0, v3, v0
	s_delay_alu instid0(VALU_DEP_1) | instskip(SKIP_1) | instid1(VALU_DEP_2)
	v_subrev_nc_u32_e32 v1, s14, v0
	v_cmp_le_u32_e32 vcc_lo, s14, v0
	v_cndmask_b32_e32 v0, v0, v1, vcc_lo
	s_delay_alu instid0(VALU_DEP_1) | instskip(SKIP_1) | instid1(VALU_DEP_2)
	v_subrev_nc_u32_e32 v1, s14, v0
	v_cmp_le_u32_e32 vcc_lo, s14, v0
	v_cndmask_b32_e32 v8, v0, v1, vcc_lo
	s_branch .LBB9_7
.LBB9_56:
	s_endpgm
.LBB9_57:
                                        ; implicit-def: $sgpr2_sgpr3
	s_branch .LBB9_4
	.section	.rodata,"a",@progbits
	.p2align	6, 0x0
	.amdhsa_kernel _ZN2at6native12_GLOBAL__N_143distribution_elementwise_grid_stride_kernelImLi2EZZZNS0_9templates4cuda21random_from_to_kernelIPNS_17CUDAGeneratorImplEEEvRNS_18TensorIteratorBaseEmlT_ENKUlvE_clEvENKUlvE1_clEvEUlP25hiprandStatePhilox4_32_10E_ZNS1_27distribution_nullary_kernelIim15HIP_vector_typeIyLj2EES7_SF_ZZZNS5_IS7_EEvS9_mlSA_ENKSB_clEvENKSC_clEvEUlmE_EEvS9_T2_RKT3_T4_EUlimE0_EEvlNS_15PhiloxCudaStateET1_SK_
		.amdhsa_group_segment_fixed_size 0
		.amdhsa_private_segment_fixed_size 0
		.amdhsa_kernarg_size 592
		.amdhsa_user_sgpr_count 15
		.amdhsa_user_sgpr_dispatch_ptr 0
		.amdhsa_user_sgpr_queue_ptr 0
		.amdhsa_user_sgpr_kernarg_segment_ptr 1
		.amdhsa_user_sgpr_dispatch_id 0
		.amdhsa_user_sgpr_private_segment_size 0
		.amdhsa_wavefront_size32 1
		.amdhsa_uses_dynamic_stack 0
		.amdhsa_enable_private_segment 0
		.amdhsa_system_sgpr_workgroup_id_x 1
		.amdhsa_system_sgpr_workgroup_id_y 0
		.amdhsa_system_sgpr_workgroup_id_z 0
		.amdhsa_system_sgpr_workgroup_info 0
		.amdhsa_system_vgpr_workitem_id 0
		.amdhsa_next_free_vgpr 46
		.amdhsa_next_free_sgpr 56
		.amdhsa_reserve_vcc 1
		.amdhsa_float_round_mode_32 0
		.amdhsa_float_round_mode_16_64 0
		.amdhsa_float_denorm_mode_32 3
		.amdhsa_float_denorm_mode_16_64 3
		.amdhsa_dx10_clamp 1
		.amdhsa_ieee_mode 1
		.amdhsa_fp16_overflow 0
		.amdhsa_workgroup_processor_mode 1
		.amdhsa_memory_ordered 1
		.amdhsa_forward_progress 0
		.amdhsa_shared_vgpr_count 0
		.amdhsa_exception_fp_ieee_invalid_op 0
		.amdhsa_exception_fp_denorm_src 0
		.amdhsa_exception_fp_ieee_div_zero 0
		.amdhsa_exception_fp_ieee_overflow 0
		.amdhsa_exception_fp_ieee_underflow 0
		.amdhsa_exception_fp_ieee_inexact 0
		.amdhsa_exception_int_div_zero 0
	.end_amdhsa_kernel
	.section	.text._ZN2at6native12_GLOBAL__N_143distribution_elementwise_grid_stride_kernelImLi2EZZZNS0_9templates4cuda21random_from_to_kernelIPNS_17CUDAGeneratorImplEEEvRNS_18TensorIteratorBaseEmlT_ENKUlvE_clEvENKUlvE1_clEvEUlP25hiprandStatePhilox4_32_10E_ZNS1_27distribution_nullary_kernelIim15HIP_vector_typeIyLj2EES7_SF_ZZZNS5_IS7_EEvS9_mlSA_ENKSB_clEvENKSC_clEvEUlmE_EEvS9_T2_RKT3_T4_EUlimE0_EEvlNS_15PhiloxCudaStateET1_SK_,"axG",@progbits,_ZN2at6native12_GLOBAL__N_143distribution_elementwise_grid_stride_kernelImLi2EZZZNS0_9templates4cuda21random_from_to_kernelIPNS_17CUDAGeneratorImplEEEvRNS_18TensorIteratorBaseEmlT_ENKUlvE_clEvENKUlvE1_clEvEUlP25hiprandStatePhilox4_32_10E_ZNS1_27distribution_nullary_kernelIim15HIP_vector_typeIyLj2EES7_SF_ZZZNS5_IS7_EEvS9_mlSA_ENKSB_clEvENKSC_clEvEUlmE_EEvS9_T2_RKT3_T4_EUlimE0_EEvlNS_15PhiloxCudaStateET1_SK_,comdat
.Lfunc_end9:
	.size	_ZN2at6native12_GLOBAL__N_143distribution_elementwise_grid_stride_kernelImLi2EZZZNS0_9templates4cuda21random_from_to_kernelIPNS_17CUDAGeneratorImplEEEvRNS_18TensorIteratorBaseEmlT_ENKUlvE_clEvENKUlvE1_clEvEUlP25hiprandStatePhilox4_32_10E_ZNS1_27distribution_nullary_kernelIim15HIP_vector_typeIyLj2EES7_SF_ZZZNS5_IS7_EEvS9_mlSA_ENKSB_clEvENKSC_clEvEUlmE_EEvS9_T2_RKT3_T4_EUlimE0_EEvlNS_15PhiloxCudaStateET1_SK_, .Lfunc_end9-_ZN2at6native12_GLOBAL__N_143distribution_elementwise_grid_stride_kernelImLi2EZZZNS0_9templates4cuda21random_from_to_kernelIPNS_17CUDAGeneratorImplEEEvRNS_18TensorIteratorBaseEmlT_ENKUlvE_clEvENKUlvE1_clEvEUlP25hiprandStatePhilox4_32_10E_ZNS1_27distribution_nullary_kernelIim15HIP_vector_typeIyLj2EES7_SF_ZZZNS5_IS7_EEvS9_mlSA_ENKSB_clEvENKSC_clEvEUlmE_EEvS9_T2_RKT3_T4_EUlimE0_EEvlNS_15PhiloxCudaStateET1_SK_
                                        ; -- End function
	.section	.AMDGPU.csdata,"",@progbits
; Kernel info:
; codeLenInByte = 5544
; NumSgprs: 58
; NumVgprs: 46
; ScratchSize: 0
; MemoryBound: 0
; FloatMode: 240
; IeeeMode: 1
; LDSByteSize: 0 bytes/workgroup (compile time only)
; SGPRBlocks: 7
; VGPRBlocks: 5
; NumSGPRsForWavesPerEU: 58
; NumVGPRsForWavesPerEU: 46
; Occupancy: 16
; WaveLimiterHint : 1
; COMPUTE_PGM_RSRC2:SCRATCH_EN: 0
; COMPUTE_PGM_RSRC2:USER_SGPR: 15
; COMPUTE_PGM_RSRC2:TRAP_HANDLER: 0
; COMPUTE_PGM_RSRC2:TGID_X_EN: 1
; COMPUTE_PGM_RSRC2:TGID_Y_EN: 0
; COMPUTE_PGM_RSRC2:TGID_Z_EN: 0
; COMPUTE_PGM_RSRC2:TIDIG_COMP_CNT: 0
	.section	.text._ZN2at6native12_GLOBAL__N_143distribution_elementwise_grid_stride_kernelIjLi4EZZZNS0_9templates4cuda21random_from_to_kernelIPNS_17CUDAGeneratorImplEEEvRNS_18TensorIteratorBaseEmlT_ENKUlvE_clEvENKUlvE1_clEvEUlP25hiprandStatePhilox4_32_10E0_ZNS1_27distribution_nullary_kernelIij15HIP_vector_typeIjLj4EES7_SF_ZZZNS5_IS7_EEvS9_mlSA_ENKSB_clEvENKSC_clEvEUljE_EEvS9_T2_RKT3_T4_EUlijE_EEvlNS_15PhiloxCudaStateET1_SK_,"axG",@progbits,_ZN2at6native12_GLOBAL__N_143distribution_elementwise_grid_stride_kernelIjLi4EZZZNS0_9templates4cuda21random_from_to_kernelIPNS_17CUDAGeneratorImplEEEvRNS_18TensorIteratorBaseEmlT_ENKUlvE_clEvENKUlvE1_clEvEUlP25hiprandStatePhilox4_32_10E0_ZNS1_27distribution_nullary_kernelIij15HIP_vector_typeIjLj4EES7_SF_ZZZNS5_IS7_EEvS9_mlSA_ENKSB_clEvENKSC_clEvEUljE_EEvS9_T2_RKT3_T4_EUlijE_EEvlNS_15PhiloxCudaStateET1_SK_,comdat
	.globl	_ZN2at6native12_GLOBAL__N_143distribution_elementwise_grid_stride_kernelIjLi4EZZZNS0_9templates4cuda21random_from_to_kernelIPNS_17CUDAGeneratorImplEEEvRNS_18TensorIteratorBaseEmlT_ENKUlvE_clEvENKUlvE1_clEvEUlP25hiprandStatePhilox4_32_10E0_ZNS1_27distribution_nullary_kernelIij15HIP_vector_typeIjLj4EES7_SF_ZZZNS5_IS7_EEvS9_mlSA_ENKSB_clEvENKSC_clEvEUljE_EEvS9_T2_RKT3_T4_EUlijE_EEvlNS_15PhiloxCudaStateET1_SK_ ; -- Begin function _ZN2at6native12_GLOBAL__N_143distribution_elementwise_grid_stride_kernelIjLi4EZZZNS0_9templates4cuda21random_from_to_kernelIPNS_17CUDAGeneratorImplEEEvRNS_18TensorIteratorBaseEmlT_ENKUlvE_clEvENKUlvE1_clEvEUlP25hiprandStatePhilox4_32_10E0_ZNS1_27distribution_nullary_kernelIij15HIP_vector_typeIjLj4EES7_SF_ZZZNS5_IS7_EEvS9_mlSA_ENKSB_clEvENKSC_clEvEUljE_EEvS9_T2_RKT3_T4_EUlijE_EEvlNS_15PhiloxCudaStateET1_SK_
	.p2align	8
	.type	_ZN2at6native12_GLOBAL__N_143distribution_elementwise_grid_stride_kernelIjLi4EZZZNS0_9templates4cuda21random_from_to_kernelIPNS_17CUDAGeneratorImplEEEvRNS_18TensorIteratorBaseEmlT_ENKUlvE_clEvENKUlvE1_clEvEUlP25hiprandStatePhilox4_32_10E0_ZNS1_27distribution_nullary_kernelIij15HIP_vector_typeIjLj4EES7_SF_ZZZNS5_IS7_EEvS9_mlSA_ENKSB_clEvENKSC_clEvEUljE_EEvS9_T2_RKT3_T4_EUlijE_EEvlNS_15PhiloxCudaStateET1_SK_,@function
_ZN2at6native12_GLOBAL__N_143distribution_elementwise_grid_stride_kernelIjLi4EZZZNS0_9templates4cuda21random_from_to_kernelIPNS_17CUDAGeneratorImplEEEvRNS_18TensorIteratorBaseEmlT_ENKUlvE_clEvENKUlvE1_clEvEUlP25hiprandStatePhilox4_32_10E0_ZNS1_27distribution_nullary_kernelIij15HIP_vector_typeIjLj4EES7_SF_ZZZNS5_IS7_EEvS9_mlSA_ENKSB_clEvENKSC_clEvEUljE_EEvS9_T2_RKT3_T4_EUlijE_EEvlNS_15PhiloxCudaStateET1_SK_: ; @_ZN2at6native12_GLOBAL__N_143distribution_elementwise_grid_stride_kernelIjLi4EZZZNS0_9templates4cuda21random_from_to_kernelIPNS_17CUDAGeneratorImplEEEvRNS_18TensorIteratorBaseEmlT_ENKUlvE_clEvENKUlvE1_clEvEUlP25hiprandStatePhilox4_32_10E0_ZNS1_27distribution_nullary_kernelIij15HIP_vector_typeIjLj4EES7_SF_ZZZNS5_IS7_EEvS9_mlSA_ENKSB_clEvENKSC_clEvEUljE_EEvS9_T2_RKT3_T4_EUlijE_EEvlNS_15PhiloxCudaStateET1_SK_
; %bb.0:
	s_clause 0x2
	s_load_b64 s[8:9], s[0:1], 0x10
	s_load_b128 s[4:7], s[0:1], 0x0
	s_load_b32 s2, s[0:1], 0x20
	s_waitcnt lgkmcnt(0)
	v_dual_mov_b32 v2, s8 :: v_dual_mov_b32 v3, s9
	v_dual_mov_b32 v14, s7 :: v_dual_mov_b32 v13, s6
	s_bitcmp0_b32 s2, 0
	s_mov_b32 s2, 0
	s_cbranch_scc1 .LBB10_2
; %bb.1:
	v_dual_mov_b32 v1, s8 :: v_dual_mov_b32 v2, s9
	v_dual_mov_b32 v4, s6 :: v_dual_mov_b32 v5, s7
	s_load_b64 s[6:7], s[0:1], 0x18
	flat_load_b64 v[2:3], v[1:2]
	flat_load_b64 v[13:14], v[4:5]
	s_waitcnt vmcnt(1) lgkmcnt(0)
	v_add_co_u32 v2, vcc_lo, v2, s6
	v_add_co_ci_u32_e32 v3, vcc_lo, s7, v3, vcc_lo
.LBB10_2:
	s_clause 0x1
	s_load_b32 s3, s[0:1], 0x5c
	s_load_b32 s14, s[0:1], 0x50
	s_waitcnt lgkmcnt(0)
	s_and_b32 s13, s3, 0xffff
	s_add_u32 s6, s4, -1
	s_mul_i32 s10, s14, s13
	s_addc_u32 s3, s5, -1
	s_lshl_b32 s11, s10, 2
	s_cmp_lg_u64 s[2:3], 0
	s_cbranch_scc0 .LBB10_35
; %bb.3:
	v_cvt_f32_ubyte0_e32 v1, 0
	v_cvt_f32_u32_e32 v4, s11
	s_sub_u32 s8, 0, s11
	s_subb_u32 s9, 0, 0
	s_delay_alu instid0(VALU_DEP_1) | instskip(NEXT) | instid1(VALU_DEP_1)
	v_fmamk_f32 v1, v1, 0x4f800000, v4
	v_rcp_f32_e32 v1, v1
	s_waitcnt_depctr 0xfff
	v_mul_f32_e32 v1, 0x5f7ffffc, v1
	s_delay_alu instid0(VALU_DEP_1) | instskip(NEXT) | instid1(VALU_DEP_1)
	v_mul_f32_e32 v4, 0x2f800000, v1
	v_trunc_f32_e32 v4, v4
	s_delay_alu instid0(VALU_DEP_1) | instskip(SKIP_1) | instid1(VALU_DEP_2)
	v_fmamk_f32 v1, v4, 0xcf800000, v1
	v_cvt_u32_f32_e32 v4, v4
	v_cvt_u32_f32_e32 v1, v1
	s_delay_alu instid0(VALU_DEP_2) | instskip(NEXT) | instid1(VALU_DEP_2)
	v_readfirstlane_b32 s2, v4
	v_readfirstlane_b32 s7, v1
	s_delay_alu instid0(VALU_DEP_2) | instskip(NEXT) | instid1(VALU_DEP_1)
	s_mul_i32 s12, s8, s2
	s_mul_hi_u32 s17, s8, s7
	s_mul_i32 s16, s9, s7
	s_add_i32 s12, s17, s12
	s_mul_i32 s18, s8, s7
	s_add_i32 s12, s12, s16
	s_mul_hi_u32 s17, s7, s18
	s_mul_hi_u32 s19, s2, s18
	s_mul_i32 s16, s2, s18
	s_mul_hi_u32 s18, s7, s12
	s_mul_i32 s7, s7, s12
	s_mul_hi_u32 s20, s2, s12
	s_add_u32 s7, s17, s7
	s_addc_u32 s17, 0, s18
	s_add_u32 s7, s7, s16
	s_mul_i32 s12, s2, s12
	s_addc_u32 s7, s17, s19
	s_addc_u32 s16, s20, 0
	s_add_u32 s7, s7, s12
	s_addc_u32 s12, 0, s16
	v_add_co_u32 v1, s7, v1, s7
	s_delay_alu instid0(VALU_DEP_1) | instskip(SKIP_1) | instid1(VALU_DEP_1)
	s_cmp_lg_u32 s7, 0
	s_addc_u32 s2, s2, s12
	v_readfirstlane_b32 s7, v1
	s_mul_i32 s12, s8, s2
	s_delay_alu instid0(VALU_DEP_1)
	s_mul_hi_u32 s16, s8, s7
	s_mul_i32 s9, s9, s7
	s_add_i32 s12, s16, s12
	s_mul_i32 s8, s8, s7
	s_add_i32 s12, s12, s9
	s_mul_hi_u32 s16, s2, s8
	s_mul_i32 s17, s2, s8
	s_mul_hi_u32 s8, s7, s8
	s_mul_hi_u32 s18, s7, s12
	s_mul_i32 s7, s7, s12
	s_mul_hi_u32 s9, s2, s12
	s_add_u32 s7, s8, s7
	s_addc_u32 s8, 0, s18
	s_add_u32 s7, s7, s17
	s_mul_i32 s12, s2, s12
	s_addc_u32 s7, s8, s16
	s_addc_u32 s8, s9, 0
	s_add_u32 s7, s7, s12
	s_addc_u32 s8, 0, s8
	v_add_co_u32 v1, s7, v1, s7
	s_delay_alu instid0(VALU_DEP_1) | instskip(SKIP_2) | instid1(VALU_DEP_1)
	s_cmp_lg_u32 s7, 0
	s_addc_u32 s7, s2, s8
	s_ashr_i32 s8, s3, 31
	v_readfirstlane_b32 s12, v1
	s_add_u32 s2, s6, s8
	s_mov_b32 s9, s8
	s_addc_u32 s3, s3, s8
	s_delay_alu instid0(SALU_CYCLE_1) | instskip(NEXT) | instid1(SALU_CYCLE_1)
	s_xor_b64 s[2:3], s[2:3], s[8:9]
	s_mul_i32 s17, s2, s7
	s_mul_hi_u32 s18, s2, s12
	s_mul_hi_u32 s16, s2, s7
	;; [unrolled: 1-line block ×3, first 2 shown]
	s_mul_i32 s12, s3, s12
	s_add_u32 s17, s18, s17
	s_addc_u32 s16, 0, s16
	s_mul_hi_u32 s19, s3, s7
	s_add_u32 s12, s17, s12
	s_mul_i32 s7, s3, s7
	s_addc_u32 s12, s16, s20
	s_addc_u32 s16, s19, 0
	s_add_u32 s7, s12, s7
	s_addc_u32 s12, 0, s16
	s_mul_i32 s17, s11, s7
	s_add_u32 s16, s7, 1
	v_sub_co_u32 v1, s2, s2, s17
	s_mul_hi_u32 s17, s11, s7
	s_addc_u32 s18, s12, 0
	s_mul_i32 s19, s11, s12
	s_delay_alu instid0(VALU_DEP_1)
	v_sub_co_u32 v4, s20, v1, s11
	s_add_u32 s21, s7, 2
	s_addc_u32 s22, s12, 0
	s_add_i32 s17, s17, s19
	s_cmp_lg_u32 s2, 0
	v_readfirstlane_b32 s2, v4
	s_subb_u32 s3, s3, s17
	s_cmp_lg_u32 s20, 0
	s_subb_u32 s17, s3, 0
	s_delay_alu instid0(VALU_DEP_1) | instskip(SKIP_4) | instid1(SALU_CYCLE_1)
	s_cmp_ge_u32 s2, s11
	s_cselect_b32 s2, -1, 0
	s_cmp_eq_u32 s17, 0
	v_readfirstlane_b32 s17, v1
	s_cselect_b32 s2, s2, -1
	s_cmp_lg_u32 s2, 0
	s_cselect_b32 s2, s21, s16
	s_cselect_b32 s16, s22, s18
	s_cmp_ge_u32 s17, s11
	s_cselect_b32 s17, -1, 0
	s_cmp_eq_u32 s3, 0
	s_cselect_b32 s3, s17, -1
	s_delay_alu instid0(SALU_CYCLE_1) | instskip(SKIP_2) | instid1(SALU_CYCLE_1)
	s_cmp_lg_u32 s3, 0
	s_cselect_b32 s3, s16, s12
	s_cselect_b32 s2, s2, s7
	s_xor_b64 s[2:3], s[2:3], s[8:9]
	s_delay_alu instid0(SALU_CYCLE_1)
	s_sub_u32 s2, s2, s8
	s_subb_u32 s3, s3, s8
	s_cbranch_execnz .LBB10_5
.LBB10_4:
	v_cvt_f32_u32_e32 v1, s11
	s_sub_i32 s3, 0, s11
	s_delay_alu instid0(VALU_DEP_1) | instskip(SKIP_2) | instid1(VALU_DEP_1)
	v_rcp_iflag_f32_e32 v1, v1
	s_waitcnt_depctr 0xfff
	v_mul_f32_e32 v1, 0x4f7ffffe, v1
	v_cvt_u32_f32_e32 v1, v1
	s_delay_alu instid0(VALU_DEP_1) | instskip(NEXT) | instid1(VALU_DEP_1)
	v_readfirstlane_b32 s2, v1
	s_mul_i32 s3, s3, s2
	s_delay_alu instid0(SALU_CYCLE_1) | instskip(NEXT) | instid1(SALU_CYCLE_1)
	s_mul_hi_u32 s3, s2, s3
	s_add_i32 s2, s2, s3
	s_delay_alu instid0(SALU_CYCLE_1) | instskip(NEXT) | instid1(SALU_CYCLE_1)
	s_mul_hi_u32 s2, s6, s2
	s_mul_i32 s3, s2, s11
	s_delay_alu instid0(SALU_CYCLE_1)
	s_sub_i32 s3, s6, s3
	s_add_i32 s6, s2, 1
	s_sub_i32 s7, s3, s11
	s_cmp_ge_u32 s3, s11
	s_cselect_b32 s2, s6, s2
	s_cselect_b32 s3, s7, s3
	s_add_i32 s6, s2, 1
	s_cmp_ge_u32 s3, s11
	s_mov_b32 s3, 0
	s_cselect_b32 s2, s6, s2
.LBB10_5:
	v_mov_b32_e32 v1, 0
	s_add_u32 s2, s2, 1
	s_addc_u32 s3, s3, 0
	s_mul_hi_u32 s6, s10, s2
	s_mul_i32 s3, s10, s3
	v_mad_u64_u32 v[15:16], null, s13, s15, v[0:1]
	s_mul_hi_u32 s7, s14, s13
	s_add_i32 s3, s6, s3
	s_mul_i32 s7, s7, s2
	s_mul_i32 s2, s10, s2
	s_add_i32 s3, s3, s7
	s_delay_alu instid0(SALU_CYCLE_1)
	s_lshl_b64 s[6:7], s[2:3], 2
	s_mov_b32 s2, exec_lo
	v_cmpx_gt_i64_e64 s[6:7], v[15:16]
	s_cbranch_execz .LBB10_34
; %bb.6:
	v_alignbit_b32 v19, v3, v2, 2
	v_mad_u64_u32 v[6:7], null, 0xcd9e8d57, v15, 0
	v_lshrrev_b32_e32 v20, 2, v3
	s_waitcnt vmcnt(0)
	v_dual_mov_b32 v11, v14 :: v_dual_add_nc_u32 v32, 0x8ff34781, v13
	v_mad_u64_u32 v[4:5], null, 0xd2511f53, v19, 0
	v_add_co_u32 v22, null, 0x9e3779b9, v13
	s_delay_alu instid0(VALU_DEP_3) | instskip(SKIP_1) | instid1(VALU_DEP_4)
	v_add_co_u32 v21, null, 0xbb67ae85, v11
	v_add_co_u32 v23, null, 0x3c6ef372, v13
	v_xor_b32_e32 v3, v5, v14
	v_xor3_b32 v5, v13, v7, v20
	v_add_co_u32 v24, null, 0x76cf5d0a, v11
	v_add_co_u32 v25, null, 0x32370b8f, v11
	s_delay_alu instid0(VALU_DEP_4) | instskip(NEXT) | instid1(VALU_DEP_4)
	v_xor_b32_e32 v3, v3, v16
	v_mad_u64_u32 v[7:8], null, 0xd2511f53, v5, 0
	v_add_co_u32 v26, null, 0xdaa66d2b, v13
	s_delay_alu instid0(VALU_DEP_3) | instskip(SKIP_1) | instid1(VALU_DEP_4)
	v_mad_u64_u32 v[9:10], null, 0xcd9e8d57, v3, 0
	v_add_co_u32 v27, null, 0x78dde6e4, v13
	v_xor3_b32 v5, v21, v8, v4
	v_add_co_u32 v28, null, 0xed9eba14, v11
	v_add_co_u32 v29, null, 0xa9066899, v11
	v_xor3_b32 v8, v22, v10, v6
	s_delay_alu instid0(VALU_DEP_4) | instskip(SKIP_1) | instid1(VALU_DEP_3)
	v_mad_u64_u32 v[3:4], null, 0xcd9e8d57, v5, 0
	v_add_co_u32 v30, null, 0x1715609d, v13
	v_mad_u64_u32 v[5:6], null, 0xd2511f53, v8, 0
	v_and_b32_e32 v31, 3, v2
	v_add_co_u32 v35, null, 0xb54cda56, v13
	v_xor3_b32 v4, v23, v4, v9
	v_add_co_u32 v36, null, 0x646e171e, v11
	v_xor3_b32 v10, v24, v6, v7
	v_add_co_u32 v34, null, 0x5384540f, v13
	s_delay_alu instid0(VALU_DEP_4) | instskip(NEXT) | instid1(VALU_DEP_3)
	v_mad_u64_u32 v[6:7], null, 0xd2511f53, v4, 0
	v_mad_u64_u32 v[8:9], null, 0xcd9e8d57, v10, 0
	v_add_co_u32 v38, null, 0x1fd5c5a3, v11
	s_clause 0x1
	s_load_b64 s[8:9], s[0:1], 0x30
	s_load_b32 s16, s[0:1], 0x38
	v_add_co_u32 v37, null, 0xf1bbcdc8, v13
	s_delay_alu instid0(VALU_DEP_4) | instskip(NEXT) | instid1(VALU_DEP_4)
	v_xor3_b32 v5, v25, v7, v5
	v_xor3_b32 v7, v26, v9, v3
	v_add_co_u32 v40, null, 0xdb3d7428, v11
	s_load_b128 s[0:3], s[0:1], 0x40
	s_delay_alu instid0(VALU_DEP_3) | instskip(NEXT) | instid1(VALU_DEP_3)
	v_mad_u64_u32 v[3:4], null, 0xcd9e8d57, v5, 0
	v_mad_u64_u32 v[9:10], null, 0xd2511f53, v7, 0
	s_mul_i32 s17, s14, 3
	s_lshl_b32 s18, s14, 1
	s_add_i32 s19, s15, s14
	s_add_i32 s17, s15, s17
	s_delay_alu instid0(VALU_DEP_2) | instskip(SKIP_1) | instid1(VALU_DEP_3)
	v_xor3_b32 v7, v27, v4, v8
	v_mad_u64_u32 v[11:12], null, s19, s13, v[0:1]
	v_xor3_b32 v8, v28, v10, v6
	v_mad_u64_u32 v[17:18], null, s17, s13, v[0:1]
	s_delay_alu instid0(VALU_DEP_4) | instskip(NEXT) | instid1(VALU_DEP_3)
	v_mad_u64_u32 v[4:5], null, 0xd2511f53, v7, 0
	v_mad_u64_u32 v[6:7], null, 0xcd9e8d57, v8, 0
	v_add_nc_u32_e32 v33, 0x96a522ad, v14
	s_waitcnt lgkmcnt(0)
	v_mul_lo_u32 v44, s16, v11
	v_mul_lo_u32 v42, s16, v17
	s_mul_i32 s14, s14, s16
	v_xor3_b32 v5, v29, v5, v9
	v_mov_b32_e32 v39, v15
	v_xor3_b32 v9, v30, v7, v3
	v_mov_b32_e32 v45, v16
	s_mul_i32 s14, s14, s13
	v_mad_u64_u32 v[2:3], null, 0xcd9e8d57, v5, 0
	s_delay_alu instid0(VALU_DEP_3) | instskip(SKIP_3) | instid1(VALU_DEP_2)
	v_mad_u64_u32 v[7:8], null, 0xd2511f53, v9, 0
	s_mov_b32 s3, 0
	s_lshl_b32 s12, s10, 1
	s_lshl_b32 s14, s14, 2
	v_xor3_b32 v9, v35, v3, v6
	v_mad_u64_u32 v[5:6], null, s15, s13, v[0:1]
	s_delay_alu instid0(VALU_DEP_3) | instskip(SKIP_1) | instid1(VALU_DEP_3)
	v_xor3_b32 v10, v36, v8, v4
	s_add_i32 s15, s15, s18
	v_mad_u64_u32 v[3:4], null, 0xd2511f53, v9, 0
	s_delay_alu instid0(VALU_DEP_2) | instskip(NEXT) | instid1(VALU_DEP_4)
	v_mad_u64_u32 v[8:9], null, 0xcd9e8d57, v10, 0
	v_mul_lo_u32 v41, s16, v5
	s_delay_alu instid0(VALU_DEP_3) | instskip(NEXT) | instid1(VALU_DEP_3)
	v_xor3_b32 v4, v38, v4, v7
	v_xor3_b32 v2, v34, v9, v2
	s_delay_alu instid0(VALU_DEP_2) | instskip(NEXT) | instid1(VALU_DEP_2)
	v_mad_u64_u32 v[6:7], null, 0xcd9e8d57, v4, 0
	v_mad_u64_u32 v[9:10], null, 0xd2511f53, v2, 0
	s_delay_alu instid0(VALU_DEP_2) | instskip(NEXT) | instid1(VALU_DEP_2)
	v_xor3_b32 v4, v37, v7, v8
	v_xor3_b32 v10, v40, v10, v3
	v_mad_u64_u32 v[2:3], null, s15, s13, v[0:1]
	s_delay_alu instid0(VALU_DEP_3) | instskip(NEXT) | instid1(VALU_DEP_3)
	v_mad_u64_u32 v[7:8], null, 0xd2511f53, v4, 0
	v_mad_u64_u32 v[3:4], null, 0xcd9e8d57, v10, 0
	s_mul_i32 s13, s10, 3
	s_mov_b32 s15, 0
	s_delay_alu instid0(VALU_DEP_3) | instskip(NEXT) | instid1(VALU_DEP_3)
	v_mul_lo_u32 v43, s16, v2
	v_mov_b32_e32 v5, v7
	s_delay_alu instid0(VALU_DEP_3)
	v_xor3_b32 v2, v4, v6, v32
	v_xor3_b32 v4, v8, v9, v33
	s_branch .LBB10_9
.LBB10_7:                               ;   in Loop: Header=BB10_9 Depth=1
	s_or_b32 exec_lo, exec_lo, s17
	v_add_nc_u32_e32 v2, s15, v42
	s_delay_alu instid0(VALU_DEP_2) | instskip(NEXT) | instid1(VALU_DEP_2)
	v_add_nc_u32_e32 v0, s2, v0
	v_ashrrev_i32_e32 v3, 31, v2
	v_add_co_u32 v2, vcc_lo, s8, v2
	s_delay_alu instid0(VALU_DEP_2)
	v_add_co_ci_u32_e32 v3, vcc_lo, s9, v3, vcc_lo
	global_store_b32 v[2:3], v0, off
.LBB10_8:                               ;   in Loop: Header=BB10_9 Depth=1
	s_or_b32 exec_lo, exec_lo, s16
	v_add_co_u32 v15, vcc_lo, v15, s11
	v_add_co_ci_u32_e32 v16, vcc_lo, 0, v16, vcc_lo
	v_mov_b32_e32 v9, v17
	v_dual_mov_b32 v2, v6 :: v_dual_mov_b32 v3, v7
	s_delay_alu instid0(VALU_DEP_3) | instskip(NEXT) | instid1(VALU_DEP_3)
	v_cmp_le_i64_e32 vcc_lo, s[6:7], v[15:16]
	v_dual_mov_b32 v4, v8 :: v_dual_mov_b32 v5, v9
	s_add_i32 s15, s15, s14
	s_waitcnt_vscnt null, 0x0
	s_barrier
	s_or_b32 s3, vcc_lo, s3
	buffer_gl0_inv
	s_and_not1_b32 exec_lo, exec_lo, s3
	s_cbranch_execz .LBB10_34
.LBB10_9:                               ; =>This Inner Loop Header: Depth=1
	v_add_co_u32 v19, vcc_lo, v19, 1
	s_delay_alu instid0(VALU_DEP_1) | instskip(SKIP_1) | instid1(VALU_DEP_3)
	v_cndmask_b32_e64 v0, 0, 1, vcc_lo
	v_add_co_ci_u32_e32 v20, vcc_lo, 0, v20, vcc_lo
	v_mad_u64_u32 v[6:7], null, 0xd2511f53, v19, 0
	s_mov_b32 s16, exec_lo
	s_delay_alu instid0(VALU_DEP_2) | instskip(SKIP_1) | instid1(VALU_DEP_1)
	v_cmp_eq_u32_e32 vcc_lo, 0, v20
	v_cndmask_b32_e32 v0, 0, v0, vcc_lo
	v_add_nc_u32_e32 v39, v0, v39
	s_delay_alu instid0(VALU_DEP_1) | instskip(SKIP_2) | instid1(VALU_DEP_2)
	v_cmp_eq_u32_e32 vcc_lo, 0, v39
	v_cndmask_b32_e32 v0, 0, v0, vcc_lo
	v_mad_u64_u32 v[8:9], null, 0xcd9e8d57, v39, 0
	v_add_nc_u32_e32 v45, v0, v45
	v_xor_b32_e32 v0, v7, v14
	s_delay_alu instid0(VALU_DEP_3) | instskip(NEXT) | instid1(VALU_DEP_2)
	v_xor3_b32 v7, v9, v13, v20
	v_xor_b32_e32 v0, v45, v0
	s_delay_alu instid0(VALU_DEP_2) | instskip(NEXT) | instid1(VALU_DEP_2)
	v_mad_u64_u32 v[9:10], null, 0xd2511f53, v7, 0
	v_mad_u64_u32 v[11:12], null, 0xcd9e8d57, v0, 0
	s_delay_alu instid0(VALU_DEP_2) | instskip(NEXT) | instid1(VALU_DEP_2)
	v_xor3_b32 v0, v21, v10, v6
	v_xor3_b32 v8, v22, v12, v8
	s_delay_alu instid0(VALU_DEP_2) | instskip(NEXT) | instid1(VALU_DEP_2)
	v_mad_u64_u32 v[6:7], null, 0xcd9e8d57, v0, 0
	v_mad_u64_u32 v[17:18], null, 0xd2511f53, v8, 0
	s_delay_alu instid0(VALU_DEP_2) | instskip(NEXT) | instid1(VALU_DEP_2)
	v_xor3_b32 v0, v23, v7, v11
	v_xor3_b32 v11, v24, v18, v9
	;; [unrolled: 6-line block ×9, first 2 shown]
	s_delay_alu instid0(VALU_DEP_2)
	v_mov_b32_e32 v8, v12
	v_cmpx_lt_i32_e32 1, v31
	s_xor_b32 s16, exec_lo, s16
	s_cbranch_execnz .LBB10_12
; %bb.10:                               ;   in Loop: Header=BB10_9 Depth=1
	s_and_not1_saveexec_b32 s16, s16
	s_cbranch_execnz .LBB10_17
.LBB10_11:                              ;   in Loop: Header=BB10_9 Depth=1
	s_or_b32 exec_lo, exec_lo, s16
	s_delay_alu instid0(SALU_CYCLE_1)
	s_mov_b32 s16, exec_lo
	v_cmpx_gt_i64_e64 s[4:5], v[15:16]
	s_cbranch_execnz .LBB10_20
	s_branch .LBB10_23
.LBB10_12:                              ;   in Loop: Header=BB10_9 Depth=1
	s_mov_b32 s17, exec_lo
	v_cmpx_lt_i32_e32 2, v31
	s_xor_b32 s17, exec_lo, s17
; %bb.13:                               ;   in Loop: Header=BB10_9 Depth=1
	v_dual_mov_b32 v9, v5 :: v_dual_mov_b32 v10, v6
	v_mov_b32_e32 v11, v7
	s_delay_alu instid0(VALU_DEP_2) | instskip(NEXT) | instid1(VALU_DEP_2)
	v_dual_mov_b32 v2, v9 :: v_dual_mov_b32 v3, v10
	v_dual_mov_b32 v4, v11 :: v_dual_mov_b32 v5, v12
; %bb.14:                               ;   in Loop: Header=BB10_9 Depth=1
	s_and_not1_saveexec_b32 s17, s17
; %bb.15:                               ;   in Loop: Header=BB10_9 Depth=1
	s_delay_alu instid0(VALU_DEP_1)
	v_dual_mov_b32 v2, v4 :: v_dual_mov_b32 v3, v5
	v_dual_mov_b32 v4, v6 :: v_dual_mov_b32 v5, v7
; %bb.16:                               ;   in Loop: Header=BB10_9 Depth=1
	s_or_b32 exec_lo, exec_lo, s17
	s_and_not1_saveexec_b32 s16, s16
	s_cbranch_execz .LBB10_11
.LBB10_17:                              ;   in Loop: Header=BB10_9 Depth=1
	s_mov_b32 s17, exec_lo
	v_cmpx_eq_u32_e32 1, v31
; %bb.18:                               ;   in Loop: Header=BB10_9 Depth=1
	v_dual_mov_b32 v2, v3 :: v_dual_mov_b32 v3, v4
	v_dual_mov_b32 v4, v5 :: v_dual_mov_b32 v5, v6
; %bb.19:                               ;   in Loop: Header=BB10_9 Depth=1
	s_or_b32 exec_lo, exec_lo, s17
	s_delay_alu instid0(SALU_CYCLE_1) | instskip(NEXT) | instid1(SALU_CYCLE_1)
	s_or_b32 exec_lo, exec_lo, s16
	s_mov_b32 s16, exec_lo
	v_cmpx_gt_i64_e64 s[4:5], v[15:16]
	s_cbranch_execz .LBB10_23
.LBB10_20:                              ;   in Loop: Header=BB10_9 Depth=1
	v_mov_b32_e32 v0, v2
	s_mov_b32 s17, exec_lo
	s_delay_alu instid0(VALU_DEP_1)
	v_cmpx_le_u64_e64 s[0:1], v[0:1]
	s_cbranch_execz .LBB10_22
; %bb.21:                               ;   in Loop: Header=BB10_9 Depth=1
	v_cvt_f32_u32_e32 v2, s0
	s_sub_i32 s18, 0, s0
	s_delay_alu instid0(VALU_DEP_1) | instskip(SKIP_2) | instid1(VALU_DEP_1)
	v_rcp_iflag_f32_e32 v2, v2
	s_waitcnt_depctr 0xfff
	v_mul_f32_e32 v2, 0x4f7ffffe, v2
	v_cvt_u32_f32_e32 v2, v2
	s_delay_alu instid0(VALU_DEP_1) | instskip(NEXT) | instid1(VALU_DEP_1)
	v_mul_lo_u32 v9, s18, v2
	v_mul_hi_u32 v9, v2, v9
	s_delay_alu instid0(VALU_DEP_1) | instskip(NEXT) | instid1(VALU_DEP_1)
	v_add_nc_u32_e32 v2, v2, v9
	v_mul_hi_u32 v2, v0, v2
	s_delay_alu instid0(VALU_DEP_1) | instskip(NEXT) | instid1(VALU_DEP_1)
	v_mul_lo_u32 v2, v2, s0
	v_sub_nc_u32_e32 v0, v0, v2
	s_delay_alu instid0(VALU_DEP_1) | instskip(SKIP_1) | instid1(VALU_DEP_2)
	v_subrev_nc_u32_e32 v2, s0, v0
	v_cmp_le_u32_e32 vcc_lo, s0, v0
	v_cndmask_b32_e32 v0, v0, v2, vcc_lo
	s_delay_alu instid0(VALU_DEP_1) | instskip(SKIP_1) | instid1(VALU_DEP_2)
	v_subrev_nc_u32_e32 v2, s0, v0
	v_cmp_le_u32_e32 vcc_lo, s0, v0
	v_cndmask_b32_e32 v0, v0, v2, vcc_lo
.LBB10_22:                              ;   in Loop: Header=BB10_9 Depth=1
	s_or_b32 exec_lo, exec_lo, s17
	v_add_nc_u32_e32 v2, s15, v41
	s_delay_alu instid0(VALU_DEP_2) | instskip(NEXT) | instid1(VALU_DEP_2)
	v_add_nc_u32_e32 v0, s2, v0
	v_ashrrev_i32_e32 v10, 31, v2
	v_add_co_u32 v9, vcc_lo, s8, v2
	s_delay_alu instid0(VALU_DEP_2)
	v_add_co_ci_u32_e32 v10, vcc_lo, s9, v10, vcc_lo
	global_store_b32 v[9:10], v0, off
.LBB10_23:                              ;   in Loop: Header=BB10_9 Depth=1
	s_or_b32 exec_lo, exec_lo, s16
	v_add_co_u32 v9, vcc_lo, s10, v15
	v_add_co_ci_u32_e32 v10, vcc_lo, 0, v16, vcc_lo
	s_mov_b32 s16, exec_lo
	s_delay_alu instid0(VALU_DEP_1)
	v_cmpx_gt_i64_e64 s[4:5], v[9:10]
	s_cbranch_execz .LBB10_27
; %bb.24:                               ;   in Loop: Header=BB10_9 Depth=1
	v_mov_b32_e32 v0, v3
	s_mov_b32 s17, exec_lo
	s_delay_alu instid0(VALU_DEP_1)
	v_cmpx_le_u64_e64 s[0:1], v[0:1]
	s_cbranch_execz .LBB10_26
; %bb.25:                               ;   in Loop: Header=BB10_9 Depth=1
	v_cvt_f32_u32_e32 v2, s0
	s_sub_i32 s18, 0, s0
	s_delay_alu instid0(VALU_DEP_1) | instskip(SKIP_2) | instid1(VALU_DEP_1)
	v_rcp_iflag_f32_e32 v2, v2
	s_waitcnt_depctr 0xfff
	v_mul_f32_e32 v2, 0x4f7ffffe, v2
	v_cvt_u32_f32_e32 v2, v2
	s_delay_alu instid0(VALU_DEP_1) | instskip(NEXT) | instid1(VALU_DEP_1)
	v_mul_lo_u32 v3, s18, v2
	v_mul_hi_u32 v3, v2, v3
	s_delay_alu instid0(VALU_DEP_1) | instskip(NEXT) | instid1(VALU_DEP_1)
	v_add_nc_u32_e32 v2, v2, v3
	v_mul_hi_u32 v2, v0, v2
	s_delay_alu instid0(VALU_DEP_1) | instskip(NEXT) | instid1(VALU_DEP_1)
	v_mul_lo_u32 v2, v2, s0
	v_sub_nc_u32_e32 v0, v0, v2
	s_delay_alu instid0(VALU_DEP_1) | instskip(SKIP_1) | instid1(VALU_DEP_2)
	v_subrev_nc_u32_e32 v2, s0, v0
	v_cmp_le_u32_e32 vcc_lo, s0, v0
	v_cndmask_b32_e32 v0, v0, v2, vcc_lo
	s_delay_alu instid0(VALU_DEP_1) | instskip(SKIP_1) | instid1(VALU_DEP_2)
	v_subrev_nc_u32_e32 v2, s0, v0
	v_cmp_le_u32_e32 vcc_lo, s0, v0
	v_cndmask_b32_e32 v0, v0, v2, vcc_lo
.LBB10_26:                              ;   in Loop: Header=BB10_9 Depth=1
	s_or_b32 exec_lo, exec_lo, s17
	v_add_nc_u32_e32 v2, s15, v44
	s_delay_alu instid0(VALU_DEP_2) | instskip(NEXT) | instid1(VALU_DEP_2)
	v_add_nc_u32_e32 v0, s2, v0
	v_ashrrev_i32_e32 v3, 31, v2
	v_add_co_u32 v2, vcc_lo, s8, v2
	s_delay_alu instid0(VALU_DEP_2)
	v_add_co_ci_u32_e32 v3, vcc_lo, s9, v3, vcc_lo
	global_store_b32 v[2:3], v0, off
.LBB10_27:                              ;   in Loop: Header=BB10_9 Depth=1
	s_or_b32 exec_lo, exec_lo, s16
	v_add_co_u32 v2, vcc_lo, s12, v15
	v_add_co_ci_u32_e32 v3, vcc_lo, 0, v16, vcc_lo
	s_mov_b32 s16, exec_lo
	s_delay_alu instid0(VALU_DEP_1)
	v_cmpx_gt_i64_e64 s[4:5], v[2:3]
	s_cbranch_execz .LBB10_31
; %bb.28:                               ;   in Loop: Header=BB10_9 Depth=1
	v_mov_b32_e32 v0, v4
	s_mov_b32 s17, exec_lo
	s_delay_alu instid0(VALU_DEP_1)
	v_cmpx_le_u64_e64 s[0:1], v[0:1]
	s_cbranch_execz .LBB10_30
; %bb.29:                               ;   in Loop: Header=BB10_9 Depth=1
	v_cvt_f32_u32_e32 v2, s0
	s_sub_i32 s18, 0, s0
	s_delay_alu instid0(VALU_DEP_1) | instskip(SKIP_2) | instid1(VALU_DEP_1)
	v_rcp_iflag_f32_e32 v2, v2
	s_waitcnt_depctr 0xfff
	v_mul_f32_e32 v2, 0x4f7ffffe, v2
	v_cvt_u32_f32_e32 v2, v2
	s_delay_alu instid0(VALU_DEP_1) | instskip(NEXT) | instid1(VALU_DEP_1)
	v_mul_lo_u32 v3, s18, v2
	v_mul_hi_u32 v3, v2, v3
	s_delay_alu instid0(VALU_DEP_1) | instskip(NEXT) | instid1(VALU_DEP_1)
	v_add_nc_u32_e32 v2, v2, v3
	v_mul_hi_u32 v2, v0, v2
	s_delay_alu instid0(VALU_DEP_1) | instskip(NEXT) | instid1(VALU_DEP_1)
	v_mul_lo_u32 v2, v2, s0
	v_sub_nc_u32_e32 v0, v0, v2
	s_delay_alu instid0(VALU_DEP_1) | instskip(SKIP_1) | instid1(VALU_DEP_2)
	v_subrev_nc_u32_e32 v2, s0, v0
	v_cmp_le_u32_e32 vcc_lo, s0, v0
	v_cndmask_b32_e32 v0, v0, v2, vcc_lo
	s_delay_alu instid0(VALU_DEP_1) | instskip(SKIP_1) | instid1(VALU_DEP_2)
	v_subrev_nc_u32_e32 v2, s0, v0
	v_cmp_le_u32_e32 vcc_lo, s0, v0
	v_cndmask_b32_e32 v0, v0, v2, vcc_lo
.LBB10_30:                              ;   in Loop: Header=BB10_9 Depth=1
	s_or_b32 exec_lo, exec_lo, s17
	v_add_nc_u32_e32 v2, s15, v43
	s_delay_alu instid0(VALU_DEP_2) | instskip(NEXT) | instid1(VALU_DEP_2)
	v_add_nc_u32_e32 v0, s2, v0
	v_ashrrev_i32_e32 v3, 31, v2
	v_add_co_u32 v2, vcc_lo, s8, v2
	s_delay_alu instid0(VALU_DEP_2)
	v_add_co_ci_u32_e32 v3, vcc_lo, s9, v3, vcc_lo
	global_store_b32 v[2:3], v0, off
.LBB10_31:                              ;   in Loop: Header=BB10_9 Depth=1
	s_or_b32 exec_lo, exec_lo, s16
	v_add_co_u32 v2, vcc_lo, s13, v15
	v_add_co_ci_u32_e32 v3, vcc_lo, 0, v16, vcc_lo
	s_mov_b32 s16, exec_lo
	s_delay_alu instid0(VALU_DEP_1)
	v_cmpx_gt_i64_e64 s[4:5], v[2:3]
	s_cbranch_execz .LBB10_8
; %bb.32:                               ;   in Loop: Header=BB10_9 Depth=1
	v_mov_b32_e32 v0, v5
	s_mov_b32 s17, exec_lo
	s_delay_alu instid0(VALU_DEP_1)
	v_cmpx_le_u64_e64 s[0:1], v[0:1]
	s_cbranch_execz .LBB10_7
; %bb.33:                               ;   in Loop: Header=BB10_9 Depth=1
	v_cvt_f32_u32_e32 v2, s0
	s_sub_i32 s18, 0, s0
	s_delay_alu instid0(VALU_DEP_1) | instskip(SKIP_2) | instid1(VALU_DEP_1)
	v_rcp_iflag_f32_e32 v2, v2
	s_waitcnt_depctr 0xfff
	v_mul_f32_e32 v2, 0x4f7ffffe, v2
	v_cvt_u32_f32_e32 v2, v2
	s_delay_alu instid0(VALU_DEP_1) | instskip(NEXT) | instid1(VALU_DEP_1)
	v_mul_lo_u32 v3, s18, v2
	v_mul_hi_u32 v3, v2, v3
	s_delay_alu instid0(VALU_DEP_1) | instskip(NEXT) | instid1(VALU_DEP_1)
	v_add_nc_u32_e32 v2, v2, v3
	v_mul_hi_u32 v2, v0, v2
	s_delay_alu instid0(VALU_DEP_1) | instskip(NEXT) | instid1(VALU_DEP_1)
	v_mul_lo_u32 v2, v2, s0
	v_sub_nc_u32_e32 v0, v0, v2
	s_delay_alu instid0(VALU_DEP_1) | instskip(SKIP_1) | instid1(VALU_DEP_2)
	v_subrev_nc_u32_e32 v2, s0, v0
	v_cmp_le_u32_e32 vcc_lo, s0, v0
	v_cndmask_b32_e32 v0, v0, v2, vcc_lo
	s_delay_alu instid0(VALU_DEP_1) | instskip(SKIP_1) | instid1(VALU_DEP_2)
	v_subrev_nc_u32_e32 v2, s0, v0
	v_cmp_le_u32_e32 vcc_lo, s0, v0
	v_cndmask_b32_e32 v0, v0, v2, vcc_lo
	s_branch .LBB10_7
.LBB10_34:
	s_endpgm
.LBB10_35:
                                        ; implicit-def: $sgpr2_sgpr3
	s_branch .LBB10_4
	.section	.rodata,"a",@progbits
	.p2align	6, 0x0
	.amdhsa_kernel _ZN2at6native12_GLOBAL__N_143distribution_elementwise_grid_stride_kernelIjLi4EZZZNS0_9templates4cuda21random_from_to_kernelIPNS_17CUDAGeneratorImplEEEvRNS_18TensorIteratorBaseEmlT_ENKUlvE_clEvENKUlvE1_clEvEUlP25hiprandStatePhilox4_32_10E0_ZNS1_27distribution_nullary_kernelIij15HIP_vector_typeIjLj4EES7_SF_ZZZNS5_IS7_EEvS9_mlSA_ENKSB_clEvENKSC_clEvEUljE_EEvS9_T2_RKT3_T4_EUlijE_EEvlNS_15PhiloxCudaStateET1_SK_
		.amdhsa_group_segment_fixed_size 0
		.amdhsa_private_segment_fixed_size 0
		.amdhsa_kernarg_size 336
		.amdhsa_user_sgpr_count 15
		.amdhsa_user_sgpr_dispatch_ptr 0
		.amdhsa_user_sgpr_queue_ptr 0
		.amdhsa_user_sgpr_kernarg_segment_ptr 1
		.amdhsa_user_sgpr_dispatch_id 0
		.amdhsa_user_sgpr_private_segment_size 0
		.amdhsa_wavefront_size32 1
		.amdhsa_uses_dynamic_stack 0
		.amdhsa_enable_private_segment 0
		.amdhsa_system_sgpr_workgroup_id_x 1
		.amdhsa_system_sgpr_workgroup_id_y 0
		.amdhsa_system_sgpr_workgroup_id_z 0
		.amdhsa_system_sgpr_workgroup_info 0
		.amdhsa_system_vgpr_workitem_id 0
		.amdhsa_next_free_vgpr 46
		.amdhsa_next_free_sgpr 23
		.amdhsa_reserve_vcc 1
		.amdhsa_float_round_mode_32 0
		.amdhsa_float_round_mode_16_64 0
		.amdhsa_float_denorm_mode_32 3
		.amdhsa_float_denorm_mode_16_64 3
		.amdhsa_dx10_clamp 1
		.amdhsa_ieee_mode 1
		.amdhsa_fp16_overflow 0
		.amdhsa_workgroup_processor_mode 1
		.amdhsa_memory_ordered 1
		.amdhsa_forward_progress 0
		.amdhsa_shared_vgpr_count 0
		.amdhsa_exception_fp_ieee_invalid_op 0
		.amdhsa_exception_fp_denorm_src 0
		.amdhsa_exception_fp_ieee_div_zero 0
		.amdhsa_exception_fp_ieee_overflow 0
		.amdhsa_exception_fp_ieee_underflow 0
		.amdhsa_exception_fp_ieee_inexact 0
		.amdhsa_exception_int_div_zero 0
	.end_amdhsa_kernel
	.section	.text._ZN2at6native12_GLOBAL__N_143distribution_elementwise_grid_stride_kernelIjLi4EZZZNS0_9templates4cuda21random_from_to_kernelIPNS_17CUDAGeneratorImplEEEvRNS_18TensorIteratorBaseEmlT_ENKUlvE_clEvENKUlvE1_clEvEUlP25hiprandStatePhilox4_32_10E0_ZNS1_27distribution_nullary_kernelIij15HIP_vector_typeIjLj4EES7_SF_ZZZNS5_IS7_EEvS9_mlSA_ENKSB_clEvENKSC_clEvEUljE_EEvS9_T2_RKT3_T4_EUlijE_EEvlNS_15PhiloxCudaStateET1_SK_,"axG",@progbits,_ZN2at6native12_GLOBAL__N_143distribution_elementwise_grid_stride_kernelIjLi4EZZZNS0_9templates4cuda21random_from_to_kernelIPNS_17CUDAGeneratorImplEEEvRNS_18TensorIteratorBaseEmlT_ENKUlvE_clEvENKUlvE1_clEvEUlP25hiprandStatePhilox4_32_10E0_ZNS1_27distribution_nullary_kernelIij15HIP_vector_typeIjLj4EES7_SF_ZZZNS5_IS7_EEvS9_mlSA_ENKSB_clEvENKSC_clEvEUljE_EEvS9_T2_RKT3_T4_EUlijE_EEvlNS_15PhiloxCudaStateET1_SK_,comdat
.Lfunc_end10:
	.size	_ZN2at6native12_GLOBAL__N_143distribution_elementwise_grid_stride_kernelIjLi4EZZZNS0_9templates4cuda21random_from_to_kernelIPNS_17CUDAGeneratorImplEEEvRNS_18TensorIteratorBaseEmlT_ENKUlvE_clEvENKUlvE1_clEvEUlP25hiprandStatePhilox4_32_10E0_ZNS1_27distribution_nullary_kernelIij15HIP_vector_typeIjLj4EES7_SF_ZZZNS5_IS7_EEvS9_mlSA_ENKSB_clEvENKSC_clEvEUljE_EEvS9_T2_RKT3_T4_EUlijE_EEvlNS_15PhiloxCudaStateET1_SK_, .Lfunc_end10-_ZN2at6native12_GLOBAL__N_143distribution_elementwise_grid_stride_kernelIjLi4EZZZNS0_9templates4cuda21random_from_to_kernelIPNS_17CUDAGeneratorImplEEEvRNS_18TensorIteratorBaseEmlT_ENKUlvE_clEvENKUlvE1_clEvEUlP25hiprandStatePhilox4_32_10E0_ZNS1_27distribution_nullary_kernelIij15HIP_vector_typeIjLj4EES7_SF_ZZZNS5_IS7_EEvS9_mlSA_ENKSB_clEvENKSC_clEvEUljE_EEvS9_T2_RKT3_T4_EUlijE_EEvlNS_15PhiloxCudaStateET1_SK_
                                        ; -- End function
	.section	.AMDGPU.csdata,"",@progbits
; Kernel info:
; codeLenInByte = 3424
; NumSgprs: 25
; NumVgprs: 46
; ScratchSize: 0
; MemoryBound: 0
; FloatMode: 240
; IeeeMode: 1
; LDSByteSize: 0 bytes/workgroup (compile time only)
; SGPRBlocks: 3
; VGPRBlocks: 5
; NumSGPRsForWavesPerEU: 25
; NumVGPRsForWavesPerEU: 46
; Occupancy: 16
; WaveLimiterHint : 0
; COMPUTE_PGM_RSRC2:SCRATCH_EN: 0
; COMPUTE_PGM_RSRC2:USER_SGPR: 15
; COMPUTE_PGM_RSRC2:TRAP_HANDLER: 0
; COMPUTE_PGM_RSRC2:TGID_X_EN: 1
; COMPUTE_PGM_RSRC2:TGID_Y_EN: 0
; COMPUTE_PGM_RSRC2:TGID_Z_EN: 0
; COMPUTE_PGM_RSRC2:TIDIG_COMP_CNT: 0
	.section	.text._ZN2at6native12_GLOBAL__N_143distribution_elementwise_grid_stride_kernelIjLi4EZZZNS0_9templates4cuda21random_from_to_kernelIPNS_17CUDAGeneratorImplEEEvRNS_18TensorIteratorBaseEmlT_ENKUlvE_clEvENKUlvE1_clEvEUlP25hiprandStatePhilox4_32_10E0_ZNS1_27distribution_nullary_kernelIij15HIP_vector_typeIjLj4EES7_SF_ZZZNS5_IS7_EEvS9_mlSA_ENKSB_clEvENKSC_clEvEUljE_EEvS9_T2_RKT3_T4_EUlijE0_EEvlNS_15PhiloxCudaStateET1_SK_,"axG",@progbits,_ZN2at6native12_GLOBAL__N_143distribution_elementwise_grid_stride_kernelIjLi4EZZZNS0_9templates4cuda21random_from_to_kernelIPNS_17CUDAGeneratorImplEEEvRNS_18TensorIteratorBaseEmlT_ENKUlvE_clEvENKUlvE1_clEvEUlP25hiprandStatePhilox4_32_10E0_ZNS1_27distribution_nullary_kernelIij15HIP_vector_typeIjLj4EES7_SF_ZZZNS5_IS7_EEvS9_mlSA_ENKSB_clEvENKSC_clEvEUljE_EEvS9_T2_RKT3_T4_EUlijE0_EEvlNS_15PhiloxCudaStateET1_SK_,comdat
	.globl	_ZN2at6native12_GLOBAL__N_143distribution_elementwise_grid_stride_kernelIjLi4EZZZNS0_9templates4cuda21random_from_to_kernelIPNS_17CUDAGeneratorImplEEEvRNS_18TensorIteratorBaseEmlT_ENKUlvE_clEvENKUlvE1_clEvEUlP25hiprandStatePhilox4_32_10E0_ZNS1_27distribution_nullary_kernelIij15HIP_vector_typeIjLj4EES7_SF_ZZZNS5_IS7_EEvS9_mlSA_ENKSB_clEvENKSC_clEvEUljE_EEvS9_T2_RKT3_T4_EUlijE0_EEvlNS_15PhiloxCudaStateET1_SK_ ; -- Begin function _ZN2at6native12_GLOBAL__N_143distribution_elementwise_grid_stride_kernelIjLi4EZZZNS0_9templates4cuda21random_from_to_kernelIPNS_17CUDAGeneratorImplEEEvRNS_18TensorIteratorBaseEmlT_ENKUlvE_clEvENKUlvE1_clEvEUlP25hiprandStatePhilox4_32_10E0_ZNS1_27distribution_nullary_kernelIij15HIP_vector_typeIjLj4EES7_SF_ZZZNS5_IS7_EEvS9_mlSA_ENKSB_clEvENKSC_clEvEUljE_EEvS9_T2_RKT3_T4_EUlijE0_EEvlNS_15PhiloxCudaStateET1_SK_
	.p2align	8
	.type	_ZN2at6native12_GLOBAL__N_143distribution_elementwise_grid_stride_kernelIjLi4EZZZNS0_9templates4cuda21random_from_to_kernelIPNS_17CUDAGeneratorImplEEEvRNS_18TensorIteratorBaseEmlT_ENKUlvE_clEvENKUlvE1_clEvEUlP25hiprandStatePhilox4_32_10E0_ZNS1_27distribution_nullary_kernelIij15HIP_vector_typeIjLj4EES7_SF_ZZZNS5_IS7_EEvS9_mlSA_ENKSB_clEvENKSC_clEvEUljE_EEvS9_T2_RKT3_T4_EUlijE0_EEvlNS_15PhiloxCudaStateET1_SK_,@function
_ZN2at6native12_GLOBAL__N_143distribution_elementwise_grid_stride_kernelIjLi4EZZZNS0_9templates4cuda21random_from_to_kernelIPNS_17CUDAGeneratorImplEEEvRNS_18TensorIteratorBaseEmlT_ENKUlvE_clEvENKUlvE1_clEvEUlP25hiprandStatePhilox4_32_10E0_ZNS1_27distribution_nullary_kernelIij15HIP_vector_typeIjLj4EES7_SF_ZZZNS5_IS7_EEvS9_mlSA_ENKSB_clEvENKSC_clEvEUljE_EEvS9_T2_RKT3_T4_EUlijE0_EEvlNS_15PhiloxCudaStateET1_SK_: ; @_ZN2at6native12_GLOBAL__N_143distribution_elementwise_grid_stride_kernelIjLi4EZZZNS0_9templates4cuda21random_from_to_kernelIPNS_17CUDAGeneratorImplEEEvRNS_18TensorIteratorBaseEmlT_ENKUlvE_clEvENKUlvE1_clEvEUlP25hiprandStatePhilox4_32_10E0_ZNS1_27distribution_nullary_kernelIij15HIP_vector_typeIjLj4EES7_SF_ZZZNS5_IS7_EEvS9_mlSA_ENKSB_clEvENKSC_clEvEUljE_EEvS9_T2_RKT3_T4_EUlijE0_EEvlNS_15PhiloxCudaStateET1_SK_
; %bb.0:
	s_clause 0x2
	s_load_b64 s[4:5], s[0:1], 0x10
	s_load_b128 s[16:19], s[0:1], 0x0
	s_load_b32 s2, s[0:1], 0x20
	s_waitcnt lgkmcnt(0)
	v_dual_mov_b32 v2, s4 :: v_dual_mov_b32 v3, s5
	v_dual_mov_b32 v13, s18 :: v_dual_mov_b32 v14, s19
	s_bitcmp0_b32 s2, 0
	s_mov_b32 s2, 0
	s_cbranch_scc1 .LBB11_2
; %bb.1:
	v_dual_mov_b32 v1, s4 :: v_dual_mov_b32 v2, s5
	v_dual_mov_b32 v4, s18 :: v_dual_mov_b32 v5, s19
	s_load_b64 s[4:5], s[0:1], 0x18
	flat_load_b64 v[2:3], v[1:2]
	flat_load_b64 v[13:14], v[4:5]
	s_waitcnt vmcnt(1) lgkmcnt(0)
	v_add_co_u32 v2, vcc_lo, v2, s4
	v_add_co_ci_u32_e32 v3, vcc_lo, s5, v3, vcc_lo
.LBB11_2:
	s_clause 0x1
	s_load_b32 s3, s[0:1], 0x15c
	s_load_b32 s4, s[0:1], 0x150
	s_waitcnt lgkmcnt(0)
	s_and_b32 s5, s3, 0xffff
	s_add_u32 s6, s16, -1
	s_mul_i32 s28, s4, s5
	s_addc_u32 s3, s17, -1
	s_lshl_b32 s29, s28, 2
	s_cmp_lg_u64 s[2:3], 0
	s_cbranch_scc0 .LBB11_87
; %bb.3:
	v_cvt_f32_ubyte0_e32 v1, 0
	v_cvt_f32_u32_e32 v4, s29
	s_sub_u32 s8, 0, s29
	s_subb_u32 s9, 0, 0
	s_delay_alu instid0(VALU_DEP_1) | instskip(NEXT) | instid1(VALU_DEP_1)
	v_fmamk_f32 v1, v1, 0x4f800000, v4
	v_rcp_f32_e32 v1, v1
	s_waitcnt_depctr 0xfff
	v_mul_f32_e32 v1, 0x5f7ffffc, v1
	s_delay_alu instid0(VALU_DEP_1) | instskip(NEXT) | instid1(VALU_DEP_1)
	v_mul_f32_e32 v4, 0x2f800000, v1
	v_trunc_f32_e32 v4, v4
	s_delay_alu instid0(VALU_DEP_1) | instskip(SKIP_1) | instid1(VALU_DEP_2)
	v_fmamk_f32 v1, v4, 0xcf800000, v1
	v_cvt_u32_f32_e32 v4, v4
	v_cvt_u32_f32_e32 v1, v1
	s_delay_alu instid0(VALU_DEP_2) | instskip(NEXT) | instid1(VALU_DEP_2)
	v_readfirstlane_b32 s2, v4
	v_readfirstlane_b32 s7, v1
	s_delay_alu instid0(VALU_DEP_2) | instskip(NEXT) | instid1(VALU_DEP_1)
	s_mul_i32 s10, s8, s2
	s_mul_hi_u32 s12, s8, s7
	s_mul_i32 s11, s9, s7
	s_add_i32 s10, s12, s10
	s_mul_i32 s13, s8, s7
	s_add_i32 s10, s10, s11
	s_mul_hi_u32 s12, s7, s13
	s_mul_hi_u32 s14, s2, s13
	s_mul_i32 s11, s2, s13
	s_mul_hi_u32 s13, s7, s10
	s_mul_i32 s7, s7, s10
	s_mul_hi_u32 s18, s2, s10
	s_add_u32 s7, s12, s7
	s_addc_u32 s12, 0, s13
	s_add_u32 s7, s7, s11
	s_mul_i32 s10, s2, s10
	s_addc_u32 s7, s12, s14
	s_addc_u32 s11, s18, 0
	s_add_u32 s7, s7, s10
	s_addc_u32 s10, 0, s11
	v_add_co_u32 v1, s7, v1, s7
	s_delay_alu instid0(VALU_DEP_1) | instskip(SKIP_1) | instid1(VALU_DEP_1)
	s_cmp_lg_u32 s7, 0
	s_addc_u32 s2, s2, s10
	v_readfirstlane_b32 s7, v1
	s_mul_i32 s10, s8, s2
	s_delay_alu instid0(VALU_DEP_1)
	s_mul_hi_u32 s11, s8, s7
	s_mul_i32 s9, s9, s7
	s_add_i32 s10, s11, s10
	s_mul_i32 s8, s8, s7
	s_add_i32 s10, s10, s9
	s_mul_hi_u32 s11, s2, s8
	s_mul_i32 s12, s2, s8
	s_mul_hi_u32 s8, s7, s8
	s_mul_hi_u32 s13, s7, s10
	s_mul_i32 s7, s7, s10
	s_mul_hi_u32 s9, s2, s10
	s_add_u32 s7, s8, s7
	s_addc_u32 s8, 0, s13
	s_add_u32 s7, s7, s12
	s_mul_i32 s10, s2, s10
	s_addc_u32 s7, s8, s11
	s_addc_u32 s8, s9, 0
	s_add_u32 s7, s7, s10
	s_addc_u32 s8, 0, s8
	v_add_co_u32 v1, s7, v1, s7
	s_delay_alu instid0(VALU_DEP_1) | instskip(SKIP_2) | instid1(VALU_DEP_1)
	s_cmp_lg_u32 s7, 0
	s_addc_u32 s7, s2, s8
	s_ashr_i32 s8, s3, 31
	v_readfirstlane_b32 s10, v1
	s_add_u32 s2, s6, s8
	s_mov_b32 s9, s8
	s_addc_u32 s3, s3, s8
	s_delay_alu instid0(SALU_CYCLE_1) | instskip(NEXT) | instid1(SALU_CYCLE_1)
	s_xor_b64 s[2:3], s[2:3], s[8:9]
	s_mul_i32 s12, s2, s7
	s_mul_hi_u32 s13, s2, s10
	s_mul_hi_u32 s11, s2, s7
	;; [unrolled: 1-line block ×3, first 2 shown]
	s_mul_i32 s10, s3, s10
	s_add_u32 s12, s13, s12
	s_addc_u32 s11, 0, s11
	s_mul_hi_u32 s14, s3, s7
	s_add_u32 s10, s12, s10
	s_mul_i32 s7, s3, s7
	s_addc_u32 s10, s11, s18
	s_addc_u32 s11, s14, 0
	s_add_u32 s7, s10, s7
	s_addc_u32 s10, 0, s11
	s_mul_i32 s12, s29, s7
	s_add_u32 s11, s7, 1
	v_sub_co_u32 v1, s2, s2, s12
	s_mul_hi_u32 s12, s29, s7
	s_addc_u32 s13, s10, 0
	s_mul_i32 s14, s29, s10
	s_delay_alu instid0(VALU_DEP_1)
	v_sub_co_u32 v4, s18, v1, s29
	s_add_u32 s19, s7, 2
	s_addc_u32 s20, s10, 0
	s_add_i32 s12, s12, s14
	s_cmp_lg_u32 s2, 0
	v_readfirstlane_b32 s2, v4
	s_subb_u32 s3, s3, s12
	s_cmp_lg_u32 s18, 0
	s_subb_u32 s12, s3, 0
	s_delay_alu instid0(VALU_DEP_1) | instskip(SKIP_4) | instid1(SALU_CYCLE_1)
	s_cmp_ge_u32 s2, s29
	s_cselect_b32 s2, -1, 0
	s_cmp_eq_u32 s12, 0
	v_readfirstlane_b32 s12, v1
	s_cselect_b32 s2, s2, -1
	s_cmp_lg_u32 s2, 0
	s_cselect_b32 s2, s19, s11
	s_cselect_b32 s11, s20, s13
	s_cmp_ge_u32 s12, s29
	s_cselect_b32 s12, -1, 0
	s_cmp_eq_u32 s3, 0
	s_cselect_b32 s3, s12, -1
	s_delay_alu instid0(SALU_CYCLE_1) | instskip(SKIP_2) | instid1(SALU_CYCLE_1)
	s_cmp_lg_u32 s3, 0
	s_cselect_b32 s3, s11, s10
	s_cselect_b32 s2, s2, s7
	s_xor_b64 s[2:3], s[2:3], s[8:9]
	s_delay_alu instid0(SALU_CYCLE_1)
	s_sub_u32 s2, s2, s8
	s_subb_u32 s3, s3, s8
	s_cbranch_execnz .LBB11_5
.LBB11_4:
	v_cvt_f32_u32_e32 v1, s29
	s_sub_i32 s3, 0, s29
	s_delay_alu instid0(VALU_DEP_1) | instskip(SKIP_2) | instid1(VALU_DEP_1)
	v_rcp_iflag_f32_e32 v1, v1
	s_waitcnt_depctr 0xfff
	v_mul_f32_e32 v1, 0x4f7ffffe, v1
	v_cvt_u32_f32_e32 v1, v1
	s_delay_alu instid0(VALU_DEP_1) | instskip(NEXT) | instid1(VALU_DEP_1)
	v_readfirstlane_b32 s2, v1
	s_mul_i32 s3, s3, s2
	s_delay_alu instid0(SALU_CYCLE_1) | instskip(NEXT) | instid1(SALU_CYCLE_1)
	s_mul_hi_u32 s3, s2, s3
	s_add_i32 s2, s2, s3
	s_delay_alu instid0(SALU_CYCLE_1) | instskip(NEXT) | instid1(SALU_CYCLE_1)
	s_mul_hi_u32 s2, s6, s2
	s_mul_i32 s3, s2, s29
	s_delay_alu instid0(SALU_CYCLE_1)
	s_sub_i32 s3, s6, s3
	s_add_i32 s6, s2, 1
	s_sub_i32 s7, s3, s29
	s_cmp_ge_u32 s3, s29
	s_cselect_b32 s2, s6, s2
	s_cselect_b32 s3, s7, s3
	s_add_i32 s6, s2, 1
	s_cmp_ge_u32 s3, s29
	s_mov_b32 s3, 0
	s_cselect_b32 s2, s6, s2
.LBB11_5:
	v_mov_b32_e32 v1, 0
	s_add_u32 s2, s2, 1
	s_addc_u32 s3, s3, 0
	s_mul_hi_u32 s6, s28, s2
	s_mul_i32 s3, s28, s3
	v_mad_u64_u32 v[15:16], null, s5, s15, v[0:1]
	s_mul_hi_u32 s4, s4, s5
	s_add_i32 s3, s6, s3
	s_mul_i32 s4, s4, s2
	s_mul_i32 s2, s28, s2
	s_add_i32 s3, s3, s4
	s_mov_b32 s4, exec_lo
	s_lshl_b64 s[2:3], s[2:3], 2
	s_delay_alu instid0(SALU_CYCLE_1)
	v_cmpx_gt_i64_e64 s[2:3], v[15:16]
	s_cbranch_execz .LBB11_86
; %bb.6:
	v_alignbit_b32 v19, v3, v2, 2
	v_mad_u64_u32 v[6:7], null, 0xcd9e8d57, v15, 0
	v_lshrrev_b32_e32 v20, 2, v3
	s_waitcnt vmcnt(0)
	v_dual_mov_b32 v11, v14 :: v_dual_add_nc_u32 v28, 0x8ff34781, v13
	v_mad_u64_u32 v[4:5], null, 0xd2511f53, v19, 0
	v_add_co_u32 v22, null, 0x9e3779b9, v13
	v_xor3_b32 v3, v13, v7, v20
	s_delay_alu instid0(VALU_DEP_4) | instskip(SKIP_2) | instid1(VALU_DEP_4)
	v_add_co_u32 v21, null, 0xbb67ae85, v11
	v_add_co_u32 v23, null, 0x3c6ef372, v13
	v_xor_b32_e32 v0, v5, v14
	v_mad_u64_u32 v[7:8], null, 0xd2511f53, v3, 0
	v_add_co_u32 v24, null, 0x76cf5d0a, v11
	s_delay_alu instid0(VALU_DEP_3) | instskip(SKIP_2) | instid1(VALU_DEP_3)
	v_xor_b32_e32 v0, v0, v16
	v_add_co_u32 v25, null, 0x32370b8f, v11
	v_add_co_u32 v26, null, 0xdaa66d2b, v13
	v_mad_u64_u32 v[9:10], null, 0xcd9e8d57, v0, 0
	v_xor3_b32 v0, v21, v8, v4
	v_dual_mov_b32 v38, v15 :: v_dual_and_b32 v27, 3, v2
	v_add_co_u32 v29, null, 0x78dde6e4, v13
	s_delay_alu instid0(VALU_DEP_3) | instskip(SKIP_3) | instid1(VALU_DEP_3)
	v_mad_u64_u32 v[3:4], null, 0xcd9e8d57, v0, 0
	v_xor3_b32 v8, v22, v10, v6
	v_add_co_u32 v31, null, 0xed9eba14, v11
	v_add_co_u32 v33, null, 0xa9066899, v11
	v_mad_u64_u32 v[5:6], null, 0xd2511f53, v8, 0
	v_xor3_b32 v0, v23, v4, v9
	v_add_co_u32 v34, null, 0x1715609d, v13
	v_add_co_u32 v35, null, 0xb54cda56, v13
	;; [unrolled: 1-line block ×3, first 2 shown]
	v_xor3_b32 v4, v24, v6, v7
	v_mad_u64_u32 v[6:7], null, 0xd2511f53, v0, 0
	s_load_b256 s[4:11], s[0:1], 0x30
	v_add_co_u32 v32, null, 0x5384540f, v13
	s_delay_alu instid0(VALU_DEP_3) | instskip(SKIP_1) | instid1(VALU_DEP_4)
	v_mad_u64_u32 v[8:9], null, 0xcd9e8d57, v4, 0
	v_add_co_u32 v39, null, 0x1fd5c5a3, v11
	v_xor3_b32 v0, v25, v7, v5
	v_add_co_u32 v36, null, 0xf1bbcdc8, v13
	v_add_co_u32 v40, null, 0xdb3d7428, v11
	v_xor3_b32 v7, v26, v9, v3
	s_delay_alu instid0(VALU_DEP_4) | instskip(SKIP_2) | instid1(VALU_DEP_2)
	v_mad_u64_u32 v[2:3], null, 0xcd9e8d57, v0, 0
	s_add_u32 s18, s0, 48
	s_load_b64 s[20:21], s[0:1], 0x148
	v_mad_u64_u32 v[4:5], null, 0xd2511f53, v7, 0
	s_clause 0x1
	s_load_b64 s[22:23], s[0:1], 0xf4
	s_load_b128 s[12:15], s[0:1], 0x138
	s_addc_u32 s19, s1, 0
	v_xor3_b32 v0, v29, v3, v8
	s_waitcnt lgkmcnt(0)
	s_add_i32 s24, s4, -1
	v_mov_b32_e32 v41, v16
	s_cmp_gt_u32 s24, 1
	v_xor3_b32 v3, v31, v5, v6
	v_mad_u64_u32 v[5:6], null, 0xd2511f53, v0, 0
	s_cselect_b32 s11, -1, 0
	s_cmp_lg_u32 s4, 0
	s_delay_alu instid0(VALU_DEP_2) | instskip(SKIP_2) | instid1(VALU_DEP_2)
	v_mad_u64_u32 v[7:8], null, 0xcd9e8d57, v3, 0
	s_cselect_b32 s21, -1, 0
	s_add_u32 s0, s0, 0xf4
	v_xor3_b32 v0, v33, v6, v4
	s_addc_u32 s1, s1, 0
	s_min_u32 s25, s24, 15
	s_cmp_gt_u32 s4, 1
	s_delay_alu instid0(VALU_DEP_2) | instskip(SKIP_3) | instid1(VALU_DEP_2)
	v_xor3_b32 v4, v34, v8, v2
	v_mad_u64_u32 v[2:3], null, 0xcd9e8d57, v0, 0
	s_cselect_b32 s4, -1, 0
	s_add_i32 s25, s25, 1
	v_mad_u64_u32 v[8:9], null, 0xd2511f53, v4, 0
	s_lshl_b32 s31, s28, 1
	s_and_b32 s33, s25, 3
	s_delay_alu instid0(VALU_DEP_2) | instskip(SKIP_3) | instid1(VALU_DEP_2)
	v_xor3_b32 v0, v35, v3, v7
	s_cmp_lg_u32 s24, 2
	s_mov_b32 s30, 0
	s_cselect_b32 s34, -1, 0
	v_xor3_b32 v7, v37, v9, v5
	v_mad_u64_u32 v[3:4], null, 0xd2511f53, v0, 0
	s_and_b32 s35, s25, 28
	s_cmp_lg_u32 s33, 0
	s_delay_alu instid0(VALU_DEP_2) | instskip(SKIP_2) | instid1(VALU_DEP_2)
	v_mad_u64_u32 v[5:6], null, 0xcd9e8d57, v7, 0
	s_mul_i32 s36, s28, 3
	s_cselect_b32 s37, -1, 0
	v_xor3_b32 v0, v39, v4, v8
	s_delay_alu instid0(VALU_DEP_2) | instskip(NEXT) | instid1(VALU_DEP_2)
	v_xor3_b32 v2, v32, v6, v2
	v_mad_u64_u32 v[6:7], null, 0xcd9e8d57, v0, 0
	s_delay_alu instid0(VALU_DEP_2) | instskip(NEXT) | instid1(VALU_DEP_2)
	v_mad_u64_u32 v[8:9], null, 0xd2511f53, v2, 0
	v_xor3_b32 v0, v36, v7, v5
	s_delay_alu instid0(VALU_DEP_2) | instskip(NEXT) | instid1(VALU_DEP_2)
	v_xor3_b32 v2, v40, v9, v3
	v_mad_u64_u32 v[9:10], null, 0xd2511f53, v0, 0
	v_add_nc_u32_e32 v30, 0x96a522ad, v14
	s_delay_alu instid0(VALU_DEP_3) | instskip(NEXT) | instid1(VALU_DEP_3)
	v_mad_u64_u32 v[3:4], null, 0xcd9e8d57, v2, 0
	v_mov_b32_e32 v5, v9
	s_delay_alu instid0(VALU_DEP_2) | instskip(NEXT) | instid1(VALU_DEP_4)
	v_xor3_b32 v2, v4, v6, v28
	v_xor3_b32 v4, v10, v8, v30
	s_branch .LBB11_9
.LBB11_7:                               ;   in Loop: Header=BB11_9 Depth=1
	s_or_b32 exec_lo, exec_lo, s24
	s_delay_alu instid0(VALU_DEP_1)
	v_add_nc_u32_e32 v0, s20, v0
	global_store_b32 v2, v0, s[12:13]
.LBB11_8:                               ;   in Loop: Header=BB11_9 Depth=1
	s_or_b32 exec_lo, exec_lo, s38
	v_add_co_u32 v15, vcc_lo, v15, s29
	v_add_co_ci_u32_e32 v16, vcc_lo, 0, v16, vcc_lo
	v_mov_b32_e32 v9, v17
	v_dual_mov_b32 v2, v6 :: v_dual_mov_b32 v3, v7
	s_delay_alu instid0(VALU_DEP_3) | instskip(NEXT) | instid1(VALU_DEP_3)
	v_cmp_le_i64_e32 vcc_lo, s[2:3], v[15:16]
	v_dual_mov_b32 v4, v8 :: v_dual_mov_b32 v5, v9
	s_waitcnt_vscnt null, 0x0
	s_barrier
	buffer_gl0_inv
	s_or_b32 s30, vcc_lo, s30
	s_delay_alu instid0(SALU_CYCLE_1)
	s_and_not1_b32 exec_lo, exec_lo, s30
	s_cbranch_execz .LBB11_86
.LBB11_9:                               ; =>This Loop Header: Depth=1
                                        ;     Child Loop BB11_24 Depth 2
                                        ;     Child Loop BB11_29 Depth 2
	;; [unrolled: 1-line block ×8, first 2 shown]
	v_add_co_u32 v19, vcc_lo, v19, 1
	s_delay_alu instid0(VALU_DEP_1) | instskip(SKIP_1) | instid1(VALU_DEP_3)
	v_cndmask_b32_e64 v0, 0, 1, vcc_lo
	v_add_co_ci_u32_e32 v20, vcc_lo, 0, v20, vcc_lo
	v_mad_u64_u32 v[6:7], null, 0xd2511f53, v19, 0
	s_mov_b32 s24, exec_lo
	s_delay_alu instid0(VALU_DEP_2) | instskip(SKIP_1) | instid1(VALU_DEP_1)
	v_cmp_eq_u32_e32 vcc_lo, 0, v20
	v_cndmask_b32_e32 v0, 0, v0, vcc_lo
	v_add_nc_u32_e32 v38, v0, v38
	s_delay_alu instid0(VALU_DEP_1) | instskip(SKIP_2) | instid1(VALU_DEP_1)
	v_cmp_eq_u32_e32 vcc_lo, 0, v38
	v_mad_u64_u32 v[8:9], null, 0xcd9e8d57, v38, 0
	v_cndmask_b32_e32 v0, 0, v0, vcc_lo
	v_add_nc_u32_e32 v41, v0, v41
	v_xor_b32_e32 v0, v7, v14
	s_delay_alu instid0(VALU_DEP_4) | instskip(NEXT) | instid1(VALU_DEP_2)
	v_xor3_b32 v7, v9, v13, v20
	v_xor_b32_e32 v0, v41, v0
	s_delay_alu instid0(VALU_DEP_2) | instskip(NEXT) | instid1(VALU_DEP_2)
	v_mad_u64_u32 v[9:10], null, 0xd2511f53, v7, 0
	v_mad_u64_u32 v[11:12], null, 0xcd9e8d57, v0, 0
	s_delay_alu instid0(VALU_DEP_2) | instskip(NEXT) | instid1(VALU_DEP_2)
	v_xor3_b32 v0, v21, v10, v6
	v_xor3_b32 v8, v22, v12, v8
	s_delay_alu instid0(VALU_DEP_2) | instskip(NEXT) | instid1(VALU_DEP_2)
	v_mad_u64_u32 v[6:7], null, 0xcd9e8d57, v0, 0
	v_mad_u64_u32 v[17:18], null, 0xd2511f53, v8, 0
	s_delay_alu instid0(VALU_DEP_2) | instskip(NEXT) | instid1(VALU_DEP_2)
	v_xor3_b32 v0, v23, v7, v11
	v_xor3_b32 v11, v24, v18, v9
	;; [unrolled: 6-line block ×9, first 2 shown]
	s_delay_alu instid0(VALU_DEP_2)
	v_mov_b32_e32 v8, v12
	v_cmpx_lt_i32_e32 1, v27
	s_xor_b32 s24, exec_lo, s24
	s_cbranch_execnz .LBB11_12
; %bb.10:                               ;   in Loop: Header=BB11_9 Depth=1
	s_and_not1_saveexec_b32 s24, s24
	s_cbranch_execnz .LBB11_17
.LBB11_11:                              ;   in Loop: Header=BB11_9 Depth=1
	s_or_b32 exec_lo, exec_lo, s24
	s_delay_alu instid0(SALU_CYCLE_1)
	s_mov_b32 s38, exec_lo
	v_cmpx_gt_i64_e64 s[16:17], v[15:16]
	s_cbranch_execnz .LBB11_20
	s_branch .LBB11_36
.LBB11_12:                              ;   in Loop: Header=BB11_9 Depth=1
	s_mov_b32 s25, exec_lo
	v_cmpx_lt_i32_e32 2, v27
	s_xor_b32 s25, exec_lo, s25
; %bb.13:                               ;   in Loop: Header=BB11_9 Depth=1
	v_dual_mov_b32 v9, v5 :: v_dual_mov_b32 v10, v6
	v_mov_b32_e32 v11, v7
	s_delay_alu instid0(VALU_DEP_2) | instskip(NEXT) | instid1(VALU_DEP_2)
	v_dual_mov_b32 v2, v9 :: v_dual_mov_b32 v3, v10
	v_dual_mov_b32 v4, v11 :: v_dual_mov_b32 v5, v12
; %bb.14:                               ;   in Loop: Header=BB11_9 Depth=1
	s_and_not1_saveexec_b32 s25, s25
; %bb.15:                               ;   in Loop: Header=BB11_9 Depth=1
	s_delay_alu instid0(VALU_DEP_1)
	v_dual_mov_b32 v2, v4 :: v_dual_mov_b32 v3, v5
	v_dual_mov_b32 v4, v6 :: v_dual_mov_b32 v5, v7
; %bb.16:                               ;   in Loop: Header=BB11_9 Depth=1
	s_or_b32 exec_lo, exec_lo, s25
	s_and_not1_saveexec_b32 s24, s24
	s_cbranch_execz .LBB11_11
.LBB11_17:                              ;   in Loop: Header=BB11_9 Depth=1
	s_mov_b32 s25, exec_lo
	v_cmpx_eq_u32_e32 1, v27
; %bb.18:                               ;   in Loop: Header=BB11_9 Depth=1
	v_dual_mov_b32 v2, v3 :: v_dual_mov_b32 v3, v4
	v_dual_mov_b32 v4, v5 :: v_dual_mov_b32 v5, v6
; %bb.19:                               ;   in Loop: Header=BB11_9 Depth=1
	s_or_b32 exec_lo, exec_lo, s25
	s_delay_alu instid0(SALU_CYCLE_1) | instskip(NEXT) | instid1(SALU_CYCLE_1)
	s_or_b32 exec_lo, exec_lo, s24
	s_mov_b32 s38, exec_lo
	v_cmpx_gt_i64_e64 s[16:17], v[15:16]
	s_cbranch_execz .LBB11_36
.LBB11_20:                              ;   in Loop: Header=BB11_9 Depth=1
	s_and_not1_b32 vcc_lo, exec_lo, s11
	s_cbranch_vccnz .LBB11_26
; %bb.21:                               ;   in Loop: Header=BB11_9 Depth=1
	v_mov_b32_e32 v9, 0
	s_and_not1_b32 vcc_lo, exec_lo, s21
	s_cbranch_vccnz .LBB11_30
; %bb.22:                               ;   in Loop: Header=BB11_9 Depth=1
	s_and_not1_b32 vcc_lo, exec_lo, s34
	s_mov_b32 s24, 0
	s_cbranch_vccnz .LBB11_27
; %bb.23:                               ;   in Loop: Header=BB11_9 Depth=1
	v_dual_mov_b32 v9, 0 :: v_dual_mov_b32 v0, v15
	s_mov_b32 s39, 0
	s_mov_b64 s[24:25], s[18:19]
	s_mov_b64 s[26:27], s[0:1]
.LBB11_24:                              ;   Parent Loop BB11_9 Depth=1
                                        ; =>  This Inner Loop Header: Depth=2
	s_clause 0x1
	s_load_b256 s[40:47], s[24:25], 0x4
	s_load_b128 s[48:51], s[24:25], 0x24
	s_load_b128 s[52:55], s[26:27], 0x0
	s_add_u32 s24, s24, 48
	s_addc_u32 s25, s25, 0
	s_add_i32 s39, s39, 4
	s_add_u32 s26, s26, 16
	s_addc_u32 s27, s27, 0
	s_cmp_lg_u32 s35, s39
	s_waitcnt lgkmcnt(0)
	v_mul_hi_u32 v10, s41, v0
	s_delay_alu instid0(VALU_DEP_1) | instskip(NEXT) | instid1(VALU_DEP_1)
	v_add_nc_u32_e32 v10, v0, v10
	v_lshrrev_b32_e32 v10, s42, v10
	s_delay_alu instid0(VALU_DEP_1) | instskip(SKIP_1) | instid1(VALU_DEP_2)
	v_mul_hi_u32 v11, s44, v10
	v_mul_lo_u32 v42, v10, s40
	v_add_nc_u32_e32 v11, v10, v11
	s_delay_alu instid0(VALU_DEP_2) | instskip(NEXT) | instid1(VALU_DEP_2)
	v_sub_nc_u32_e32 v42, v0, v42
	v_lshrrev_b32_e32 v11, s45, v11
	s_delay_alu instid0(VALU_DEP_2) | instskip(NEXT) | instid1(VALU_DEP_2)
	v_mul_lo_u32 v42, v42, s52
	v_mul_hi_u32 v12, s47, v11
	v_mul_lo_u32 v43, v11, s43
	s_delay_alu instid0(VALU_DEP_2) | instskip(NEXT) | instid1(VALU_DEP_2)
	v_add_nc_u32_e32 v12, v11, v12
	v_sub_nc_u32_e32 v10, v10, v43
	s_delay_alu instid0(VALU_DEP_2) | instskip(NEXT) | instid1(VALU_DEP_2)
	v_lshrrev_b32_e32 v12, s48, v12
	v_mul_lo_u32 v10, v10, s53
	s_delay_alu instid0(VALU_DEP_2) | instskip(NEXT) | instid1(VALU_DEP_2)
	v_mul_hi_u32 v18, s50, v12
	v_add3_u32 v9, v42, v9, v10
	s_delay_alu instid0(VALU_DEP_2) | instskip(NEXT) | instid1(VALU_DEP_1)
	v_add_nc_u32_e32 v18, v12, v18
	v_lshrrev_b32_e32 v0, s51, v18
	v_mul_lo_u32 v18, v12, s46
	s_delay_alu instid0(VALU_DEP_2) | instskip(NEXT) | instid1(VALU_DEP_2)
	v_mul_lo_u32 v44, v0, s49
	v_sub_nc_u32_e32 v11, v11, v18
	s_delay_alu instid0(VALU_DEP_2) | instskip(NEXT) | instid1(VALU_DEP_2)
	v_sub_nc_u32_e32 v12, v12, v44
	v_mul_lo_u32 v11, v11, s54
	s_delay_alu instid0(VALU_DEP_2) | instskip(NEXT) | instid1(VALU_DEP_1)
	v_mul_lo_u32 v12, v12, s55
	v_add3_u32 v9, v11, v9, v12
	s_cbranch_scc1 .LBB11_24
; %bb.25:                               ;   in Loop: Header=BB11_9 Depth=1
	s_mov_b32 s24, s35
	s_and_not1_b32 vcc_lo, exec_lo, s37
	s_cbranch_vccz .LBB11_28
	s_branch .LBB11_30
.LBB11_26:                              ;   in Loop: Header=BB11_9 Depth=1
                                        ; implicit-def: $vgpr9
	s_branch .LBB11_31
.LBB11_27:                              ;   in Loop: Header=BB11_9 Depth=1
	v_mov_b32_e32 v0, v15
	s_and_not1_b32 vcc_lo, exec_lo, s37
	s_cbranch_vccnz .LBB11_30
.LBB11_28:                              ;   in Loop: Header=BB11_9 Depth=1
	s_lshl_b32 s25, s24, 2
	s_mul_i32 s26, s24, 12
	s_add_u32 s24, s0, s25
	s_addc_u32 s25, s1, 0
	s_add_u32 s26, s18, s26
	s_addc_u32 s27, s19, 0
	s_mov_b32 s39, s33
	.p2align	6
.LBB11_29:                              ;   Parent Loop BB11_9 Depth=1
                                        ; =>  This Inner Loop Header: Depth=2
	s_clause 0x1
	s_load_b64 s[40:41], s[26:27], 0x4
	s_load_b32 s42, s[26:27], 0xc
	s_add_u32 s26, s26, 12
	s_addc_u32 s27, s27, 0
	s_waitcnt lgkmcnt(0)
	v_mul_hi_u32 v10, s41, v0
	s_load_b32 s41, s[24:25], 0x0
	s_add_u32 s24, s24, 4
	s_addc_u32 s25, s25, 0
	s_add_i32 s39, s39, -1
	s_delay_alu instid0(SALU_CYCLE_1) | instskip(NEXT) | instid1(VALU_DEP_1)
	s_cmp_lg_u32 s39, 0
	v_add_nc_u32_e32 v10, v0, v10
	s_delay_alu instid0(VALU_DEP_1) | instskip(NEXT) | instid1(VALU_DEP_1)
	v_lshrrev_b32_e32 v12, s42, v10
	v_mul_lo_u32 v10, v12, s40
	s_delay_alu instid0(VALU_DEP_1) | instskip(SKIP_1) | instid1(VALU_DEP_1)
	v_sub_nc_u32_e32 v0, v0, v10
	s_waitcnt lgkmcnt(0)
	v_mad_u64_u32 v[10:11], null, v0, s41, v[9:10]
	s_delay_alu instid0(VALU_DEP_1)
	v_dual_mov_b32 v0, v12 :: v_dual_mov_b32 v9, v10
	s_cbranch_scc1 .LBB11_29
.LBB11_30:                              ;   in Loop: Header=BB11_9 Depth=1
	s_cbranch_execnz .LBB11_33
.LBB11_31:                              ;   in Loop: Header=BB11_9 Depth=1
	v_mul_hi_u32 v0, v15, s6
	s_and_not1_b32 vcc_lo, exec_lo, s4
	s_delay_alu instid0(VALU_DEP_1) | instskip(NEXT) | instid1(VALU_DEP_1)
	v_add_nc_u32_e32 v0, v0, v15
	v_lshrrev_b32_e32 v0, s7, v0
	s_delay_alu instid0(VALU_DEP_1) | instskip(NEXT) | instid1(VALU_DEP_1)
	v_mul_lo_u32 v9, v0, s5
	v_sub_nc_u32_e32 v9, v15, v9
	s_delay_alu instid0(VALU_DEP_1)
	v_mul_lo_u32 v9, v9, s22
	s_cbranch_vccnz .LBB11_33
; %bb.32:                               ;   in Loop: Header=BB11_9 Depth=1
	v_mul_hi_u32 v10, s9, v0
	s_delay_alu instid0(VALU_DEP_1) | instskip(NEXT) | instid1(VALU_DEP_1)
	v_add_nc_u32_e32 v10, v0, v10
	v_lshrrev_b32_e32 v10, s10, v10
	s_delay_alu instid0(VALU_DEP_1) | instskip(NEXT) | instid1(VALU_DEP_1)
	v_mul_lo_u32 v10, v10, s8
	v_sub_nc_u32_e32 v0, v0, v10
	s_delay_alu instid0(VALU_DEP_1) | instskip(NEXT) | instid1(VALU_DEP_1)
	v_mad_u64_u32 v[10:11], null, v0, s23, v[9:10]
	v_mov_b32_e32 v9, v10
.LBB11_33:                              ;   in Loop: Header=BB11_9 Depth=1
	v_mov_b32_e32 v0, v2
	s_mov_b32 s24, exec_lo
	s_delay_alu instid0(VALU_DEP_1)
	v_cmpx_le_u64_e64 s[14:15], v[0:1]
	s_cbranch_execz .LBB11_35
; %bb.34:                               ;   in Loop: Header=BB11_9 Depth=1
	v_cvt_f32_u32_e32 v2, s14
	s_sub_i32 s25, 0, s14
	s_delay_alu instid0(VALU_DEP_1) | instskip(SKIP_2) | instid1(VALU_DEP_1)
	v_rcp_iflag_f32_e32 v2, v2
	s_waitcnt_depctr 0xfff
	v_mul_f32_e32 v2, 0x4f7ffffe, v2
	v_cvt_u32_f32_e32 v2, v2
	s_delay_alu instid0(VALU_DEP_1) | instskip(NEXT) | instid1(VALU_DEP_1)
	v_mul_lo_u32 v10, s25, v2
	v_mul_hi_u32 v10, v2, v10
	s_delay_alu instid0(VALU_DEP_1) | instskip(NEXT) | instid1(VALU_DEP_1)
	v_add_nc_u32_e32 v2, v2, v10
	v_mul_hi_u32 v2, v0, v2
	s_delay_alu instid0(VALU_DEP_1) | instskip(NEXT) | instid1(VALU_DEP_1)
	v_mul_lo_u32 v2, v2, s14
	v_sub_nc_u32_e32 v0, v0, v2
	s_delay_alu instid0(VALU_DEP_1) | instskip(SKIP_1) | instid1(VALU_DEP_2)
	v_subrev_nc_u32_e32 v2, s14, v0
	v_cmp_le_u32_e32 vcc_lo, s14, v0
	v_cndmask_b32_e32 v0, v0, v2, vcc_lo
	s_delay_alu instid0(VALU_DEP_1) | instskip(SKIP_1) | instid1(VALU_DEP_2)
	v_subrev_nc_u32_e32 v2, s14, v0
	v_cmp_le_u32_e32 vcc_lo, s14, v0
	v_cndmask_b32_e32 v0, v0, v2, vcc_lo
.LBB11_35:                              ;   in Loop: Header=BB11_9 Depth=1
	s_or_b32 exec_lo, exec_lo, s24
	s_delay_alu instid0(VALU_DEP_1)
	v_add_nc_u32_e32 v0, s20, v0
	global_store_b32 v9, v0, s[12:13]
.LBB11_36:                              ;   in Loop: Header=BB11_9 Depth=1
	s_or_b32 exec_lo, exec_lo, s38
	v_add_co_u32 v9, vcc_lo, v15, s28
	v_add_co_ci_u32_e32 v10, vcc_lo, 0, v16, vcc_lo
	s_mov_b32 s38, exec_lo
	s_delay_alu instid0(VALU_DEP_1)
	v_cmpx_gt_i64_e64 s[16:17], v[9:10]
	s_cbranch_execz .LBB11_53
; %bb.37:                               ;   in Loop: Header=BB11_9 Depth=1
	s_and_not1_b32 vcc_lo, exec_lo, s11
	s_cbranch_vccnz .LBB11_43
; %bb.38:                               ;   in Loop: Header=BB11_9 Depth=1
	v_mov_b32_e32 v2, 0
	s_and_not1_b32 vcc_lo, exec_lo, s21
	s_cbranch_vccnz .LBB11_47
; %bb.39:                               ;   in Loop: Header=BB11_9 Depth=1
	s_and_not1_b32 vcc_lo, exec_lo, s34
	s_mov_b32 s24, 0
	s_cbranch_vccnz .LBB11_44
; %bb.40:                               ;   in Loop: Header=BB11_9 Depth=1
	v_mov_b32_e32 v2, 0
	v_mov_b32_e32 v0, v9
	s_mov_b32 s39, 0
	s_mov_b64 s[24:25], s[18:19]
	s_mov_b64 s[26:27], s[0:1]
.LBB11_41:                              ;   Parent Loop BB11_9 Depth=1
                                        ; =>  This Inner Loop Header: Depth=2
	s_clause 0x1
	s_load_b256 s[40:47], s[24:25], 0x4
	s_load_b128 s[48:51], s[24:25], 0x24
	s_load_b128 s[52:55], s[26:27], 0x0
	s_add_u32 s24, s24, 48
	s_addc_u32 s25, s25, 0
	s_add_i32 s39, s39, 4
	s_add_u32 s26, s26, 16
	s_addc_u32 s27, s27, 0
	s_cmp_eq_u32 s35, s39
	s_waitcnt lgkmcnt(0)
	v_mul_hi_u32 v10, s41, v0
	s_delay_alu instid0(VALU_DEP_1) | instskip(NEXT) | instid1(VALU_DEP_1)
	v_add_nc_u32_e32 v10, v0, v10
	v_lshrrev_b32_e32 v10, s42, v10
	s_delay_alu instid0(VALU_DEP_1) | instskip(SKIP_1) | instid1(VALU_DEP_2)
	v_mul_hi_u32 v11, s44, v10
	v_mul_lo_u32 v42, v10, s40
	v_add_nc_u32_e32 v11, v10, v11
	s_delay_alu instid0(VALU_DEP_2) | instskip(NEXT) | instid1(VALU_DEP_2)
	v_sub_nc_u32_e32 v42, v0, v42
	v_lshrrev_b32_e32 v11, s45, v11
	s_delay_alu instid0(VALU_DEP_2) | instskip(NEXT) | instid1(VALU_DEP_2)
	v_mul_lo_u32 v42, v42, s52
	v_mul_hi_u32 v12, s47, v11
	v_mul_lo_u32 v43, v11, s43
	s_delay_alu instid0(VALU_DEP_2) | instskip(NEXT) | instid1(VALU_DEP_2)
	v_add_nc_u32_e32 v12, v11, v12
	v_sub_nc_u32_e32 v10, v10, v43
	s_delay_alu instid0(VALU_DEP_2) | instskip(NEXT) | instid1(VALU_DEP_2)
	v_lshrrev_b32_e32 v12, s48, v12
	v_mul_lo_u32 v10, v10, s53
	s_delay_alu instid0(VALU_DEP_2) | instskip(NEXT) | instid1(VALU_DEP_2)
	v_mul_hi_u32 v18, s50, v12
	v_add3_u32 v2, v42, v2, v10
	s_delay_alu instid0(VALU_DEP_2) | instskip(NEXT) | instid1(VALU_DEP_1)
	v_add_nc_u32_e32 v18, v12, v18
	v_lshrrev_b32_e32 v0, s51, v18
	v_mul_lo_u32 v18, v12, s46
	s_delay_alu instid0(VALU_DEP_2) | instskip(NEXT) | instid1(VALU_DEP_2)
	v_mul_lo_u32 v44, v0, s49
	v_sub_nc_u32_e32 v11, v11, v18
	s_delay_alu instid0(VALU_DEP_2) | instskip(NEXT) | instid1(VALU_DEP_2)
	v_sub_nc_u32_e32 v12, v12, v44
	v_mul_lo_u32 v11, v11, s54
	s_delay_alu instid0(VALU_DEP_2) | instskip(NEXT) | instid1(VALU_DEP_1)
	v_mul_lo_u32 v12, v12, s55
	v_add3_u32 v2, v11, v2, v12
	s_cbranch_scc0 .LBB11_41
; %bb.42:                               ;   in Loop: Header=BB11_9 Depth=1
	s_mov_b32 s24, s35
	s_and_not1_b32 vcc_lo, exec_lo, s37
	s_cbranch_vccz .LBB11_45
	s_branch .LBB11_47
.LBB11_43:                              ;   in Loop: Header=BB11_9 Depth=1
                                        ; implicit-def: $vgpr2
	s_branch .LBB11_48
.LBB11_44:                              ;   in Loop: Header=BB11_9 Depth=1
	v_mov_b32_e32 v0, v9
	s_and_not1_b32 vcc_lo, exec_lo, s37
	s_cbranch_vccnz .LBB11_47
.LBB11_45:                              ;   in Loop: Header=BB11_9 Depth=1
	s_lshl_b32 s25, s24, 2
	s_mul_i32 s26, s24, 12
	s_add_u32 s24, s0, s25
	s_addc_u32 s25, s1, 0
	s_add_u32 s26, s18, s26
	s_addc_u32 s27, s19, 0
	s_mov_b32 s39, s33
	.p2align	6
.LBB11_46:                              ;   Parent Loop BB11_9 Depth=1
                                        ; =>  This Inner Loop Header: Depth=2
	s_clause 0x1
	s_load_b64 s[40:41], s[26:27], 0x4
	s_load_b32 s42, s[26:27], 0xc
	s_add_u32 s26, s26, 12
	s_addc_u32 s27, s27, 0
	s_waitcnt lgkmcnt(0)
	v_mul_hi_u32 v10, s41, v0
	s_load_b32 s41, s[24:25], 0x0
	s_add_u32 s24, s24, 4
	s_addc_u32 s25, s25, 0
	s_add_i32 s39, s39, -1
	s_delay_alu instid0(SALU_CYCLE_1) | instskip(NEXT) | instid1(VALU_DEP_1)
	s_cmp_lg_u32 s39, 0
	v_add_nc_u32_e32 v10, v0, v10
	s_delay_alu instid0(VALU_DEP_1) | instskip(NEXT) | instid1(VALU_DEP_1)
	v_lshrrev_b32_e32 v12, s42, v10
	v_mul_lo_u32 v10, v12, s40
	s_delay_alu instid0(VALU_DEP_1) | instskip(SKIP_1) | instid1(VALU_DEP_1)
	v_sub_nc_u32_e32 v0, v0, v10
	s_waitcnt lgkmcnt(0)
	v_mad_u64_u32 v[10:11], null, v0, s41, v[2:3]
	v_mov_b32_e32 v0, v12
	s_delay_alu instid0(VALU_DEP_2)
	v_mov_b32_e32 v2, v10
	s_cbranch_scc1 .LBB11_46
.LBB11_47:                              ;   in Loop: Header=BB11_9 Depth=1
	s_cbranch_execnz .LBB11_50
.LBB11_48:                              ;   in Loop: Header=BB11_9 Depth=1
	v_mul_hi_u32 v0, v9, s6
	s_and_not1_b32 vcc_lo, exec_lo, s4
	s_delay_alu instid0(VALU_DEP_1) | instskip(NEXT) | instid1(VALU_DEP_1)
	v_add_nc_u32_e32 v0, v0, v9
	v_lshrrev_b32_e32 v0, s7, v0
	s_delay_alu instid0(VALU_DEP_1) | instskip(NEXT) | instid1(VALU_DEP_1)
	v_mul_lo_u32 v2, v0, s5
	v_sub_nc_u32_e32 v2, v9, v2
	s_delay_alu instid0(VALU_DEP_1)
	v_mul_lo_u32 v2, v2, s22
	s_cbranch_vccnz .LBB11_50
; %bb.49:                               ;   in Loop: Header=BB11_9 Depth=1
	v_mul_hi_u32 v9, s9, v0
	s_delay_alu instid0(VALU_DEP_1) | instskip(NEXT) | instid1(VALU_DEP_1)
	v_add_nc_u32_e32 v9, v0, v9
	v_lshrrev_b32_e32 v9, s10, v9
	s_delay_alu instid0(VALU_DEP_1) | instskip(NEXT) | instid1(VALU_DEP_1)
	v_mul_lo_u32 v9, v9, s8
	v_sub_nc_u32_e32 v0, v0, v9
	s_delay_alu instid0(VALU_DEP_1) | instskip(NEXT) | instid1(VALU_DEP_1)
	v_mad_u64_u32 v[9:10], null, v0, s23, v[2:3]
	v_mov_b32_e32 v2, v9
.LBB11_50:                              ;   in Loop: Header=BB11_9 Depth=1
	v_mov_b32_e32 v0, v3
	s_mov_b32 s24, exec_lo
	s_delay_alu instid0(VALU_DEP_1)
	v_cmpx_le_u64_e64 s[14:15], v[0:1]
	s_cbranch_execz .LBB11_52
; %bb.51:                               ;   in Loop: Header=BB11_9 Depth=1
	v_cvt_f32_u32_e32 v3, s14
	s_sub_i32 s25, 0, s14
	s_delay_alu instid0(VALU_DEP_1) | instskip(SKIP_2) | instid1(VALU_DEP_1)
	v_rcp_iflag_f32_e32 v3, v3
	s_waitcnt_depctr 0xfff
	v_mul_f32_e32 v3, 0x4f7ffffe, v3
	v_cvt_u32_f32_e32 v3, v3
	s_delay_alu instid0(VALU_DEP_1) | instskip(NEXT) | instid1(VALU_DEP_1)
	v_mul_lo_u32 v9, s25, v3
	v_mul_hi_u32 v9, v3, v9
	s_delay_alu instid0(VALU_DEP_1) | instskip(NEXT) | instid1(VALU_DEP_1)
	v_add_nc_u32_e32 v3, v3, v9
	v_mul_hi_u32 v3, v0, v3
	s_delay_alu instid0(VALU_DEP_1) | instskip(NEXT) | instid1(VALU_DEP_1)
	v_mul_lo_u32 v3, v3, s14
	v_sub_nc_u32_e32 v0, v0, v3
	s_delay_alu instid0(VALU_DEP_1) | instskip(SKIP_1) | instid1(VALU_DEP_2)
	v_subrev_nc_u32_e32 v3, s14, v0
	v_cmp_le_u32_e32 vcc_lo, s14, v0
	v_cndmask_b32_e32 v0, v0, v3, vcc_lo
	s_delay_alu instid0(VALU_DEP_1) | instskip(SKIP_1) | instid1(VALU_DEP_2)
	v_subrev_nc_u32_e32 v3, s14, v0
	v_cmp_le_u32_e32 vcc_lo, s14, v0
	v_cndmask_b32_e32 v0, v0, v3, vcc_lo
.LBB11_52:                              ;   in Loop: Header=BB11_9 Depth=1
	s_or_b32 exec_lo, exec_lo, s24
	s_delay_alu instid0(VALU_DEP_1)
	v_add_nc_u32_e32 v0, s20, v0
	global_store_b32 v2, v0, s[12:13]
.LBB11_53:                              ;   in Loop: Header=BB11_9 Depth=1
	s_or_b32 exec_lo, exec_lo, s38
	v_add_co_u32 v9, vcc_lo, v15, s31
	v_add_co_ci_u32_e32 v10, vcc_lo, 0, v16, vcc_lo
	s_mov_b32 s38, exec_lo
	s_delay_alu instid0(VALU_DEP_1)
	v_cmpx_gt_i64_e64 s[16:17], v[9:10]
	s_cbranch_execz .LBB11_70
; %bb.54:                               ;   in Loop: Header=BB11_9 Depth=1
	s_and_not1_b32 vcc_lo, exec_lo, s11
	s_cbranch_vccnz .LBB11_60
; %bb.55:                               ;   in Loop: Header=BB11_9 Depth=1
	v_mov_b32_e32 v2, 0
	s_and_not1_b32 vcc_lo, exec_lo, s21
	s_cbranch_vccnz .LBB11_64
; %bb.56:                               ;   in Loop: Header=BB11_9 Depth=1
	s_and_not1_b32 vcc_lo, exec_lo, s34
	s_mov_b32 s24, 0
	s_cbranch_vccnz .LBB11_61
; %bb.57:                               ;   in Loop: Header=BB11_9 Depth=1
	v_mov_b32_e32 v2, 0
	v_mov_b32_e32 v0, v9
	s_mov_b32 s39, 0
	s_mov_b64 s[24:25], s[18:19]
	s_mov_b64 s[26:27], s[0:1]
.LBB11_58:                              ;   Parent Loop BB11_9 Depth=1
                                        ; =>  This Inner Loop Header: Depth=2
	s_clause 0x1
	s_load_b256 s[40:47], s[24:25], 0x4
	s_load_b128 s[48:51], s[24:25], 0x24
	s_load_b128 s[52:55], s[26:27], 0x0
	s_add_u32 s24, s24, 48
	s_addc_u32 s25, s25, 0
	s_add_i32 s39, s39, 4
	s_add_u32 s26, s26, 16
	s_addc_u32 s27, s27, 0
	s_cmp_eq_u32 s35, s39
	s_waitcnt lgkmcnt(0)
	v_mul_hi_u32 v3, s41, v0
	s_delay_alu instid0(VALU_DEP_1) | instskip(NEXT) | instid1(VALU_DEP_1)
	v_add_nc_u32_e32 v3, v0, v3
	v_lshrrev_b32_e32 v3, s42, v3
	s_delay_alu instid0(VALU_DEP_1) | instskip(SKIP_1) | instid1(VALU_DEP_2)
	v_mul_hi_u32 v10, s44, v3
	v_mul_lo_u32 v18, v3, s40
	v_add_nc_u32_e32 v10, v3, v10
	s_delay_alu instid0(VALU_DEP_2) | instskip(NEXT) | instid1(VALU_DEP_2)
	v_sub_nc_u32_e32 v18, v0, v18
	v_lshrrev_b32_e32 v10, s45, v10
	s_delay_alu instid0(VALU_DEP_2) | instskip(NEXT) | instid1(VALU_DEP_2)
	v_mul_lo_u32 v18, v18, s52
	v_mul_hi_u32 v11, s47, v10
	v_mul_lo_u32 v42, v10, s43
	s_delay_alu instid0(VALU_DEP_2) | instskip(NEXT) | instid1(VALU_DEP_2)
	v_add_nc_u32_e32 v11, v10, v11
	v_sub_nc_u32_e32 v3, v3, v42
	s_delay_alu instid0(VALU_DEP_2) | instskip(NEXT) | instid1(VALU_DEP_2)
	v_lshrrev_b32_e32 v11, s48, v11
	v_mul_lo_u32 v3, v3, s53
	s_delay_alu instid0(VALU_DEP_2) | instskip(NEXT) | instid1(VALU_DEP_2)
	v_mul_hi_u32 v12, s50, v11
	v_add3_u32 v2, v18, v2, v3
	s_delay_alu instid0(VALU_DEP_2) | instskip(NEXT) | instid1(VALU_DEP_1)
	v_add_nc_u32_e32 v12, v11, v12
	v_lshrrev_b32_e32 v0, s51, v12
	v_mul_lo_u32 v12, v11, s46
	s_delay_alu instid0(VALU_DEP_2) | instskip(NEXT) | instid1(VALU_DEP_2)
	v_mul_lo_u32 v43, v0, s49
	v_sub_nc_u32_e32 v10, v10, v12
	s_delay_alu instid0(VALU_DEP_2) | instskip(NEXT) | instid1(VALU_DEP_2)
	v_sub_nc_u32_e32 v11, v11, v43
	v_mul_lo_u32 v10, v10, s54
	s_delay_alu instid0(VALU_DEP_2) | instskip(NEXT) | instid1(VALU_DEP_1)
	v_mul_lo_u32 v11, v11, s55
	v_add3_u32 v2, v10, v2, v11
	s_cbranch_scc0 .LBB11_58
; %bb.59:                               ;   in Loop: Header=BB11_9 Depth=1
	s_mov_b32 s24, s35
	s_and_not1_b32 vcc_lo, exec_lo, s37
	s_cbranch_vccz .LBB11_62
	s_branch .LBB11_64
.LBB11_60:                              ;   in Loop: Header=BB11_9 Depth=1
                                        ; implicit-def: $vgpr2
	s_branch .LBB11_65
.LBB11_61:                              ;   in Loop: Header=BB11_9 Depth=1
	v_mov_b32_e32 v0, v9
	s_and_not1_b32 vcc_lo, exec_lo, s37
	s_cbranch_vccnz .LBB11_64
.LBB11_62:                              ;   in Loop: Header=BB11_9 Depth=1
	s_lshl_b32 s25, s24, 2
	s_mul_i32 s26, s24, 12
	s_add_u32 s24, s0, s25
	s_addc_u32 s25, s1, 0
	s_add_u32 s26, s18, s26
	s_addc_u32 s27, s19, 0
	s_mov_b32 s39, s33
	.p2align	6
.LBB11_63:                              ;   Parent Loop BB11_9 Depth=1
                                        ; =>  This Inner Loop Header: Depth=2
	s_clause 0x1
	s_load_b64 s[40:41], s[26:27], 0x4
	s_load_b32 s42, s[26:27], 0xc
	s_add_u32 s26, s26, 12
	s_addc_u32 s27, s27, 0
	s_waitcnt lgkmcnt(0)
	v_mul_hi_u32 v3, s41, v0
	s_load_b32 s41, s[24:25], 0x0
	s_add_u32 s24, s24, 4
	s_addc_u32 s25, s25, 0
	s_add_i32 s39, s39, -1
	s_delay_alu instid0(SALU_CYCLE_1) | instskip(NEXT) | instid1(VALU_DEP_1)
	s_cmp_lg_u32 s39, 0
	v_add_nc_u32_e32 v3, v0, v3
	s_delay_alu instid0(VALU_DEP_1) | instskip(NEXT) | instid1(VALU_DEP_1)
	v_lshrrev_b32_e32 v3, s42, v3
	v_mul_lo_u32 v10, v3, s40
	s_delay_alu instid0(VALU_DEP_1) | instskip(SKIP_1) | instid1(VALU_DEP_1)
	v_sub_nc_u32_e32 v0, v0, v10
	s_waitcnt lgkmcnt(0)
	v_mad_u64_u32 v[10:11], null, v0, s41, v[2:3]
	v_mov_b32_e32 v0, v3
	s_delay_alu instid0(VALU_DEP_2)
	v_mov_b32_e32 v2, v10
	s_cbranch_scc1 .LBB11_63
.LBB11_64:                              ;   in Loop: Header=BB11_9 Depth=1
	s_cbranch_execnz .LBB11_67
.LBB11_65:                              ;   in Loop: Header=BB11_9 Depth=1
	v_mul_hi_u32 v0, v9, s6
	s_and_not1_b32 vcc_lo, exec_lo, s4
	s_delay_alu instid0(VALU_DEP_1) | instskip(NEXT) | instid1(VALU_DEP_1)
	v_add_nc_u32_e32 v0, v0, v9
	v_lshrrev_b32_e32 v0, s7, v0
	s_delay_alu instid0(VALU_DEP_1) | instskip(NEXT) | instid1(VALU_DEP_1)
	v_mul_lo_u32 v2, v0, s5
	v_sub_nc_u32_e32 v2, v9, v2
	s_delay_alu instid0(VALU_DEP_1)
	v_mul_lo_u32 v2, v2, s22
	s_cbranch_vccnz .LBB11_67
; %bb.66:                               ;   in Loop: Header=BB11_9 Depth=1
	v_mul_hi_u32 v3, s9, v0
	s_delay_alu instid0(VALU_DEP_1) | instskip(NEXT) | instid1(VALU_DEP_1)
	v_add_nc_u32_e32 v3, v0, v3
	v_lshrrev_b32_e32 v3, s10, v3
	s_delay_alu instid0(VALU_DEP_1) | instskip(NEXT) | instid1(VALU_DEP_1)
	v_mul_lo_u32 v3, v3, s8
	v_sub_nc_u32_e32 v0, v0, v3
	s_delay_alu instid0(VALU_DEP_1) | instskip(NEXT) | instid1(VALU_DEP_1)
	v_mad_u64_u32 v[9:10], null, v0, s23, v[2:3]
	v_mov_b32_e32 v2, v9
.LBB11_67:                              ;   in Loop: Header=BB11_9 Depth=1
	v_mov_b32_e32 v0, v4
	s_mov_b32 s24, exec_lo
	s_delay_alu instid0(VALU_DEP_1)
	v_cmpx_le_u64_e64 s[14:15], v[0:1]
	s_cbranch_execz .LBB11_69
; %bb.68:                               ;   in Loop: Header=BB11_9 Depth=1
	v_cvt_f32_u32_e32 v3, s14
	s_sub_i32 s25, 0, s14
	s_delay_alu instid0(VALU_DEP_1) | instskip(SKIP_2) | instid1(VALU_DEP_1)
	v_rcp_iflag_f32_e32 v3, v3
	s_waitcnt_depctr 0xfff
	v_mul_f32_e32 v3, 0x4f7ffffe, v3
	v_cvt_u32_f32_e32 v3, v3
	s_delay_alu instid0(VALU_DEP_1) | instskip(NEXT) | instid1(VALU_DEP_1)
	v_mul_lo_u32 v4, s25, v3
	v_mul_hi_u32 v4, v3, v4
	s_delay_alu instid0(VALU_DEP_1) | instskip(NEXT) | instid1(VALU_DEP_1)
	v_add_nc_u32_e32 v3, v3, v4
	v_mul_hi_u32 v3, v0, v3
	s_delay_alu instid0(VALU_DEP_1) | instskip(NEXT) | instid1(VALU_DEP_1)
	v_mul_lo_u32 v3, v3, s14
	v_sub_nc_u32_e32 v0, v0, v3
	s_delay_alu instid0(VALU_DEP_1) | instskip(SKIP_1) | instid1(VALU_DEP_2)
	v_subrev_nc_u32_e32 v3, s14, v0
	v_cmp_le_u32_e32 vcc_lo, s14, v0
	v_cndmask_b32_e32 v0, v0, v3, vcc_lo
	s_delay_alu instid0(VALU_DEP_1) | instskip(SKIP_1) | instid1(VALU_DEP_2)
	v_subrev_nc_u32_e32 v3, s14, v0
	v_cmp_le_u32_e32 vcc_lo, s14, v0
	v_cndmask_b32_e32 v0, v0, v3, vcc_lo
.LBB11_69:                              ;   in Loop: Header=BB11_9 Depth=1
	s_or_b32 exec_lo, exec_lo, s24
	s_delay_alu instid0(VALU_DEP_1)
	v_add_nc_u32_e32 v0, s20, v0
	global_store_b32 v2, v0, s[12:13]
.LBB11_70:                              ;   in Loop: Header=BB11_9 Depth=1
	s_or_b32 exec_lo, exec_lo, s38
	v_add_co_u32 v3, vcc_lo, v15, s36
	v_add_co_ci_u32_e32 v4, vcc_lo, 0, v16, vcc_lo
	s_mov_b32 s38, exec_lo
	s_delay_alu instid0(VALU_DEP_1)
	v_cmpx_gt_i64_e64 s[16:17], v[3:4]
	s_cbranch_execz .LBB11_8
; %bb.71:                               ;   in Loop: Header=BB11_9 Depth=1
	s_and_not1_b32 vcc_lo, exec_lo, s11
	s_cbranch_vccnz .LBB11_77
; %bb.72:                               ;   in Loop: Header=BB11_9 Depth=1
	v_mov_b32_e32 v2, 0
	s_and_not1_b32 vcc_lo, exec_lo, s21
	s_cbranch_vccnz .LBB11_81
; %bb.73:                               ;   in Loop: Header=BB11_9 Depth=1
	s_and_not1_b32 vcc_lo, exec_lo, s34
	s_mov_b32 s24, 0
	s_cbranch_vccnz .LBB11_78
; %bb.74:                               ;   in Loop: Header=BB11_9 Depth=1
	v_mov_b32_e32 v2, 0
	v_mov_b32_e32 v0, v3
	s_mov_b32 s39, 0
	s_mov_b64 s[24:25], s[18:19]
	s_mov_b64 s[26:27], s[0:1]
.LBB11_75:                              ;   Parent Loop BB11_9 Depth=1
                                        ; =>  This Inner Loop Header: Depth=2
	s_clause 0x1
	s_load_b256 s[40:47], s[24:25], 0x4
	s_load_b128 s[48:51], s[24:25], 0x24
	s_load_b128 s[52:55], s[26:27], 0x0
	s_add_u32 s24, s24, 48
	s_addc_u32 s25, s25, 0
	s_add_i32 s39, s39, 4
	s_add_u32 s26, s26, 16
	s_addc_u32 s27, s27, 0
	s_cmp_eq_u32 s35, s39
	s_waitcnt lgkmcnt(0)
	v_mul_hi_u32 v4, s41, v0
	s_delay_alu instid0(VALU_DEP_1) | instskip(NEXT) | instid1(VALU_DEP_1)
	v_add_nc_u32_e32 v4, v0, v4
	v_lshrrev_b32_e32 v4, s42, v4
	s_delay_alu instid0(VALU_DEP_1) | instskip(SKIP_1) | instid1(VALU_DEP_2)
	v_mul_hi_u32 v9, s44, v4
	v_mul_lo_u32 v12, v4, s40
	v_add_nc_u32_e32 v9, v4, v9
	s_delay_alu instid0(VALU_DEP_2) | instskip(NEXT) | instid1(VALU_DEP_2)
	v_sub_nc_u32_e32 v12, v0, v12
	v_lshrrev_b32_e32 v9, s45, v9
	s_delay_alu instid0(VALU_DEP_2) | instskip(NEXT) | instid1(VALU_DEP_2)
	v_mul_lo_u32 v12, v12, s52
	v_mul_hi_u32 v10, s47, v9
	v_mul_lo_u32 v18, v9, s43
	s_delay_alu instid0(VALU_DEP_2) | instskip(NEXT) | instid1(VALU_DEP_2)
	v_add_nc_u32_e32 v10, v9, v10
	v_sub_nc_u32_e32 v4, v4, v18
	s_delay_alu instid0(VALU_DEP_2) | instskip(NEXT) | instid1(VALU_DEP_2)
	v_lshrrev_b32_e32 v10, s48, v10
	v_mul_lo_u32 v4, v4, s53
	s_delay_alu instid0(VALU_DEP_2) | instskip(NEXT) | instid1(VALU_DEP_2)
	v_mul_hi_u32 v11, s50, v10
	v_add3_u32 v2, v12, v2, v4
	s_delay_alu instid0(VALU_DEP_2) | instskip(NEXT) | instid1(VALU_DEP_1)
	v_add_nc_u32_e32 v11, v10, v11
	v_lshrrev_b32_e32 v0, s51, v11
	v_mul_lo_u32 v11, v10, s46
	s_delay_alu instid0(VALU_DEP_2) | instskip(NEXT) | instid1(VALU_DEP_2)
	v_mul_lo_u32 v42, v0, s49
	v_sub_nc_u32_e32 v9, v9, v11
	s_delay_alu instid0(VALU_DEP_2) | instskip(NEXT) | instid1(VALU_DEP_2)
	v_sub_nc_u32_e32 v10, v10, v42
	v_mul_lo_u32 v9, v9, s54
	s_delay_alu instid0(VALU_DEP_2) | instskip(NEXT) | instid1(VALU_DEP_1)
	v_mul_lo_u32 v10, v10, s55
	v_add3_u32 v2, v9, v2, v10
	s_cbranch_scc0 .LBB11_75
; %bb.76:                               ;   in Loop: Header=BB11_9 Depth=1
	s_mov_b32 s24, s35
	s_and_not1_b32 vcc_lo, exec_lo, s37
	s_cbranch_vccz .LBB11_79
	s_branch .LBB11_81
.LBB11_77:                              ;   in Loop: Header=BB11_9 Depth=1
                                        ; implicit-def: $vgpr2
	s_branch .LBB11_82
.LBB11_78:                              ;   in Loop: Header=BB11_9 Depth=1
	v_mov_b32_e32 v0, v3
	s_and_not1_b32 vcc_lo, exec_lo, s37
	s_cbranch_vccnz .LBB11_81
.LBB11_79:                              ;   in Loop: Header=BB11_9 Depth=1
	s_lshl_b32 s25, s24, 2
	s_mul_i32 s26, s24, 12
	s_add_u32 s24, s0, s25
	s_addc_u32 s25, s1, 0
	s_add_u32 s26, s18, s26
	s_addc_u32 s27, s19, 0
	s_mov_b32 s39, s33
	.p2align	6
.LBB11_80:                              ;   Parent Loop BB11_9 Depth=1
                                        ; =>  This Inner Loop Header: Depth=2
	s_clause 0x1
	s_load_b64 s[40:41], s[26:27], 0x4
	s_load_b32 s42, s[26:27], 0xc
	s_add_u32 s26, s26, 12
	s_addc_u32 s27, s27, 0
	s_waitcnt lgkmcnt(0)
	v_mul_hi_u32 v4, s41, v0
	s_load_b32 s41, s[24:25], 0x0
	s_add_u32 s24, s24, 4
	s_addc_u32 s25, s25, 0
	s_add_i32 s39, s39, -1
	s_delay_alu instid0(SALU_CYCLE_1) | instskip(NEXT) | instid1(VALU_DEP_1)
	s_cmp_lg_u32 s39, 0
	v_add_nc_u32_e32 v4, v0, v4
	s_delay_alu instid0(VALU_DEP_1) | instskip(NEXT) | instid1(VALU_DEP_1)
	v_lshrrev_b32_e32 v4, s42, v4
	v_mul_lo_u32 v9, v4, s40
	s_delay_alu instid0(VALU_DEP_1) | instskip(SKIP_1) | instid1(VALU_DEP_1)
	v_sub_nc_u32_e32 v0, v0, v9
	s_waitcnt lgkmcnt(0)
	v_mad_u64_u32 v[9:10], null, v0, s41, v[2:3]
	v_mov_b32_e32 v0, v4
	s_delay_alu instid0(VALU_DEP_2)
	v_mov_b32_e32 v2, v9
	s_cbranch_scc1 .LBB11_80
.LBB11_81:                              ;   in Loop: Header=BB11_9 Depth=1
	s_cbranch_execnz .LBB11_84
.LBB11_82:                              ;   in Loop: Header=BB11_9 Depth=1
	v_mul_hi_u32 v0, v3, s6
	s_and_not1_b32 vcc_lo, exec_lo, s4
	s_delay_alu instid0(VALU_DEP_1) | instskip(NEXT) | instid1(VALU_DEP_1)
	v_add_nc_u32_e32 v0, v0, v3
	v_lshrrev_b32_e32 v0, s7, v0
	s_delay_alu instid0(VALU_DEP_1) | instskip(NEXT) | instid1(VALU_DEP_1)
	v_mul_lo_u32 v2, v0, s5
	v_sub_nc_u32_e32 v2, v3, v2
	s_delay_alu instid0(VALU_DEP_1)
	v_mul_lo_u32 v2, v2, s22
	s_cbranch_vccnz .LBB11_84
; %bb.83:                               ;   in Loop: Header=BB11_9 Depth=1
	v_mul_hi_u32 v3, s9, v0
	s_delay_alu instid0(VALU_DEP_1) | instskip(NEXT) | instid1(VALU_DEP_1)
	v_add_nc_u32_e32 v3, v0, v3
	v_lshrrev_b32_e32 v3, s10, v3
	s_delay_alu instid0(VALU_DEP_1) | instskip(NEXT) | instid1(VALU_DEP_1)
	v_mul_lo_u32 v3, v3, s8
	v_sub_nc_u32_e32 v0, v0, v3
	s_delay_alu instid0(VALU_DEP_1) | instskip(NEXT) | instid1(VALU_DEP_1)
	v_mad_u64_u32 v[3:4], null, v0, s23, v[2:3]
	v_mov_b32_e32 v2, v3
.LBB11_84:                              ;   in Loop: Header=BB11_9 Depth=1
	v_mov_b32_e32 v0, v5
	s_mov_b32 s24, exec_lo
	s_delay_alu instid0(VALU_DEP_1)
	v_cmpx_le_u64_e64 s[14:15], v[0:1]
	s_cbranch_execz .LBB11_7
; %bb.85:                               ;   in Loop: Header=BB11_9 Depth=1
	v_cvt_f32_u32_e32 v3, s14
	s_sub_i32 s25, 0, s14
	s_delay_alu instid0(VALU_DEP_1) | instskip(SKIP_2) | instid1(VALU_DEP_1)
	v_rcp_iflag_f32_e32 v3, v3
	s_waitcnt_depctr 0xfff
	v_mul_f32_e32 v3, 0x4f7ffffe, v3
	v_cvt_u32_f32_e32 v3, v3
	s_delay_alu instid0(VALU_DEP_1) | instskip(NEXT) | instid1(VALU_DEP_1)
	v_mul_lo_u32 v4, s25, v3
	v_mul_hi_u32 v4, v3, v4
	s_delay_alu instid0(VALU_DEP_1) | instskip(NEXT) | instid1(VALU_DEP_1)
	v_add_nc_u32_e32 v3, v3, v4
	v_mul_hi_u32 v3, v0, v3
	s_delay_alu instid0(VALU_DEP_1) | instskip(NEXT) | instid1(VALU_DEP_1)
	v_mul_lo_u32 v3, v3, s14
	v_sub_nc_u32_e32 v0, v0, v3
	s_delay_alu instid0(VALU_DEP_1) | instskip(SKIP_1) | instid1(VALU_DEP_2)
	v_subrev_nc_u32_e32 v3, s14, v0
	v_cmp_le_u32_e32 vcc_lo, s14, v0
	v_cndmask_b32_e32 v0, v0, v3, vcc_lo
	s_delay_alu instid0(VALU_DEP_1) | instskip(SKIP_1) | instid1(VALU_DEP_2)
	v_subrev_nc_u32_e32 v3, s14, v0
	v_cmp_le_u32_e32 vcc_lo, s14, v0
	v_cndmask_b32_e32 v0, v0, v3, vcc_lo
	s_branch .LBB11_7
.LBB11_86:
	s_endpgm
.LBB11_87:
                                        ; implicit-def: $sgpr2_sgpr3
	s_branch .LBB11_4
	.section	.rodata,"a",@progbits
	.p2align	6, 0x0
	.amdhsa_kernel _ZN2at6native12_GLOBAL__N_143distribution_elementwise_grid_stride_kernelIjLi4EZZZNS0_9templates4cuda21random_from_to_kernelIPNS_17CUDAGeneratorImplEEEvRNS_18TensorIteratorBaseEmlT_ENKUlvE_clEvENKUlvE1_clEvEUlP25hiprandStatePhilox4_32_10E0_ZNS1_27distribution_nullary_kernelIij15HIP_vector_typeIjLj4EES7_SF_ZZZNS5_IS7_EEvS9_mlSA_ENKSB_clEvENKSC_clEvEUljE_EEvS9_T2_RKT3_T4_EUlijE0_EEvlNS_15PhiloxCudaStateET1_SK_
		.amdhsa_group_segment_fixed_size 0
		.amdhsa_private_segment_fixed_size 0
		.amdhsa_kernarg_size 592
		.amdhsa_user_sgpr_count 15
		.amdhsa_user_sgpr_dispatch_ptr 0
		.amdhsa_user_sgpr_queue_ptr 0
		.amdhsa_user_sgpr_kernarg_segment_ptr 1
		.amdhsa_user_sgpr_dispatch_id 0
		.amdhsa_user_sgpr_private_segment_size 0
		.amdhsa_wavefront_size32 1
		.amdhsa_uses_dynamic_stack 0
		.amdhsa_enable_private_segment 0
		.amdhsa_system_sgpr_workgroup_id_x 1
		.amdhsa_system_sgpr_workgroup_id_y 0
		.amdhsa_system_sgpr_workgroup_id_z 0
		.amdhsa_system_sgpr_workgroup_info 0
		.amdhsa_system_vgpr_workitem_id 0
		.amdhsa_next_free_vgpr 45
		.amdhsa_next_free_sgpr 56
		.amdhsa_reserve_vcc 1
		.amdhsa_float_round_mode_32 0
		.amdhsa_float_round_mode_16_64 0
		.amdhsa_float_denorm_mode_32 3
		.amdhsa_float_denorm_mode_16_64 3
		.amdhsa_dx10_clamp 1
		.amdhsa_ieee_mode 1
		.amdhsa_fp16_overflow 0
		.amdhsa_workgroup_processor_mode 1
		.amdhsa_memory_ordered 1
		.amdhsa_forward_progress 0
		.amdhsa_shared_vgpr_count 0
		.amdhsa_exception_fp_ieee_invalid_op 0
		.amdhsa_exception_fp_denorm_src 0
		.amdhsa_exception_fp_ieee_div_zero 0
		.amdhsa_exception_fp_ieee_overflow 0
		.amdhsa_exception_fp_ieee_underflow 0
		.amdhsa_exception_fp_ieee_inexact 0
		.amdhsa_exception_int_div_zero 0
	.end_amdhsa_kernel
	.section	.text._ZN2at6native12_GLOBAL__N_143distribution_elementwise_grid_stride_kernelIjLi4EZZZNS0_9templates4cuda21random_from_to_kernelIPNS_17CUDAGeneratorImplEEEvRNS_18TensorIteratorBaseEmlT_ENKUlvE_clEvENKUlvE1_clEvEUlP25hiprandStatePhilox4_32_10E0_ZNS1_27distribution_nullary_kernelIij15HIP_vector_typeIjLj4EES7_SF_ZZZNS5_IS7_EEvS9_mlSA_ENKSB_clEvENKSC_clEvEUljE_EEvS9_T2_RKT3_T4_EUlijE0_EEvlNS_15PhiloxCudaStateET1_SK_,"axG",@progbits,_ZN2at6native12_GLOBAL__N_143distribution_elementwise_grid_stride_kernelIjLi4EZZZNS0_9templates4cuda21random_from_to_kernelIPNS_17CUDAGeneratorImplEEEvRNS_18TensorIteratorBaseEmlT_ENKUlvE_clEvENKUlvE1_clEvEUlP25hiprandStatePhilox4_32_10E0_ZNS1_27distribution_nullary_kernelIij15HIP_vector_typeIjLj4EES7_SF_ZZZNS5_IS7_EEvS9_mlSA_ENKSB_clEvENKSC_clEvEUljE_EEvS9_T2_RKT3_T4_EUlijE0_EEvlNS_15PhiloxCudaStateET1_SK_,comdat
.Lfunc_end11:
	.size	_ZN2at6native12_GLOBAL__N_143distribution_elementwise_grid_stride_kernelIjLi4EZZZNS0_9templates4cuda21random_from_to_kernelIPNS_17CUDAGeneratorImplEEEvRNS_18TensorIteratorBaseEmlT_ENKUlvE_clEvENKUlvE1_clEvEUlP25hiprandStatePhilox4_32_10E0_ZNS1_27distribution_nullary_kernelIij15HIP_vector_typeIjLj4EES7_SF_ZZZNS5_IS7_EEvS9_mlSA_ENKSB_clEvENKSC_clEvEUljE_EEvS9_T2_RKT3_T4_EUlijE0_EEvlNS_15PhiloxCudaStateET1_SK_, .Lfunc_end11-_ZN2at6native12_GLOBAL__N_143distribution_elementwise_grid_stride_kernelIjLi4EZZZNS0_9templates4cuda21random_from_to_kernelIPNS_17CUDAGeneratorImplEEEvRNS_18TensorIteratorBaseEmlT_ENKUlvE_clEvENKUlvE1_clEvEUlP25hiprandStatePhilox4_32_10E0_ZNS1_27distribution_nullary_kernelIij15HIP_vector_typeIjLj4EES7_SF_ZZZNS5_IS7_EEvS9_mlSA_ENKSB_clEvENKSC_clEvEUljE_EEvS9_T2_RKT3_T4_EUlijE0_EEvlNS_15PhiloxCudaStateET1_SK_
                                        ; -- End function
	.section	.AMDGPU.csdata,"",@progbits
; Kernel info:
; codeLenInByte = 5748
; NumSgprs: 58
; NumVgprs: 45
; ScratchSize: 0
; MemoryBound: 0
; FloatMode: 240
; IeeeMode: 1
; LDSByteSize: 0 bytes/workgroup (compile time only)
; SGPRBlocks: 7
; VGPRBlocks: 5
; NumSGPRsForWavesPerEU: 58
; NumVGPRsForWavesPerEU: 45
; Occupancy: 16
; WaveLimiterHint : 1
; COMPUTE_PGM_RSRC2:SCRATCH_EN: 0
; COMPUTE_PGM_RSRC2:USER_SGPR: 15
; COMPUTE_PGM_RSRC2:TRAP_HANDLER: 0
; COMPUTE_PGM_RSRC2:TGID_X_EN: 1
; COMPUTE_PGM_RSRC2:TGID_Y_EN: 0
; COMPUTE_PGM_RSRC2:TGID_Z_EN: 0
; COMPUTE_PGM_RSRC2:TIDIG_COMP_CNT: 0
	.section	.text._ZN2at6native12_GLOBAL__N_143distribution_elementwise_grid_stride_kernelImLi2EZZZNS0_9templates4cuda21random_from_to_kernelIPNS_17CUDAGeneratorImplEEEvRNS_18TensorIteratorBaseEmlT_ENKUlvE_clEvENKUlvE2_clEvEUlP25hiprandStatePhilox4_32_10E_ZNS1_27distribution_nullary_kernelIlm15HIP_vector_typeIyLj2EES7_SF_ZZZNS5_IS7_EEvS9_mlSA_ENKSB_clEvENKSC_clEvEUlmE_EEvS9_T2_RKT3_T4_EUlimE_EEvlNS_15PhiloxCudaStateET1_SK_,"axG",@progbits,_ZN2at6native12_GLOBAL__N_143distribution_elementwise_grid_stride_kernelImLi2EZZZNS0_9templates4cuda21random_from_to_kernelIPNS_17CUDAGeneratorImplEEEvRNS_18TensorIteratorBaseEmlT_ENKUlvE_clEvENKUlvE2_clEvEUlP25hiprandStatePhilox4_32_10E_ZNS1_27distribution_nullary_kernelIlm15HIP_vector_typeIyLj2EES7_SF_ZZZNS5_IS7_EEvS9_mlSA_ENKSB_clEvENKSC_clEvEUlmE_EEvS9_T2_RKT3_T4_EUlimE_EEvlNS_15PhiloxCudaStateET1_SK_,comdat
	.globl	_ZN2at6native12_GLOBAL__N_143distribution_elementwise_grid_stride_kernelImLi2EZZZNS0_9templates4cuda21random_from_to_kernelIPNS_17CUDAGeneratorImplEEEvRNS_18TensorIteratorBaseEmlT_ENKUlvE_clEvENKUlvE2_clEvEUlP25hiprandStatePhilox4_32_10E_ZNS1_27distribution_nullary_kernelIlm15HIP_vector_typeIyLj2EES7_SF_ZZZNS5_IS7_EEvS9_mlSA_ENKSB_clEvENKSC_clEvEUlmE_EEvS9_T2_RKT3_T4_EUlimE_EEvlNS_15PhiloxCudaStateET1_SK_ ; -- Begin function _ZN2at6native12_GLOBAL__N_143distribution_elementwise_grid_stride_kernelImLi2EZZZNS0_9templates4cuda21random_from_to_kernelIPNS_17CUDAGeneratorImplEEEvRNS_18TensorIteratorBaseEmlT_ENKUlvE_clEvENKUlvE2_clEvEUlP25hiprandStatePhilox4_32_10E_ZNS1_27distribution_nullary_kernelIlm15HIP_vector_typeIyLj2EES7_SF_ZZZNS5_IS7_EEvS9_mlSA_ENKSB_clEvENKSC_clEvEUlmE_EEvS9_T2_RKT3_T4_EUlimE_EEvlNS_15PhiloxCudaStateET1_SK_
	.p2align	8
	.type	_ZN2at6native12_GLOBAL__N_143distribution_elementwise_grid_stride_kernelImLi2EZZZNS0_9templates4cuda21random_from_to_kernelIPNS_17CUDAGeneratorImplEEEvRNS_18TensorIteratorBaseEmlT_ENKUlvE_clEvENKUlvE2_clEvEUlP25hiprandStatePhilox4_32_10E_ZNS1_27distribution_nullary_kernelIlm15HIP_vector_typeIyLj2EES7_SF_ZZZNS5_IS7_EEvS9_mlSA_ENKSB_clEvENKSC_clEvEUlmE_EEvS9_T2_RKT3_T4_EUlimE_EEvlNS_15PhiloxCudaStateET1_SK_,@function
_ZN2at6native12_GLOBAL__N_143distribution_elementwise_grid_stride_kernelImLi2EZZZNS0_9templates4cuda21random_from_to_kernelIPNS_17CUDAGeneratorImplEEEvRNS_18TensorIteratorBaseEmlT_ENKUlvE_clEvENKUlvE2_clEvEUlP25hiprandStatePhilox4_32_10E_ZNS1_27distribution_nullary_kernelIlm15HIP_vector_typeIyLj2EES7_SF_ZZZNS5_IS7_EEvS9_mlSA_ENKSB_clEvENKSC_clEvEUlmE_EEvS9_T2_RKT3_T4_EUlimE_EEvlNS_15PhiloxCudaStateET1_SK_: ; @_ZN2at6native12_GLOBAL__N_143distribution_elementwise_grid_stride_kernelImLi2EZZZNS0_9templates4cuda21random_from_to_kernelIPNS_17CUDAGeneratorImplEEEvRNS_18TensorIteratorBaseEmlT_ENKUlvE_clEvENKUlvE2_clEvEUlP25hiprandStatePhilox4_32_10E_ZNS1_27distribution_nullary_kernelIlm15HIP_vector_typeIyLj2EES7_SF_ZZZNS5_IS7_EEvS9_mlSA_ENKSB_clEvENKSC_clEvEUlmE_EEvS9_T2_RKT3_T4_EUlimE_EEvlNS_15PhiloxCudaStateET1_SK_
; %bb.0:
	s_clause 0x2
	s_load_b64 s[8:9], s[0:1], 0x10
	s_load_b128 s[4:7], s[0:1], 0x0
	s_load_b32 s2, s[0:1], 0x20
	s_waitcnt lgkmcnt(0)
	v_dual_mov_b32 v2, s8 :: v_dual_mov_b32 v3, s9
	v_dual_mov_b32 v12, s7 :: v_dual_mov_b32 v11, s6
	s_bitcmp0_b32 s2, 0
	s_mov_b32 s2, 0
	s_cbranch_scc1 .LBB12_2
; %bb.1:
	v_dual_mov_b32 v1, s8 :: v_dual_mov_b32 v2, s9
	v_dual_mov_b32 v4, s6 :: v_dual_mov_b32 v5, s7
	s_load_b64 s[6:7], s[0:1], 0x18
	flat_load_b64 v[2:3], v[1:2]
	flat_load_b64 v[11:12], v[4:5]
	s_waitcnt vmcnt(1) lgkmcnt(0)
	v_add_co_u32 v2, vcc_lo, v2, s6
	v_add_co_ci_u32_e32 v3, vcc_lo, s7, v3, vcc_lo
.LBB12_2:
	s_clause 0x1
	s_load_b32 s3, s[0:1], 0x5c
	s_load_b32 s16, s[0:1], 0x50
	s_waitcnt lgkmcnt(0)
	s_and_b32 s14, s3, 0xffff
	s_add_u32 s6, s4, -1
	s_mul_i32 s12, s16, s14
	s_addc_u32 s3, s5, -1
	s_lshl_b32 s13, s12, 1
	s_cmp_lg_u64 s[2:3], 0
	s_cbranch_scc0 .LBB12_31
; %bb.3:
	v_cvt_f32_ubyte0_e32 v1, 0
	v_cvt_f32_u32_e32 v4, s13
	s_sub_u32 s8, 0, s13
	s_subb_u32 s9, 0, 0
	s_delay_alu instid0(VALU_DEP_1) | instskip(NEXT) | instid1(VALU_DEP_1)
	v_fmamk_f32 v1, v1, 0x4f800000, v4
	v_rcp_f32_e32 v1, v1
	s_waitcnt_depctr 0xfff
	v_mul_f32_e32 v1, 0x5f7ffffc, v1
	s_delay_alu instid0(VALU_DEP_1) | instskip(NEXT) | instid1(VALU_DEP_1)
	v_mul_f32_e32 v4, 0x2f800000, v1
	v_trunc_f32_e32 v4, v4
	s_delay_alu instid0(VALU_DEP_1) | instskip(SKIP_1) | instid1(VALU_DEP_2)
	v_fmamk_f32 v1, v4, 0xcf800000, v1
	v_cvt_u32_f32_e32 v4, v4
	v_cvt_u32_f32_e32 v1, v1
	s_delay_alu instid0(VALU_DEP_2) | instskip(NEXT) | instid1(VALU_DEP_2)
	v_readfirstlane_b32 s2, v4
	v_readfirstlane_b32 s7, v1
	s_delay_alu instid0(VALU_DEP_2) | instskip(NEXT) | instid1(VALU_DEP_1)
	s_mul_i32 s10, s8, s2
	s_mul_hi_u32 s17, s8, s7
	s_mul_i32 s11, s9, s7
	s_add_i32 s10, s17, s10
	s_mul_i32 s18, s8, s7
	s_add_i32 s10, s10, s11
	s_mul_hi_u32 s17, s7, s18
	s_mul_hi_u32 s19, s2, s18
	s_mul_i32 s11, s2, s18
	s_mul_hi_u32 s18, s7, s10
	s_mul_i32 s7, s7, s10
	s_mul_hi_u32 s20, s2, s10
	s_add_u32 s7, s17, s7
	s_addc_u32 s17, 0, s18
	s_add_u32 s7, s7, s11
	s_mul_i32 s10, s2, s10
	s_addc_u32 s7, s17, s19
	s_addc_u32 s11, s20, 0
	s_add_u32 s7, s7, s10
	s_addc_u32 s10, 0, s11
	v_add_co_u32 v1, s7, v1, s7
	s_delay_alu instid0(VALU_DEP_1) | instskip(SKIP_1) | instid1(VALU_DEP_1)
	s_cmp_lg_u32 s7, 0
	s_addc_u32 s2, s2, s10
	v_readfirstlane_b32 s7, v1
	s_mul_i32 s10, s8, s2
	s_delay_alu instid0(VALU_DEP_1)
	s_mul_hi_u32 s11, s8, s7
	s_mul_i32 s9, s9, s7
	s_add_i32 s10, s11, s10
	s_mul_i32 s8, s8, s7
	s_add_i32 s10, s10, s9
	s_mul_hi_u32 s11, s2, s8
	s_mul_i32 s17, s2, s8
	s_mul_hi_u32 s8, s7, s8
	s_mul_hi_u32 s18, s7, s10
	s_mul_i32 s7, s7, s10
	s_mul_hi_u32 s9, s2, s10
	s_add_u32 s7, s8, s7
	s_addc_u32 s8, 0, s18
	s_add_u32 s7, s7, s17
	s_mul_i32 s10, s2, s10
	s_addc_u32 s7, s8, s11
	s_addc_u32 s8, s9, 0
	s_add_u32 s7, s7, s10
	s_addc_u32 s8, 0, s8
	v_add_co_u32 v1, s7, v1, s7
	s_delay_alu instid0(VALU_DEP_1) | instskip(SKIP_2) | instid1(VALU_DEP_1)
	s_cmp_lg_u32 s7, 0
	s_addc_u32 s7, s2, s8
	s_ashr_i32 s8, s3, 31
	v_readfirstlane_b32 s10, v1
	s_add_u32 s2, s6, s8
	s_mov_b32 s9, s8
	s_addc_u32 s3, s3, s8
	s_delay_alu instid0(SALU_CYCLE_1) | instskip(NEXT) | instid1(SALU_CYCLE_1)
	s_xor_b64 s[2:3], s[2:3], s[8:9]
	s_mul_i32 s17, s2, s7
	s_mul_hi_u32 s18, s2, s10
	s_mul_hi_u32 s11, s2, s7
	;; [unrolled: 1-line block ×3, first 2 shown]
	s_mul_i32 s10, s3, s10
	s_add_u32 s17, s18, s17
	s_addc_u32 s11, 0, s11
	s_mul_hi_u32 s19, s3, s7
	s_add_u32 s10, s17, s10
	s_mul_i32 s7, s3, s7
	s_addc_u32 s10, s11, s20
	s_addc_u32 s11, s19, 0
	s_add_u32 s7, s10, s7
	s_addc_u32 s10, 0, s11
	s_mul_i32 s17, s13, s7
	s_add_u32 s11, s7, 1
	v_sub_co_u32 v1, s2, s2, s17
	s_mul_hi_u32 s17, s13, s7
	s_addc_u32 s18, s10, 0
	s_mul_i32 s19, s13, s10
	s_delay_alu instid0(VALU_DEP_1)
	v_sub_co_u32 v4, s20, v1, s13
	s_add_u32 s21, s7, 2
	s_addc_u32 s22, s10, 0
	s_add_i32 s17, s17, s19
	s_cmp_lg_u32 s2, 0
	v_readfirstlane_b32 s2, v4
	s_subb_u32 s3, s3, s17
	s_cmp_lg_u32 s20, 0
	s_subb_u32 s17, s3, 0
	s_delay_alu instid0(VALU_DEP_1) | instskip(SKIP_4) | instid1(SALU_CYCLE_1)
	s_cmp_ge_u32 s2, s13
	s_cselect_b32 s2, -1, 0
	s_cmp_eq_u32 s17, 0
	v_readfirstlane_b32 s17, v1
	s_cselect_b32 s2, s2, -1
	s_cmp_lg_u32 s2, 0
	s_cselect_b32 s2, s21, s11
	s_cselect_b32 s11, s22, s18
	s_cmp_ge_u32 s17, s13
	s_cselect_b32 s17, -1, 0
	s_cmp_eq_u32 s3, 0
	s_cselect_b32 s3, s17, -1
	s_delay_alu instid0(SALU_CYCLE_1) | instskip(SKIP_2) | instid1(SALU_CYCLE_1)
	s_cmp_lg_u32 s3, 0
	s_cselect_b32 s3, s11, s10
	s_cselect_b32 s2, s2, s7
	s_xor_b64 s[2:3], s[2:3], s[8:9]
	s_delay_alu instid0(SALU_CYCLE_1)
	s_sub_u32 s2, s2, s8
	s_subb_u32 s3, s3, s8
	s_cbranch_execnz .LBB12_5
.LBB12_4:
	v_cvt_f32_u32_e32 v1, s13
	s_sub_i32 s3, 0, s13
	s_delay_alu instid0(VALU_DEP_1) | instskip(SKIP_2) | instid1(VALU_DEP_1)
	v_rcp_iflag_f32_e32 v1, v1
	s_waitcnt_depctr 0xfff
	v_mul_f32_e32 v1, 0x4f7ffffe, v1
	v_cvt_u32_f32_e32 v1, v1
	s_delay_alu instid0(VALU_DEP_1) | instskip(NEXT) | instid1(VALU_DEP_1)
	v_readfirstlane_b32 s2, v1
	s_mul_i32 s3, s3, s2
	s_delay_alu instid0(SALU_CYCLE_1) | instskip(NEXT) | instid1(SALU_CYCLE_1)
	s_mul_hi_u32 s3, s2, s3
	s_add_i32 s2, s2, s3
	s_delay_alu instid0(SALU_CYCLE_1) | instskip(NEXT) | instid1(SALU_CYCLE_1)
	s_mul_hi_u32 s2, s6, s2
	s_mul_i32 s3, s2, s13
	s_delay_alu instid0(SALU_CYCLE_1)
	s_sub_i32 s3, s6, s3
	s_add_i32 s6, s2, 1
	s_sub_i32 s7, s3, s13
	s_cmp_ge_u32 s3, s13
	s_cselect_b32 s2, s6, s2
	s_cselect_b32 s3, s7, s3
	s_add_i32 s6, s2, 1
	s_cmp_ge_u32 s3, s13
	s_mov_b32 s3, 0
	s_cselect_b32 s2, s6, s2
.LBB12_5:
	v_mov_b32_e32 v13, 0
	s_add_u32 s2, s2, 1
	s_addc_u32 s3, s3, 0
	s_mul_hi_u32 s6, s16, s14
	s_mul_hi_u32 s7, s12, s2
	v_mov_b32_e32 v1, v13
	s_mul_i32 s3, s12, s3
	s_mul_i32 s6, s6, s2
	s_add_i32 s3, s7, s3
	s_mul_i32 s2, s12, s2
	v_mad_u64_u32 v[15:16], null, s14, s15, v[0:1]
	s_add_i32 s3, s3, s6
	s_mov_b32 s6, exec_lo
	s_lshl_b64 s[2:3], s[2:3], 1
	s_delay_alu instid0(VALU_DEP_1) | instid1(SALU_CYCLE_1)
	v_cmpx_gt_i64_e64 s[2:3], v[15:16]
	s_cbranch_execz .LBB12_30
; %bb.6:
	v_alignbit_b32 v19, v3, v2, 2
	v_mad_u64_u32 v[6:7], null, 0xcd9e8d57, v15, 0
	v_lshrrev_b32_e32 v20, 2, v3
	s_waitcnt vmcnt(0)
	v_dual_mov_b32 v14, v12 :: v_dual_and_b32 v35, 3, v2
	v_mad_u64_u32 v[4:5], null, 0xd2511f53, v19, 0
	v_add_co_u32 v22, null, 0x9e3779b9, v11
	v_xor3_b32 v3, v11, v7, v20
	s_delay_alu instid0(VALU_DEP_4) | instskip(SKIP_2) | instid1(VALU_DEP_4)
	v_add_co_u32 v21, null, 0xbb67ae85, v14
	v_add_co_u32 v23, null, 0x3c6ef372, v11
	v_xor_b32_e32 v1, v5, v12
	v_mad_u64_u32 v[7:8], null, 0xd2511f53, v3, 0
	v_add_co_u32 v24, null, 0x76cf5d0a, v14
	s_delay_alu instid0(VALU_DEP_3) | instskip(SKIP_2) | instid1(VALU_DEP_3)
	v_xor_b32_e32 v1, v1, v16
	v_add_co_u32 v25, null, 0x32370b8f, v14
	v_add_co_u32 v26, null, 0xdaa66d2b, v11
	v_mad_u64_u32 v[9:10], null, 0xcd9e8d57, v1, 0
	v_xor3_b32 v1, v21, v8, v4
	v_add_co_u32 v27, null, 0x78dde6e4, v11
	v_add_co_u32 v28, null, 0xed9eba14, v14
	s_delay_alu instid0(VALU_DEP_3) | instskip(SKIP_3) | instid1(VALU_DEP_3)
	v_mad_u64_u32 v[3:4], null, 0xcd9e8d57, v1, 0
	v_xor3_b32 v8, v22, v10, v6
	v_add_co_u32 v29, null, 0xa9066899, v14
	v_add_co_u32 v30, null, 0x1715609d, v11
	v_mad_u64_u32 v[5:6], null, 0xd2511f53, v8, 0
	v_xor3_b32 v1, v23, v4, v9
	v_add_co_u32 v31, null, 0xb54cda56, v11
	v_add_co_u32 v32, null, 0x646e171e, v14
	;; [unrolled: 1-line block ×3, first 2 shown]
	v_xor3_b32 v4, v24, v6, v7
	v_mad_u64_u32 v[6:7], null, 0xd2511f53, v1, 0
	v_add_co_u32 v34, null, 0x5384540f, v11
	s_delay_alu instid0(VALU_DEP_3)
	v_mad_u64_u32 v[8:9], null, 0xcd9e8d57, v4, 0
	s_clause 0x2
	s_load_b64 s[6:7], s[0:1], 0x30
	s_load_b32 s17, s[0:1], 0x38
	s_load_b128 s[8:11], s[0:1], 0x40
	v_add_co_u32 v37, null, 0xf1bbcdc8, v11
	v_xor3_b32 v1, v25, v7, v5
	v_add_co_u32 v38, null, 0xdb3d7428, v14
	v_xor3_b32 v5, v26, v9, v3
	v_dual_mov_b32 v40, v15 :: v_dual_add_nc_u32 v39, 0x96a522ad, v12
	s_delay_alu instid0(VALU_DEP_4) | instskip(NEXT) | instid1(VALU_DEP_3)
	v_mad_u64_u32 v[3:4], null, 0xcd9e8d57, v1, 0
	v_mad_u64_u32 v[9:10], null, 0xd2511f53, v5, 0
	v_mov_b32_e32 v43, v16
	s_mov_b32 s1, 0
	s_delay_alu instid0(VALU_DEP_3) | instskip(NEXT) | instid1(VALU_DEP_3)
	v_xor3_b32 v1, v27, v4, v8
	v_xor3_b32 v8, v28, v10, v6
	s_waitcnt lgkmcnt(0)
	s_mul_i32 s0, s16, s17
	s_delay_alu instid0(VALU_DEP_2) | instskip(NEXT) | instid1(VALU_DEP_2)
	v_mad_u64_u32 v[4:5], null, 0xd2511f53, v1, 0
	v_mad_u64_u32 v[6:7], null, 0xcd9e8d57, v8, 0
	s_mul_i32 s0, s0, s14
	s_delay_alu instid0(VALU_DEP_2) | instskip(NEXT) | instid1(VALU_DEP_2)
	v_xor3_b32 v1, v29, v5, v9
	v_xor3_b32 v3, v30, v7, v3
	s_delay_alu instid0(VALU_DEP_2) | instskip(NEXT) | instid1(VALU_DEP_2)
	v_mad_u64_u32 v[7:8], null, 0xcd9e8d57, v1, 0
	v_mad_u64_u32 v[9:10], null, 0xd2511f53, v3, 0
	s_delay_alu instid0(VALU_DEP_2) | instskip(NEXT) | instid1(VALU_DEP_2)
	v_xor3_b32 v1, v31, v8, v6
	v_xor3_b32 v8, v32, v10, v4
	s_delay_alu instid0(VALU_DEP_2) | instskip(NEXT) | instid1(VALU_DEP_2)
	v_mad_u64_u32 v[3:4], null, 0xd2511f53, v1, 0
	v_mad_u64_u32 v[5:6], null, 0xcd9e8d57, v8, 0
	;; [unrolled: 6-line block ×3, first 2 shown]
	v_mad_u64_u32 v[17:18], null, s15, s14, v[0:1]
	s_add_i32 s15, s15, s16
	s_delay_alu instid0(VALU_DEP_3) | instskip(NEXT) | instid1(VALU_DEP_3)
	v_xor3_b32 v1, v37, v7, v5
	v_xor3_b32 v7, v38, v9, v3
	s_delay_alu instid0(VALU_DEP_3) | instskip(NEXT) | instid1(VALU_DEP_3)
	v_mul_lo_u32 v41, s17, v17
	v_mad_u64_u32 v[3:4], null, s15, s14, v[0:1]
	v_mad_u64_u32 v[4:5], null, 0xd2511f53, v1, 0
	s_delay_alu instid0(VALU_DEP_4) | instskip(SKIP_2) | instid1(VALU_DEP_4)
	v_mad_u64_u32 v[1:2], null, 0xcd9e8d57, v7, 0
	v_add_nc_u32_e32 v36, 0x8ff34781, v11
	s_lshl_b32 s14, s0, 1
	v_mul_lo_u32 v42, s17, v3
	s_mov_b32 s15, 0
	s_delay_alu instid0(VALU_DEP_4) | instskip(NEXT) | instid1(VALU_DEP_4)
	v_mov_b32_e32 v3, v4
	v_xor3_b32 v0, v2, v6, v36
	v_xor3_b32 v2, v5, v8, v39
	s_branch .LBB12_9
.LBB12_7:                               ;   in Loop: Header=BB12_9 Depth=1
	s_or_b32 exec_lo, exec_lo, s0
	v_add_nc_u32_e32 v0, s15, v42
	s_delay_alu instid0(VALU_DEP_1) | instskip(SKIP_1) | instid1(VALU_DEP_2)
	v_ashrrev_i32_e32 v1, 31, v0
	v_add_co_u32 v0, vcc_lo, s6, v0
	v_add_co_ci_u32_e32 v1, vcc_lo, s7, v1, vcc_lo
	v_add_co_u32 v2, vcc_lo, v7, s10
	v_add_co_ci_u32_e32 v3, vcc_lo, s11, v8, vcc_lo
	global_store_b64 v[0:1], v[2:3], off
.LBB12_8:                               ;   in Loop: Header=BB12_9 Depth=1
	s_or_b32 exec_lo, exec_lo, s16
	v_add_co_u32 v15, vcc_lo, v15, s13
	v_add_co_ci_u32_e32 v16, vcc_lo, 0, v16, vcc_lo
	v_mov_b32_e32 v7, v17
	v_dual_mov_b32 v0, v4 :: v_dual_mov_b32 v1, v5
	s_delay_alu instid0(VALU_DEP_3) | instskip(NEXT) | instid1(VALU_DEP_3)
	v_cmp_le_i64_e32 vcc_lo, s[2:3], v[15:16]
	v_dual_mov_b32 v2, v6 :: v_dual_mov_b32 v3, v7
	s_add_i32 s15, s15, s14
	s_waitcnt_vscnt null, 0x0
	s_barrier
	s_or_b32 s1, vcc_lo, s1
	buffer_gl0_inv
	s_and_not1_b32 exec_lo, exec_lo, s1
	s_cbranch_execz .LBB12_30
.LBB12_9:                               ; =>This Inner Loop Header: Depth=1
	v_add_co_u32 v19, vcc_lo, v19, 1
	s_delay_alu instid0(VALU_DEP_1) | instskip(SKIP_2) | instid1(VALU_DEP_1)
	v_cndmask_b32_e64 v4, 0, 1, vcc_lo
	v_add_co_ci_u32_e32 v20, vcc_lo, 0, v20, vcc_lo
	s_mov_b32 s0, exec_lo
	v_cmp_eq_u32_e32 vcc_lo, 0, v20
	s_delay_alu instid0(VALU_DEP_3) | instskip(NEXT) | instid1(VALU_DEP_1)
	v_cndmask_b32_e32 v4, 0, v4, vcc_lo
	v_add_nc_u32_e32 v40, v4, v40
	s_delay_alu instid0(VALU_DEP_1) | instskip(SKIP_2) | instid1(VALU_DEP_2)
	v_cmp_eq_u32_e32 vcc_lo, 0, v40
	v_mad_u64_u32 v[6:7], null, 0xcd9e8d57, v40, 0
	v_cndmask_b32_e32 v4, 0, v4, vcc_lo
	v_xor3_b32 v9, v7, v11, v20
	s_delay_alu instid0(VALU_DEP_2) | instskip(SKIP_1) | instid1(VALU_DEP_3)
	v_add_nc_u32_e32 v43, v4, v43
	v_mad_u64_u32 v[4:5], null, 0xd2511f53, v19, 0
	v_mad_u64_u32 v[7:8], null, 0xd2511f53, v9, 0
	s_delay_alu instid0(VALU_DEP_2) | instskip(NEXT) | instid1(VALU_DEP_2)
	v_xor_b32_e32 v5, v5, v12
	v_xor3_b32 v8, v21, v8, v4
	s_delay_alu instid0(VALU_DEP_2) | instskip(NEXT) | instid1(VALU_DEP_1)
	v_xor_b32_e32 v5, v43, v5
	v_mad_u64_u32 v[9:10], null, 0xcd9e8d57, v5, 0
	s_delay_alu instid0(VALU_DEP_3) | instskip(NEXT) | instid1(VALU_DEP_2)
	v_mad_u64_u32 v[4:5], null, 0xcd9e8d57, v8, 0
	v_xor3_b32 v6, v22, v10, v6
	s_delay_alu instid0(VALU_DEP_2) | instskip(NEXT) | instid1(VALU_DEP_2)
	v_xor3_b32 v8, v23, v5, v9
	v_mad_u64_u32 v[17:18], null, 0xd2511f53, v6, 0
	s_delay_alu instid0(VALU_DEP_2) | instskip(NEXT) | instid1(VALU_DEP_2)
	v_mad_u64_u32 v[5:6], null, 0xd2511f53, v8, 0
	v_xor3_b32 v9, v24, v18, v7
	s_delay_alu instid0(VALU_DEP_2) | instskip(NEXT) | instid1(VALU_DEP_2)
	v_xor3_b32 v6, v25, v6, v17
	v_mad_u64_u32 v[7:8], null, 0xcd9e8d57, v9, 0
	s_delay_alu instid0(VALU_DEP_1) | instskip(NEXT) | instid1(VALU_DEP_3)
	v_xor3_b32 v4, v26, v8, v4
	v_mad_u64_u32 v[8:9], null, 0xcd9e8d57, v6, 0
	s_delay_alu instid0(VALU_DEP_2) | instskip(NEXT) | instid1(VALU_DEP_2)
	v_mad_u64_u32 v[17:18], null, 0xd2511f53, v4, 0
	v_xor3_b32 v6, v27, v9, v7
	s_delay_alu instid0(VALU_DEP_2) | instskip(NEXT) | instid1(VALU_DEP_2)
	v_xor3_b32 v9, v28, v18, v5
	v_mad_u64_u32 v[4:5], null, 0xd2511f53, v6, 0
	s_delay_alu instid0(VALU_DEP_2) | instskip(NEXT) | instid1(VALU_DEP_2)
	v_mad_u64_u32 v[6:7], null, 0xcd9e8d57, v9, 0
	v_xor3_b32 v5, v29, v5, v17
	s_delay_alu instid0(VALU_DEP_2) | instskip(NEXT) | instid1(VALU_DEP_2)
	;; [unrolled: 6-line block ×6, first 2 shown]
	v_xor3_b32 v4, v6, v7, v36
	v_mov_b32_e32 v6, v10
	v_cmpx_lt_i32_e32 1, v35
	s_xor_b32 s0, exec_lo, s0
	s_cbranch_execnz .LBB12_12
; %bb.10:                               ;   in Loop: Header=BB12_9 Depth=1
	s_and_not1_saveexec_b32 s0, s0
	s_cbranch_execnz .LBB12_17
.LBB12_11:                              ;   in Loop: Header=BB12_9 Depth=1
	s_or_b32 exec_lo, exec_lo, s0
	s_delay_alu instid0(SALU_CYCLE_1)
	s_mov_b32 s16, exec_lo
	v_cmpx_gt_i64_e64 s[4:5], v[15:16]
	s_cbranch_execnz .LBB12_20
	s_branch .LBB12_25
.LBB12_12:                              ;   in Loop: Header=BB12_9 Depth=1
	s_mov_b32 s16, exec_lo
	v_cmpx_lt_i32_e32 2, v35
	s_xor_b32 s16, exec_lo, s16
; %bb.13:                               ;   in Loop: Header=BB12_9 Depth=1
	v_dual_mov_b32 v7, v3 :: v_dual_mov_b32 v8, v4
	v_mov_b32_e32 v9, v5
	s_delay_alu instid0(VALU_DEP_2) | instskip(NEXT) | instid1(VALU_DEP_2)
	v_dual_mov_b32 v0, v7 :: v_dual_mov_b32 v1, v8
	v_dual_mov_b32 v2, v9 :: v_dual_mov_b32 v3, v10
; %bb.14:                               ;   in Loop: Header=BB12_9 Depth=1
	s_and_not1_saveexec_b32 s16, s16
; %bb.15:                               ;   in Loop: Header=BB12_9 Depth=1
	s_delay_alu instid0(VALU_DEP_1)
	v_dual_mov_b32 v0, v2 :: v_dual_mov_b32 v1, v3
	v_dual_mov_b32 v2, v4 :: v_dual_mov_b32 v3, v5
; %bb.16:                               ;   in Loop: Header=BB12_9 Depth=1
	s_or_b32 exec_lo, exec_lo, s16
	s_and_not1_saveexec_b32 s0, s0
	s_cbranch_execz .LBB12_11
.LBB12_17:                              ;   in Loop: Header=BB12_9 Depth=1
	s_mov_b32 s16, exec_lo
	v_cmpx_eq_u32_e32 1, v35
; %bb.18:                               ;   in Loop: Header=BB12_9 Depth=1
	v_dual_mov_b32 v0, v1 :: v_dual_mov_b32 v1, v2
	v_dual_mov_b32 v2, v3 :: v_dual_mov_b32 v3, v4
; %bb.19:                               ;   in Loop: Header=BB12_9 Depth=1
	s_or_b32 exec_lo, exec_lo, s16
	s_delay_alu instid0(SALU_CYCLE_1) | instskip(NEXT) | instid1(SALU_CYCLE_1)
	s_or_b32 exec_lo, exec_lo, s0
	s_mov_b32 s16, exec_lo
	v_cmpx_gt_i64_e64 s[4:5], v[15:16]
	s_cbranch_execz .LBB12_25
.LBB12_20:                              ;   in Loop: Header=BB12_9 Depth=1
	v_or_b32_e32 v14, s9, v0
                                        ; implicit-def: $vgpr7_vgpr8
	s_mov_b32 s0, exec_lo
	s_delay_alu instid0(VALU_DEP_1)
	v_cmpx_ne_u64_e32 0, v[13:14]
	s_xor_b32 s17, exec_lo, s0
	s_cbranch_execz .LBB12_22
; %bb.21:                               ;   in Loop: Header=BB12_9 Depth=1
	v_cvt_f32_u32_e32 v7, s8
	v_cvt_f32_u32_e32 v8, s9
	s_sub_u32 s0, 0, s8
	s_subb_u32 s18, 0, s9
	s_delay_alu instid0(VALU_DEP_1) | instskip(NEXT) | instid1(VALU_DEP_1)
	v_fmac_f32_e32 v7, 0x4f800000, v8
	v_rcp_f32_e32 v7, v7
	s_waitcnt_depctr 0xfff
	v_mul_f32_e32 v7, 0x5f7ffffc, v7
	s_delay_alu instid0(VALU_DEP_1) | instskip(NEXT) | instid1(VALU_DEP_1)
	v_mul_f32_e32 v8, 0x2f800000, v7
	v_trunc_f32_e32 v8, v8
	s_delay_alu instid0(VALU_DEP_1) | instskip(SKIP_1) | instid1(VALU_DEP_2)
	v_fmac_f32_e32 v7, 0xcf800000, v8
	v_cvt_u32_f32_e32 v8, v8
	v_cvt_u32_f32_e32 v7, v7
	s_delay_alu instid0(VALU_DEP_2) | instskip(NEXT) | instid1(VALU_DEP_2)
	v_mul_lo_u32 v9, s0, v8
	v_mul_hi_u32 v10, s0, v7
	v_mul_lo_u32 v14, s18, v7
	s_delay_alu instid0(VALU_DEP_2) | instskip(SKIP_1) | instid1(VALU_DEP_2)
	v_add_nc_u32_e32 v9, v10, v9
	v_mul_lo_u32 v10, s0, v7
	v_add_nc_u32_e32 v9, v9, v14
	s_delay_alu instid0(VALU_DEP_2) | instskip(NEXT) | instid1(VALU_DEP_2)
	v_mul_hi_u32 v14, v7, v10
	v_mul_lo_u32 v18, v7, v9
	v_mul_hi_u32 v44, v7, v9
	v_mul_hi_u32 v45, v8, v10
	v_mul_lo_u32 v10, v8, v10
	v_mul_hi_u32 v46, v8, v9
	v_mul_lo_u32 v9, v8, v9
	v_add_co_u32 v14, vcc_lo, v14, v18
	v_add_co_ci_u32_e32 v18, vcc_lo, 0, v44, vcc_lo
	s_delay_alu instid0(VALU_DEP_2) | instskip(NEXT) | instid1(VALU_DEP_2)
	v_add_co_u32 v10, vcc_lo, v14, v10
	v_add_co_ci_u32_e32 v10, vcc_lo, v18, v45, vcc_lo
	v_add_co_ci_u32_e32 v14, vcc_lo, 0, v46, vcc_lo
	s_delay_alu instid0(VALU_DEP_2) | instskip(NEXT) | instid1(VALU_DEP_2)
	v_add_co_u32 v9, vcc_lo, v10, v9
	v_add_co_ci_u32_e32 v10, vcc_lo, 0, v14, vcc_lo
	s_delay_alu instid0(VALU_DEP_2) | instskip(NEXT) | instid1(VALU_DEP_2)
	v_add_co_u32 v7, vcc_lo, v7, v9
	v_add_co_ci_u32_e32 v8, vcc_lo, v8, v10, vcc_lo
	s_delay_alu instid0(VALU_DEP_2) | instskip(SKIP_1) | instid1(VALU_DEP_3)
	v_mul_hi_u32 v9, s0, v7
	v_mul_lo_u32 v14, s18, v7
	v_mul_lo_u32 v10, s0, v8
	s_delay_alu instid0(VALU_DEP_1) | instskip(SKIP_1) | instid1(VALU_DEP_2)
	v_add_nc_u32_e32 v9, v9, v10
	v_mul_lo_u32 v10, s0, v7
	v_add_nc_u32_e32 v9, v9, v14
	s_delay_alu instid0(VALU_DEP_2) | instskip(NEXT) | instid1(VALU_DEP_2)
	v_mul_hi_u32 v14, v7, v10
	v_mul_lo_u32 v18, v7, v9
	v_mul_hi_u32 v44, v7, v9
	v_mul_hi_u32 v45, v8, v10
	v_mul_lo_u32 v10, v8, v10
	v_mul_hi_u32 v46, v8, v9
	v_mul_lo_u32 v9, v8, v9
	v_add_co_u32 v14, vcc_lo, v14, v18
	v_add_co_ci_u32_e32 v18, vcc_lo, 0, v44, vcc_lo
	s_delay_alu instid0(VALU_DEP_2) | instskip(NEXT) | instid1(VALU_DEP_2)
	v_add_co_u32 v10, vcc_lo, v14, v10
	v_add_co_ci_u32_e32 v10, vcc_lo, v18, v45, vcc_lo
	v_add_co_ci_u32_e32 v14, vcc_lo, 0, v46, vcc_lo
	s_delay_alu instid0(VALU_DEP_2) | instskip(NEXT) | instid1(VALU_DEP_2)
	v_add_co_u32 v9, vcc_lo, v10, v9
	v_add_co_ci_u32_e32 v10, vcc_lo, 0, v14, vcc_lo
	s_delay_alu instid0(VALU_DEP_2) | instskip(NEXT) | instid1(VALU_DEP_2)
	v_add_co_u32 v14, vcc_lo, v7, v9
	v_add_co_ci_u32_e32 v18, vcc_lo, v8, v10, vcc_lo
	s_delay_alu instid0(VALU_DEP_2) | instskip(SKIP_1) | instid1(VALU_DEP_3)
	v_mul_hi_u32 v46, v1, v14
	v_mad_u64_u32 v[9:10], null, v0, v14, 0
	v_mad_u64_u32 v[7:8], null, v1, v18, 0
	v_mad_u64_u32 v[44:45], null, v0, v18, 0
	s_delay_alu instid0(VALU_DEP_2) | instskip(NEXT) | instid1(VALU_DEP_3)
	v_add_co_u32 v7, vcc_lo, v46, v7
	v_add_co_ci_u32_e32 v8, vcc_lo, 0, v8, vcc_lo
	s_delay_alu instid0(VALU_DEP_2) | instskip(NEXT) | instid1(VALU_DEP_2)
	v_add_co_u32 v7, vcc_lo, v7, v9
	v_add_co_ci_u32_e32 v7, vcc_lo, v8, v10, vcc_lo
	v_add_co_ci_u32_e32 v8, vcc_lo, 0, v45, vcc_lo
	s_delay_alu instid0(VALU_DEP_2) | instskip(NEXT) | instid1(VALU_DEP_2)
	v_add_co_u32 v9, vcc_lo, v7, v44
	v_add_co_ci_u32_e32 v10, vcc_lo, 0, v8, vcc_lo
	s_delay_alu instid0(VALU_DEP_2) | instskip(SKIP_1) | instid1(VALU_DEP_3)
	v_mul_lo_u32 v14, s9, v9
	v_mad_u64_u32 v[7:8], null, s8, v9, 0
	v_mul_lo_u32 v9, s8, v10
	s_delay_alu instid0(VALU_DEP_2) | instskip(NEXT) | instid1(VALU_DEP_2)
	v_sub_co_u32 v7, vcc_lo, v1, v7
	v_add3_u32 v8, v8, v9, v14
	s_delay_alu instid0(VALU_DEP_1) | instskip(NEXT) | instid1(VALU_DEP_1)
	v_sub_nc_u32_e32 v9, v0, v8
	v_subrev_co_ci_u32_e64 v9, s0, s9, v9, vcc_lo
	v_sub_co_ci_u32_e32 v0, vcc_lo, v0, v8, vcc_lo
	v_sub_co_u32 v8, vcc_lo, v7, s8
	s_delay_alu instid0(VALU_DEP_1) | instskip(SKIP_3) | instid1(VALU_DEP_3)
	v_subrev_co_ci_u32_e64 v10, s0, 0, v9, vcc_lo
	v_cmp_le_u32_e64 s0, s8, v7
	v_subrev_co_ci_u32_e32 v9, vcc_lo, s9, v9, vcc_lo
	v_cmp_le_u32_e32 vcc_lo, s9, v0
	v_cndmask_b32_e64 v14, 0, -1, s0
	v_cmp_le_u32_e64 s0, s8, v8
	v_cndmask_b32_e64 v45, 0, -1, vcc_lo
	v_cmp_eq_u32_e32 vcc_lo, s9, v10
	s_delay_alu instid0(VALU_DEP_3) | instskip(SKIP_1) | instid1(VALU_DEP_1)
	v_cndmask_b32_e64 v18, 0, -1, s0
	v_cmp_le_u32_e64 s0, s9, v10
	v_cndmask_b32_e64 v44, 0, -1, s0
	v_cmp_eq_u32_e64 s0, s9, v0
	s_delay_alu instid0(VALU_DEP_2) | instskip(SKIP_2) | instid1(VALU_DEP_3)
	v_cndmask_b32_e32 v18, v44, v18, vcc_lo
	v_sub_co_u32 v44, vcc_lo, v8, s8
	v_subrev_co_ci_u32_e32 v9, vcc_lo, 0, v9, vcc_lo
	v_cmp_ne_u32_e32 vcc_lo, 0, v18
	v_cndmask_b32_e64 v14, v45, v14, s0
	s_delay_alu instid0(VALU_DEP_3) | instskip(NEXT) | instid1(VALU_DEP_2)
	v_dual_cndmask_b32 v9, v10, v9 :: v_dual_cndmask_b32 v10, v8, v44
	v_cmp_ne_u32_e32 vcc_lo, 0, v14
	s_delay_alu instid0(VALU_DEP_2)
	v_dual_cndmask_b32 v8, v0, v9 :: v_dual_cndmask_b32 v7, v7, v10
.LBB12_22:                              ;   in Loop: Header=BB12_9 Depth=1
	s_and_not1_saveexec_b32 s0, s17
	s_cbranch_execz .LBB12_24
; %bb.23:                               ;   in Loop: Header=BB12_9 Depth=1
	v_cvt_f32_u32_e32 v0, s8
	s_sub_i32 s17, 0, s8
	v_mov_b32_e32 v8, v13
	s_delay_alu instid0(VALU_DEP_2) | instskip(SKIP_2) | instid1(VALU_DEP_1)
	v_rcp_iflag_f32_e32 v0, v0
	s_waitcnt_depctr 0xfff
	v_mul_f32_e32 v0, 0x4f7ffffe, v0
	v_cvt_u32_f32_e32 v0, v0
	s_delay_alu instid0(VALU_DEP_1) | instskip(NEXT) | instid1(VALU_DEP_1)
	v_mul_lo_u32 v7, s17, v0
	v_mul_hi_u32 v7, v0, v7
	s_delay_alu instid0(VALU_DEP_1) | instskip(NEXT) | instid1(VALU_DEP_1)
	v_add_nc_u32_e32 v0, v0, v7
	v_mul_hi_u32 v0, v1, v0
	s_delay_alu instid0(VALU_DEP_1) | instskip(NEXT) | instid1(VALU_DEP_1)
	v_mul_lo_u32 v0, v0, s8
	v_sub_nc_u32_e32 v0, v1, v0
	s_delay_alu instid0(VALU_DEP_1) | instskip(SKIP_1) | instid1(VALU_DEP_2)
	v_subrev_nc_u32_e32 v1, s8, v0
	v_cmp_le_u32_e32 vcc_lo, s8, v0
	v_cndmask_b32_e32 v0, v0, v1, vcc_lo
	s_delay_alu instid0(VALU_DEP_1) | instskip(SKIP_1) | instid1(VALU_DEP_2)
	v_subrev_nc_u32_e32 v1, s8, v0
	v_cmp_le_u32_e32 vcc_lo, s8, v0
	v_cndmask_b32_e32 v7, v0, v1, vcc_lo
.LBB12_24:                              ;   in Loop: Header=BB12_9 Depth=1
	s_or_b32 exec_lo, exec_lo, s0
	v_add_nc_u32_e32 v0, s15, v41
	s_delay_alu instid0(VALU_DEP_1) | instskip(SKIP_1) | instid1(VALU_DEP_2)
	v_ashrrev_i32_e32 v1, 31, v0
	v_add_co_u32 v0, vcc_lo, s6, v0
	v_add_co_ci_u32_e32 v1, vcc_lo, s7, v1, vcc_lo
	v_add_co_u32 v7, vcc_lo, v7, s10
	v_add_co_ci_u32_e32 v8, vcc_lo, s11, v8, vcc_lo
	global_store_b64 v[0:1], v[7:8], off
.LBB12_25:                              ;   in Loop: Header=BB12_9 Depth=1
	s_or_b32 exec_lo, exec_lo, s16
	v_add_co_u32 v0, vcc_lo, s12, v15
	v_add_co_ci_u32_e32 v1, vcc_lo, 0, v16, vcc_lo
	s_mov_b32 s16, exec_lo
	s_delay_alu instid0(VALU_DEP_1)
	v_cmpx_gt_i64_e64 s[4:5], v[0:1]
	s_cbranch_execz .LBB12_8
; %bb.26:                               ;   in Loop: Header=BB12_9 Depth=1
	v_or_b32_e32 v14, s9, v2
                                        ; implicit-def: $vgpr7_vgpr8
	s_mov_b32 s0, exec_lo
	s_delay_alu instid0(VALU_DEP_1)
	v_cmpx_ne_u64_e32 0, v[13:14]
	s_xor_b32 s17, exec_lo, s0
	s_cbranch_execz .LBB12_28
; %bb.27:                               ;   in Loop: Header=BB12_9 Depth=1
	v_cvt_f32_u32_e32 v0, s8
	v_cvt_f32_u32_e32 v1, s9
	s_sub_u32 s0, 0, s8
	s_subb_u32 s18, 0, s9
	s_delay_alu instid0(VALU_DEP_1) | instskip(NEXT) | instid1(VALU_DEP_1)
	v_fmac_f32_e32 v0, 0x4f800000, v1
	v_rcp_f32_e32 v0, v0
	s_waitcnt_depctr 0xfff
	v_mul_f32_e32 v0, 0x5f7ffffc, v0
	s_delay_alu instid0(VALU_DEP_1) | instskip(NEXT) | instid1(VALU_DEP_1)
	v_mul_f32_e32 v1, 0x2f800000, v0
	v_trunc_f32_e32 v1, v1
	s_delay_alu instid0(VALU_DEP_1) | instskip(SKIP_1) | instid1(VALU_DEP_2)
	v_fmac_f32_e32 v0, 0xcf800000, v1
	v_cvt_u32_f32_e32 v1, v1
	v_cvt_u32_f32_e32 v0, v0
	s_delay_alu instid0(VALU_DEP_2) | instskip(NEXT) | instid1(VALU_DEP_2)
	v_mul_lo_u32 v7, s0, v1
	v_mul_hi_u32 v8, s0, v0
	v_mul_lo_u32 v9, s18, v0
	s_delay_alu instid0(VALU_DEP_2) | instskip(SKIP_1) | instid1(VALU_DEP_2)
	v_add_nc_u32_e32 v7, v8, v7
	v_mul_lo_u32 v8, s0, v0
	v_add_nc_u32_e32 v7, v7, v9
	s_delay_alu instid0(VALU_DEP_2) | instskip(NEXT) | instid1(VALU_DEP_2)
	v_mul_hi_u32 v9, v0, v8
	v_mul_lo_u32 v10, v0, v7
	v_mul_hi_u32 v14, v0, v7
	v_mul_hi_u32 v18, v1, v8
	v_mul_lo_u32 v8, v1, v8
	v_mul_hi_u32 v44, v1, v7
	v_mul_lo_u32 v7, v1, v7
	v_add_co_u32 v9, vcc_lo, v9, v10
	v_add_co_ci_u32_e32 v10, vcc_lo, 0, v14, vcc_lo
	s_delay_alu instid0(VALU_DEP_2) | instskip(NEXT) | instid1(VALU_DEP_2)
	v_add_co_u32 v8, vcc_lo, v9, v8
	v_add_co_ci_u32_e32 v8, vcc_lo, v10, v18, vcc_lo
	v_add_co_ci_u32_e32 v9, vcc_lo, 0, v44, vcc_lo
	s_delay_alu instid0(VALU_DEP_2) | instskip(NEXT) | instid1(VALU_DEP_2)
	v_add_co_u32 v7, vcc_lo, v8, v7
	v_add_co_ci_u32_e32 v8, vcc_lo, 0, v9, vcc_lo
	s_delay_alu instid0(VALU_DEP_2) | instskip(NEXT) | instid1(VALU_DEP_2)
	v_add_co_u32 v0, vcc_lo, v0, v7
	v_add_co_ci_u32_e32 v1, vcc_lo, v1, v8, vcc_lo
	s_delay_alu instid0(VALU_DEP_2) | instskip(SKIP_1) | instid1(VALU_DEP_3)
	v_mul_hi_u32 v7, s0, v0
	v_mul_lo_u32 v9, s18, v0
	v_mul_lo_u32 v8, s0, v1
	s_delay_alu instid0(VALU_DEP_1) | instskip(SKIP_1) | instid1(VALU_DEP_2)
	v_add_nc_u32_e32 v7, v7, v8
	v_mul_lo_u32 v8, s0, v0
	v_add_nc_u32_e32 v7, v7, v9
	s_delay_alu instid0(VALU_DEP_2) | instskip(NEXT) | instid1(VALU_DEP_2)
	v_mul_hi_u32 v9, v0, v8
	v_mul_lo_u32 v10, v0, v7
	v_mul_hi_u32 v14, v0, v7
	v_mul_hi_u32 v18, v1, v8
	v_mul_lo_u32 v8, v1, v8
	v_mul_hi_u32 v44, v1, v7
	v_mul_lo_u32 v7, v1, v7
	v_add_co_u32 v9, vcc_lo, v9, v10
	v_add_co_ci_u32_e32 v10, vcc_lo, 0, v14, vcc_lo
	s_delay_alu instid0(VALU_DEP_2) | instskip(NEXT) | instid1(VALU_DEP_2)
	v_add_co_u32 v8, vcc_lo, v9, v8
	v_add_co_ci_u32_e32 v8, vcc_lo, v10, v18, vcc_lo
	v_add_co_ci_u32_e32 v9, vcc_lo, 0, v44, vcc_lo
	s_delay_alu instid0(VALU_DEP_2) | instskip(NEXT) | instid1(VALU_DEP_2)
	v_add_co_u32 v7, vcc_lo, v8, v7
	v_add_co_ci_u32_e32 v8, vcc_lo, 0, v9, vcc_lo
	s_delay_alu instid0(VALU_DEP_2) | instskip(NEXT) | instid1(VALU_DEP_2)
	v_add_co_u32 v9, vcc_lo, v0, v7
	v_add_co_ci_u32_e32 v14, vcc_lo, v1, v8, vcc_lo
	s_delay_alu instid0(VALU_DEP_2) | instskip(SKIP_1) | instid1(VALU_DEP_3)
	v_mul_hi_u32 v18, v3, v9
	v_mad_u64_u32 v[7:8], null, v2, v9, 0
	v_mad_u64_u32 v[0:1], null, v3, v14, 0
	;; [unrolled: 1-line block ×3, first 2 shown]
	s_delay_alu instid0(VALU_DEP_2) | instskip(NEXT) | instid1(VALU_DEP_3)
	v_add_co_u32 v0, vcc_lo, v18, v0
	v_add_co_ci_u32_e32 v1, vcc_lo, 0, v1, vcc_lo
	s_delay_alu instid0(VALU_DEP_2) | instskip(NEXT) | instid1(VALU_DEP_2)
	v_add_co_u32 v0, vcc_lo, v0, v7
	v_add_co_ci_u32_e32 v0, vcc_lo, v1, v8, vcc_lo
	v_add_co_ci_u32_e32 v1, vcc_lo, 0, v10, vcc_lo
	s_delay_alu instid0(VALU_DEP_2) | instskip(NEXT) | instid1(VALU_DEP_2)
	v_add_co_u32 v7, vcc_lo, v0, v9
	v_add_co_ci_u32_e32 v8, vcc_lo, 0, v1, vcc_lo
	s_delay_alu instid0(VALU_DEP_2) | instskip(SKIP_1) | instid1(VALU_DEP_3)
	v_mul_lo_u32 v9, s9, v7
	v_mad_u64_u32 v[0:1], null, s8, v7, 0
	v_mul_lo_u32 v7, s8, v8
	s_delay_alu instid0(VALU_DEP_2) | instskip(NEXT) | instid1(VALU_DEP_2)
	v_sub_co_u32 v0, vcc_lo, v3, v0
	v_add3_u32 v1, v1, v7, v9
	s_delay_alu instid0(VALU_DEP_1) | instskip(NEXT) | instid1(VALU_DEP_1)
	v_sub_nc_u32_e32 v7, v2, v1
	v_subrev_co_ci_u32_e64 v3, s0, s9, v7, vcc_lo
	v_sub_co_ci_u32_e32 v1, vcc_lo, v2, v1, vcc_lo
	v_sub_co_u32 v2, vcc_lo, v0, s8
	s_delay_alu instid0(VALU_DEP_1) | instskip(SKIP_3) | instid1(VALU_DEP_3)
	v_subrev_co_ci_u32_e64 v7, s0, 0, v3, vcc_lo
	v_cmp_le_u32_e64 s0, s8, v0
	v_subrev_co_ci_u32_e32 v3, vcc_lo, s9, v3, vcc_lo
	v_cmp_le_u32_e32 vcc_lo, s9, v1
	v_cndmask_b32_e64 v8, 0, -1, s0
	v_cmp_le_u32_e64 s0, s8, v2
	v_cndmask_b32_e64 v14, 0, -1, vcc_lo
	v_cmp_eq_u32_e32 vcc_lo, s9, v7
	s_delay_alu instid0(VALU_DEP_3) | instskip(SKIP_1) | instid1(VALU_DEP_1)
	v_cndmask_b32_e64 v9, 0, -1, s0
	v_cmp_le_u32_e64 s0, s9, v7
	v_cndmask_b32_e64 v10, 0, -1, s0
	v_cmp_eq_u32_e64 s0, s9, v1
	s_delay_alu instid0(VALU_DEP_2) | instskip(SKIP_2) | instid1(VALU_DEP_3)
	v_cndmask_b32_e32 v9, v10, v9, vcc_lo
	v_sub_co_u32 v10, vcc_lo, v2, s8
	v_subrev_co_ci_u32_e32 v3, vcc_lo, 0, v3, vcc_lo
	v_cmp_ne_u32_e32 vcc_lo, 0, v9
	v_cndmask_b32_e64 v8, v14, v8, s0
	s_delay_alu instid0(VALU_DEP_3) | instskip(NEXT) | instid1(VALU_DEP_2)
	v_dual_cndmask_b32 v3, v7, v3 :: v_dual_cndmask_b32 v2, v2, v10
	v_cmp_ne_u32_e32 vcc_lo, 0, v8
	s_delay_alu instid0(VALU_DEP_2)
	v_dual_cndmask_b32 v8, v1, v3 :: v_dual_cndmask_b32 v7, v0, v2
                                        ; implicit-def: $vgpr0_vgpr1_vgpr2_vgpr3
.LBB12_28:                              ;   in Loop: Header=BB12_9 Depth=1
	s_and_not1_saveexec_b32 s0, s17
	s_cbranch_execz .LBB12_7
; %bb.29:                               ;   in Loop: Header=BB12_9 Depth=1
	v_cvt_f32_u32_e32 v0, s8
	s_sub_i32 s17, 0, s8
	v_mov_b32_e32 v8, v13
	s_delay_alu instid0(VALU_DEP_2) | instskip(SKIP_2) | instid1(VALU_DEP_1)
	v_rcp_iflag_f32_e32 v0, v0
	s_waitcnt_depctr 0xfff
	v_mul_f32_e32 v0, 0x4f7ffffe, v0
	v_cvt_u32_f32_e32 v0, v0
	s_delay_alu instid0(VALU_DEP_1) | instskip(NEXT) | instid1(VALU_DEP_1)
	v_mul_lo_u32 v1, s17, v0
	v_mul_hi_u32 v1, v0, v1
	s_delay_alu instid0(VALU_DEP_1) | instskip(NEXT) | instid1(VALU_DEP_1)
	v_add_nc_u32_e32 v0, v0, v1
	v_mul_hi_u32 v0, v3, v0
	s_delay_alu instid0(VALU_DEP_1) | instskip(NEXT) | instid1(VALU_DEP_1)
	v_mul_lo_u32 v0, v0, s8
	v_sub_nc_u32_e32 v0, v3, v0
	s_delay_alu instid0(VALU_DEP_1) | instskip(SKIP_1) | instid1(VALU_DEP_2)
	v_subrev_nc_u32_e32 v1, s8, v0
	v_cmp_le_u32_e32 vcc_lo, s8, v0
	v_cndmask_b32_e32 v0, v0, v1, vcc_lo
	s_delay_alu instid0(VALU_DEP_1) | instskip(SKIP_1) | instid1(VALU_DEP_2)
	v_subrev_nc_u32_e32 v1, s8, v0
	v_cmp_le_u32_e32 vcc_lo, s8, v0
	v_cndmask_b32_e32 v7, v0, v1, vcc_lo
	s_branch .LBB12_7
.LBB12_30:
	s_endpgm
.LBB12_31:
                                        ; implicit-def: $sgpr2_sgpr3
	s_branch .LBB12_4
	.section	.rodata,"a",@progbits
	.p2align	6, 0x0
	.amdhsa_kernel _ZN2at6native12_GLOBAL__N_143distribution_elementwise_grid_stride_kernelImLi2EZZZNS0_9templates4cuda21random_from_to_kernelIPNS_17CUDAGeneratorImplEEEvRNS_18TensorIteratorBaseEmlT_ENKUlvE_clEvENKUlvE2_clEvEUlP25hiprandStatePhilox4_32_10E_ZNS1_27distribution_nullary_kernelIlm15HIP_vector_typeIyLj2EES7_SF_ZZZNS5_IS7_EEvS9_mlSA_ENKSB_clEvENKSC_clEvEUlmE_EEvS9_T2_RKT3_T4_EUlimE_EEvlNS_15PhiloxCudaStateET1_SK_
		.amdhsa_group_segment_fixed_size 0
		.amdhsa_private_segment_fixed_size 0
		.amdhsa_kernarg_size 336
		.amdhsa_user_sgpr_count 15
		.amdhsa_user_sgpr_dispatch_ptr 0
		.amdhsa_user_sgpr_queue_ptr 0
		.amdhsa_user_sgpr_kernarg_segment_ptr 1
		.amdhsa_user_sgpr_dispatch_id 0
		.amdhsa_user_sgpr_private_segment_size 0
		.amdhsa_wavefront_size32 1
		.amdhsa_uses_dynamic_stack 0
		.amdhsa_enable_private_segment 0
		.amdhsa_system_sgpr_workgroup_id_x 1
		.amdhsa_system_sgpr_workgroup_id_y 0
		.amdhsa_system_sgpr_workgroup_id_z 0
		.amdhsa_system_sgpr_workgroup_info 0
		.amdhsa_system_vgpr_workitem_id 0
		.amdhsa_next_free_vgpr 47
		.amdhsa_next_free_sgpr 23
		.amdhsa_reserve_vcc 1
		.amdhsa_float_round_mode_32 0
		.amdhsa_float_round_mode_16_64 0
		.amdhsa_float_denorm_mode_32 3
		.amdhsa_float_denorm_mode_16_64 3
		.amdhsa_dx10_clamp 1
		.amdhsa_ieee_mode 1
		.amdhsa_fp16_overflow 0
		.amdhsa_workgroup_processor_mode 1
		.amdhsa_memory_ordered 1
		.amdhsa_forward_progress 0
		.amdhsa_shared_vgpr_count 0
		.amdhsa_exception_fp_ieee_invalid_op 0
		.amdhsa_exception_fp_denorm_src 0
		.amdhsa_exception_fp_ieee_div_zero 0
		.amdhsa_exception_fp_ieee_overflow 0
		.amdhsa_exception_fp_ieee_underflow 0
		.amdhsa_exception_fp_ieee_inexact 0
		.amdhsa_exception_int_div_zero 0
	.end_amdhsa_kernel
	.section	.text._ZN2at6native12_GLOBAL__N_143distribution_elementwise_grid_stride_kernelImLi2EZZZNS0_9templates4cuda21random_from_to_kernelIPNS_17CUDAGeneratorImplEEEvRNS_18TensorIteratorBaseEmlT_ENKUlvE_clEvENKUlvE2_clEvEUlP25hiprandStatePhilox4_32_10E_ZNS1_27distribution_nullary_kernelIlm15HIP_vector_typeIyLj2EES7_SF_ZZZNS5_IS7_EEvS9_mlSA_ENKSB_clEvENKSC_clEvEUlmE_EEvS9_T2_RKT3_T4_EUlimE_EEvlNS_15PhiloxCudaStateET1_SK_,"axG",@progbits,_ZN2at6native12_GLOBAL__N_143distribution_elementwise_grid_stride_kernelImLi2EZZZNS0_9templates4cuda21random_from_to_kernelIPNS_17CUDAGeneratorImplEEEvRNS_18TensorIteratorBaseEmlT_ENKUlvE_clEvENKUlvE2_clEvEUlP25hiprandStatePhilox4_32_10E_ZNS1_27distribution_nullary_kernelIlm15HIP_vector_typeIyLj2EES7_SF_ZZZNS5_IS7_EEvS9_mlSA_ENKSB_clEvENKSC_clEvEUlmE_EEvS9_T2_RKT3_T4_EUlimE_EEvlNS_15PhiloxCudaStateET1_SK_,comdat
.Lfunc_end12:
	.size	_ZN2at6native12_GLOBAL__N_143distribution_elementwise_grid_stride_kernelImLi2EZZZNS0_9templates4cuda21random_from_to_kernelIPNS_17CUDAGeneratorImplEEEvRNS_18TensorIteratorBaseEmlT_ENKUlvE_clEvENKUlvE2_clEvEUlP25hiprandStatePhilox4_32_10E_ZNS1_27distribution_nullary_kernelIlm15HIP_vector_typeIyLj2EES7_SF_ZZZNS5_IS7_EEvS9_mlSA_ENKSB_clEvENKSC_clEvEUlmE_EEvS9_T2_RKT3_T4_EUlimE_EEvlNS_15PhiloxCudaStateET1_SK_, .Lfunc_end12-_ZN2at6native12_GLOBAL__N_143distribution_elementwise_grid_stride_kernelImLi2EZZZNS0_9templates4cuda21random_from_to_kernelIPNS_17CUDAGeneratorImplEEEvRNS_18TensorIteratorBaseEmlT_ENKUlvE_clEvENKUlvE2_clEvEUlP25hiprandStatePhilox4_32_10E_ZNS1_27distribution_nullary_kernelIlm15HIP_vector_typeIyLj2EES7_SF_ZZZNS5_IS7_EEvS9_mlSA_ENKSB_clEvENKSC_clEvEUlmE_EEvS9_T2_RKT3_T4_EUlimE_EEvlNS_15PhiloxCudaStateET1_SK_
                                        ; -- End function
	.section	.AMDGPU.csdata,"",@progbits
; Kernel info:
; codeLenInByte = 4440
; NumSgprs: 25
; NumVgprs: 47
; ScratchSize: 0
; MemoryBound: 0
; FloatMode: 240
; IeeeMode: 1
; LDSByteSize: 0 bytes/workgroup (compile time only)
; SGPRBlocks: 3
; VGPRBlocks: 5
; NumSGPRsForWavesPerEU: 25
; NumVGPRsForWavesPerEU: 47
; Occupancy: 16
; WaveLimiterHint : 0
; COMPUTE_PGM_RSRC2:SCRATCH_EN: 0
; COMPUTE_PGM_RSRC2:USER_SGPR: 15
; COMPUTE_PGM_RSRC2:TRAP_HANDLER: 0
; COMPUTE_PGM_RSRC2:TGID_X_EN: 1
; COMPUTE_PGM_RSRC2:TGID_Y_EN: 0
; COMPUTE_PGM_RSRC2:TGID_Z_EN: 0
; COMPUTE_PGM_RSRC2:TIDIG_COMP_CNT: 0
	.section	.text._ZN2at6native12_GLOBAL__N_143distribution_elementwise_grid_stride_kernelImLi2EZZZNS0_9templates4cuda21random_from_to_kernelIPNS_17CUDAGeneratorImplEEEvRNS_18TensorIteratorBaseEmlT_ENKUlvE_clEvENKUlvE2_clEvEUlP25hiprandStatePhilox4_32_10E_ZNS1_27distribution_nullary_kernelIlm15HIP_vector_typeIyLj2EES7_SF_ZZZNS5_IS7_EEvS9_mlSA_ENKSB_clEvENKSC_clEvEUlmE_EEvS9_T2_RKT3_T4_EUlimE0_EEvlNS_15PhiloxCudaStateET1_SK_,"axG",@progbits,_ZN2at6native12_GLOBAL__N_143distribution_elementwise_grid_stride_kernelImLi2EZZZNS0_9templates4cuda21random_from_to_kernelIPNS_17CUDAGeneratorImplEEEvRNS_18TensorIteratorBaseEmlT_ENKUlvE_clEvENKUlvE2_clEvEUlP25hiprandStatePhilox4_32_10E_ZNS1_27distribution_nullary_kernelIlm15HIP_vector_typeIyLj2EES7_SF_ZZZNS5_IS7_EEvS9_mlSA_ENKSB_clEvENKSC_clEvEUlmE_EEvS9_T2_RKT3_T4_EUlimE0_EEvlNS_15PhiloxCudaStateET1_SK_,comdat
	.globl	_ZN2at6native12_GLOBAL__N_143distribution_elementwise_grid_stride_kernelImLi2EZZZNS0_9templates4cuda21random_from_to_kernelIPNS_17CUDAGeneratorImplEEEvRNS_18TensorIteratorBaseEmlT_ENKUlvE_clEvENKUlvE2_clEvEUlP25hiprandStatePhilox4_32_10E_ZNS1_27distribution_nullary_kernelIlm15HIP_vector_typeIyLj2EES7_SF_ZZZNS5_IS7_EEvS9_mlSA_ENKSB_clEvENKSC_clEvEUlmE_EEvS9_T2_RKT3_T4_EUlimE0_EEvlNS_15PhiloxCudaStateET1_SK_ ; -- Begin function _ZN2at6native12_GLOBAL__N_143distribution_elementwise_grid_stride_kernelImLi2EZZZNS0_9templates4cuda21random_from_to_kernelIPNS_17CUDAGeneratorImplEEEvRNS_18TensorIteratorBaseEmlT_ENKUlvE_clEvENKUlvE2_clEvEUlP25hiprandStatePhilox4_32_10E_ZNS1_27distribution_nullary_kernelIlm15HIP_vector_typeIyLj2EES7_SF_ZZZNS5_IS7_EEvS9_mlSA_ENKSB_clEvENKSC_clEvEUlmE_EEvS9_T2_RKT3_T4_EUlimE0_EEvlNS_15PhiloxCudaStateET1_SK_
	.p2align	8
	.type	_ZN2at6native12_GLOBAL__N_143distribution_elementwise_grid_stride_kernelImLi2EZZZNS0_9templates4cuda21random_from_to_kernelIPNS_17CUDAGeneratorImplEEEvRNS_18TensorIteratorBaseEmlT_ENKUlvE_clEvENKUlvE2_clEvEUlP25hiprandStatePhilox4_32_10E_ZNS1_27distribution_nullary_kernelIlm15HIP_vector_typeIyLj2EES7_SF_ZZZNS5_IS7_EEvS9_mlSA_ENKSB_clEvENKSC_clEvEUlmE_EEvS9_T2_RKT3_T4_EUlimE0_EEvlNS_15PhiloxCudaStateET1_SK_,@function
_ZN2at6native12_GLOBAL__N_143distribution_elementwise_grid_stride_kernelImLi2EZZZNS0_9templates4cuda21random_from_to_kernelIPNS_17CUDAGeneratorImplEEEvRNS_18TensorIteratorBaseEmlT_ENKUlvE_clEvENKUlvE2_clEvEUlP25hiprandStatePhilox4_32_10E_ZNS1_27distribution_nullary_kernelIlm15HIP_vector_typeIyLj2EES7_SF_ZZZNS5_IS7_EEvS9_mlSA_ENKSB_clEvENKSC_clEvEUlmE_EEvS9_T2_RKT3_T4_EUlimE0_EEvlNS_15PhiloxCudaStateET1_SK_: ; @_ZN2at6native12_GLOBAL__N_143distribution_elementwise_grid_stride_kernelImLi2EZZZNS0_9templates4cuda21random_from_to_kernelIPNS_17CUDAGeneratorImplEEEvRNS_18TensorIteratorBaseEmlT_ENKUlvE_clEvENKUlvE2_clEvEUlP25hiprandStatePhilox4_32_10E_ZNS1_27distribution_nullary_kernelIlm15HIP_vector_typeIyLj2EES7_SF_ZZZNS5_IS7_EEvS9_mlSA_ENKSB_clEvENKSC_clEvEUlmE_EEvS9_T2_RKT3_T4_EUlimE0_EEvlNS_15PhiloxCudaStateET1_SK_
; %bb.0:
	s_clause 0x2
	s_load_b64 s[4:5], s[0:1], 0x10
	s_load_b128 s[16:19], s[0:1], 0x0
	s_load_b32 s2, s[0:1], 0x20
	s_waitcnt lgkmcnt(0)
	v_dual_mov_b32 v2, s4 :: v_dual_mov_b32 v3, s5
	v_dual_mov_b32 v11, s18 :: v_dual_mov_b32 v12, s19
	s_bitcmp0_b32 s2, 0
	s_mov_b32 s2, 0
	s_cbranch_scc1 .LBB13_2
; %bb.1:
	v_dual_mov_b32 v1, s4 :: v_dual_mov_b32 v2, s5
	v_dual_mov_b32 v4, s18 :: v_dual_mov_b32 v5, s19
	s_load_b64 s[4:5], s[0:1], 0x18
	flat_load_b64 v[2:3], v[1:2]
	flat_load_b64 v[11:12], v[4:5]
	s_waitcnt vmcnt(1) lgkmcnt(0)
	v_add_co_u32 v2, vcc_lo, v2, s4
	v_add_co_ci_u32_e32 v3, vcc_lo, s5, v3, vcc_lo
.LBB13_2:
	s_clause 0x1
	s_load_b32 s3, s[0:1], 0x15c
	s_load_b32 s5, s[0:1], 0x150
	s_waitcnt lgkmcnt(0)
	s_and_b32 s4, s3, 0xffff
	s_add_u32 s6, s16, -1
	s_mul_i32 s28, s5, s4
	s_addc_u32 s3, s17, -1
	s_lshl_b32 s29, s28, 1
	s_cmp_lg_u64 s[2:3], 0
	s_cbranch_scc0 .LBB13_57
; %bb.3:
	v_cvt_f32_ubyte0_e32 v1, 0
	v_cvt_f32_u32_e32 v4, s29
	s_sub_u32 s8, 0, s29
	s_subb_u32 s9, 0, 0
	s_delay_alu instid0(VALU_DEP_1) | instskip(NEXT) | instid1(VALU_DEP_1)
	v_fmamk_f32 v1, v1, 0x4f800000, v4
	v_rcp_f32_e32 v1, v1
	s_waitcnt_depctr 0xfff
	v_mul_f32_e32 v1, 0x5f7ffffc, v1
	s_delay_alu instid0(VALU_DEP_1) | instskip(NEXT) | instid1(VALU_DEP_1)
	v_mul_f32_e32 v4, 0x2f800000, v1
	v_trunc_f32_e32 v4, v4
	s_delay_alu instid0(VALU_DEP_1) | instskip(SKIP_1) | instid1(VALU_DEP_2)
	v_fmamk_f32 v1, v4, 0xcf800000, v1
	v_cvt_u32_f32_e32 v4, v4
	v_cvt_u32_f32_e32 v1, v1
	s_delay_alu instid0(VALU_DEP_2) | instskip(NEXT) | instid1(VALU_DEP_2)
	v_readfirstlane_b32 s2, v4
	v_readfirstlane_b32 s7, v1
	s_delay_alu instid0(VALU_DEP_2) | instskip(NEXT) | instid1(VALU_DEP_1)
	s_mul_i32 s10, s8, s2
	s_mul_hi_u32 s12, s8, s7
	s_mul_i32 s11, s9, s7
	s_add_i32 s10, s12, s10
	s_mul_i32 s13, s8, s7
	s_add_i32 s10, s10, s11
	s_mul_hi_u32 s12, s7, s13
	s_mul_hi_u32 s14, s2, s13
	s_mul_i32 s11, s2, s13
	s_mul_hi_u32 s13, s7, s10
	s_mul_i32 s7, s7, s10
	s_mul_hi_u32 s18, s2, s10
	s_add_u32 s7, s12, s7
	s_addc_u32 s12, 0, s13
	s_add_u32 s7, s7, s11
	s_mul_i32 s10, s2, s10
	s_addc_u32 s7, s12, s14
	s_addc_u32 s11, s18, 0
	s_add_u32 s7, s7, s10
	s_addc_u32 s10, 0, s11
	v_add_co_u32 v1, s7, v1, s7
	s_delay_alu instid0(VALU_DEP_1) | instskip(SKIP_1) | instid1(VALU_DEP_1)
	s_cmp_lg_u32 s7, 0
	s_addc_u32 s2, s2, s10
	v_readfirstlane_b32 s7, v1
	s_mul_i32 s10, s8, s2
	s_delay_alu instid0(VALU_DEP_1)
	s_mul_hi_u32 s11, s8, s7
	s_mul_i32 s9, s9, s7
	s_add_i32 s10, s11, s10
	s_mul_i32 s8, s8, s7
	s_add_i32 s10, s10, s9
	s_mul_hi_u32 s11, s2, s8
	s_mul_i32 s12, s2, s8
	s_mul_hi_u32 s8, s7, s8
	s_mul_hi_u32 s13, s7, s10
	s_mul_i32 s7, s7, s10
	s_mul_hi_u32 s9, s2, s10
	s_add_u32 s7, s8, s7
	s_addc_u32 s8, 0, s13
	s_add_u32 s7, s7, s12
	s_mul_i32 s10, s2, s10
	s_addc_u32 s7, s8, s11
	s_addc_u32 s8, s9, 0
	s_add_u32 s7, s7, s10
	s_addc_u32 s8, 0, s8
	v_add_co_u32 v1, s7, v1, s7
	s_delay_alu instid0(VALU_DEP_1) | instskip(SKIP_2) | instid1(VALU_DEP_1)
	s_cmp_lg_u32 s7, 0
	s_addc_u32 s7, s2, s8
	s_ashr_i32 s8, s3, 31
	v_readfirstlane_b32 s10, v1
	s_add_u32 s2, s6, s8
	s_mov_b32 s9, s8
	s_addc_u32 s3, s3, s8
	s_delay_alu instid0(SALU_CYCLE_1) | instskip(NEXT) | instid1(SALU_CYCLE_1)
	s_xor_b64 s[2:3], s[2:3], s[8:9]
	s_mul_i32 s12, s2, s7
	s_mul_hi_u32 s13, s2, s10
	s_mul_hi_u32 s11, s2, s7
	;; [unrolled: 1-line block ×3, first 2 shown]
	s_mul_i32 s10, s3, s10
	s_add_u32 s12, s13, s12
	s_addc_u32 s11, 0, s11
	s_mul_hi_u32 s14, s3, s7
	s_add_u32 s10, s12, s10
	s_mul_i32 s7, s3, s7
	s_addc_u32 s10, s11, s18
	s_addc_u32 s11, s14, 0
	s_add_u32 s7, s10, s7
	s_addc_u32 s10, 0, s11
	s_mul_i32 s12, s29, s7
	s_add_u32 s11, s7, 1
	v_sub_co_u32 v1, s2, s2, s12
	s_mul_hi_u32 s12, s29, s7
	s_addc_u32 s13, s10, 0
	s_mul_i32 s14, s29, s10
	s_delay_alu instid0(VALU_DEP_1)
	v_sub_co_u32 v4, s18, v1, s29
	s_add_u32 s19, s7, 2
	s_addc_u32 s20, s10, 0
	s_add_i32 s12, s12, s14
	s_cmp_lg_u32 s2, 0
	v_readfirstlane_b32 s2, v4
	s_subb_u32 s3, s3, s12
	s_cmp_lg_u32 s18, 0
	s_subb_u32 s12, s3, 0
	s_delay_alu instid0(VALU_DEP_1) | instskip(SKIP_4) | instid1(SALU_CYCLE_1)
	s_cmp_ge_u32 s2, s29
	s_cselect_b32 s2, -1, 0
	s_cmp_eq_u32 s12, 0
	v_readfirstlane_b32 s12, v1
	s_cselect_b32 s2, s2, -1
	s_cmp_lg_u32 s2, 0
	s_cselect_b32 s2, s19, s11
	s_cselect_b32 s11, s20, s13
	s_cmp_ge_u32 s12, s29
	s_cselect_b32 s12, -1, 0
	s_cmp_eq_u32 s3, 0
	s_cselect_b32 s3, s12, -1
	s_delay_alu instid0(SALU_CYCLE_1) | instskip(SKIP_2) | instid1(SALU_CYCLE_1)
	s_cmp_lg_u32 s3, 0
	s_cselect_b32 s3, s11, s10
	s_cselect_b32 s2, s2, s7
	s_xor_b64 s[2:3], s[2:3], s[8:9]
	s_delay_alu instid0(SALU_CYCLE_1)
	s_sub_u32 s2, s2, s8
	s_subb_u32 s3, s3, s8
	s_cbranch_execnz .LBB13_5
.LBB13_4:
	v_cvt_f32_u32_e32 v1, s29
	s_sub_i32 s3, 0, s29
	s_delay_alu instid0(VALU_DEP_1) | instskip(SKIP_2) | instid1(VALU_DEP_1)
	v_rcp_iflag_f32_e32 v1, v1
	s_waitcnt_depctr 0xfff
	v_mul_f32_e32 v1, 0x4f7ffffe, v1
	v_cvt_u32_f32_e32 v1, v1
	s_delay_alu instid0(VALU_DEP_1) | instskip(NEXT) | instid1(VALU_DEP_1)
	v_readfirstlane_b32 s2, v1
	s_mul_i32 s3, s3, s2
	s_delay_alu instid0(SALU_CYCLE_1) | instskip(NEXT) | instid1(SALU_CYCLE_1)
	s_mul_hi_u32 s3, s2, s3
	s_add_i32 s2, s2, s3
	s_delay_alu instid0(SALU_CYCLE_1) | instskip(NEXT) | instid1(SALU_CYCLE_1)
	s_mul_hi_u32 s2, s6, s2
	s_mul_i32 s3, s2, s29
	s_delay_alu instid0(SALU_CYCLE_1)
	s_sub_i32 s3, s6, s3
	s_add_i32 s6, s2, 1
	s_sub_i32 s7, s3, s29
	s_cmp_ge_u32 s3, s29
	s_cselect_b32 s2, s6, s2
	s_cselect_b32 s3, s7, s3
	s_add_i32 s6, s2, 1
	s_cmp_ge_u32 s3, s29
	s_mov_b32 s3, 0
	s_cselect_b32 s2, s6, s2
.LBB13_5:
	v_mov_b32_e32 v13, 0
	s_add_u32 s2, s2, 1
	s_addc_u32 s3, s3, 0
	s_mul_hi_u32 s5, s5, s4
	s_mul_hi_u32 s6, s28, s2
	v_mov_b32_e32 v1, v13
	s_mul_i32 s3, s28, s3
	s_mul_i32 s5, s5, s2
	s_add_i32 s3, s6, s3
	s_mul_i32 s2, s28, s2
	v_mad_u64_u32 v[15:16], null, s4, s15, v[0:1]
	s_add_i32 s3, s3, s5
	s_mov_b32 s4, exec_lo
	s_lshl_b64 s[2:3], s[2:3], 1
	s_delay_alu instid0(VALU_DEP_1) | instid1(SALU_CYCLE_1)
	v_cmpx_gt_i64_e64 s[2:3], v[15:16]
	s_cbranch_execz .LBB13_56
; %bb.6:
	v_alignbit_b32 v19, v3, v2, 2
	v_mad_u64_u32 v[4:5], null, 0xcd9e8d57, v15, 0
	v_lshrrev_b32_e32 v20, 2, v3
	s_waitcnt vmcnt(0)
	v_dual_mov_b32 v9, v12 :: v_dual_add_nc_u32 v30, 0x8ff34781, v11
	v_mad_u64_u32 v[0:1], null, 0xd2511f53, v19, 0
	v_add_co_u32 v22, null, 0x9e3779b9, v11
	v_xor3_b32 v3, v11, v5, v20
	s_delay_alu instid0(VALU_DEP_4) | instskip(SKIP_2) | instid1(VALU_DEP_4)
	v_add_co_u32 v21, null, 0xbb67ae85, v9
	v_add_co_u32 v23, null, 0x3c6ef372, v11
	v_xor_b32_e32 v1, v1, v12
	v_mad_u64_u32 v[5:6], null, 0xd2511f53, v3, 0
	v_add_co_u32 v24, null, 0x76cf5d0a, v9
	s_delay_alu instid0(VALU_DEP_3) | instskip(SKIP_2) | instid1(VALU_DEP_3)
	v_xor_b32_e32 v1, v1, v16
	v_add_co_u32 v25, null, 0x32370b8f, v9
	v_add_co_u32 v26, null, 0xdaa66d2b, v11
	v_mad_u64_u32 v[7:8], null, 0xcd9e8d57, v1, 0
	v_xor3_b32 v3, v21, v6, v0
	v_add_co_u32 v27, null, 0x78dde6e4, v11
	v_add_co_u32 v28, null, 0xed9eba14, v9
	s_delay_alu instid0(VALU_DEP_3) | instskip(SKIP_3) | instid1(VALU_DEP_3)
	v_mad_u64_u32 v[0:1], null, 0xcd9e8d57, v3, 0
	v_xor3_b32 v6, v22, v8, v4
	v_dual_mov_b32 v40, v15 :: v_dual_and_b32 v29, 3, v2
	v_add_co_u32 v31, null, 0xa9066899, v9
	v_mad_u64_u32 v[3:4], null, 0xd2511f53, v6, 0
	v_xor3_b32 v1, v23, v1, v7
	v_add_co_u32 v32, null, 0x1715609d, v11
	v_add_co_u32 v34, null, 0xb54cda56, v11
	;; [unrolled: 1-line block ×3, first 2 shown]
	v_xor3_b32 v8, v24, v4, v5
	v_mad_u64_u32 v[4:5], null, 0xd2511f53, v1, 0
	s_load_b256 s[4:11], s[0:1], 0x30
	v_add_co_u32 v33, null, 0x5384540f, v11
	s_delay_alu instid0(VALU_DEP_3) | instskip(SKIP_1) | instid1(VALU_DEP_4)
	v_mad_u64_u32 v[6:7], null, 0xcd9e8d57, v8, 0
	v_add_co_u32 v37, null, 0x1fd5c5a3, v9
	v_xor3_b32 v3, v25, v5, v3
	v_add_co_u32 v35, null, 0xf1bbcdc8, v11
	v_add_co_u32 v38, null, 0xdb3d7428, v9
	v_xor3_b32 v5, v26, v7, v0
	s_delay_alu instid0(VALU_DEP_4) | instskip(SKIP_2) | instid1(VALU_DEP_2)
	v_mad_u64_u32 v[0:1], null, 0xcd9e8d57, v3, 0
	s_add_u32 s18, s0, 48
	s_load_b64 s[20:21], s[0:1], 0x148
	v_mad_u64_u32 v[7:8], null, 0xd2511f53, v5, 0
	s_clause 0x1
	s_load_b64 s[22:23], s[0:1], 0xf4
	s_load_b128 s[12:15], s[0:1], 0x138
	s_addc_u32 s19, s1, 0
	v_xor3_b32 v3, v27, v1, v6
	s_waitcnt lgkmcnt(0)
	s_add_i32 s26, s4, -1
	v_add_nc_u32_e32 v39, 0x96a522ad, v12
	s_cmp_gt_u32 s26, 1
	v_xor3_b32 v5, v28, v8, v4
	v_mad_u64_u32 v[1:2], null, 0xd2511f53, v3, 0
	s_cselect_b32 s11, -1, 0
	s_cmp_lg_u32 s4, 0
	s_delay_alu instid0(VALU_DEP_2) | instskip(SKIP_2) | instid1(VALU_DEP_2)
	v_mad_u64_u32 v[3:4], null, 0xcd9e8d57, v5, 0
	s_cselect_b32 s31, -1, 0
	s_add_u32 s24, s0, 0xf4
	v_xor3_b32 v2, v31, v2, v7
	s_addc_u32 s25, s1, 0
	s_min_u32 s0, s26, 15
	s_cmp_gt_u32 s4, 1
	s_delay_alu instid0(VALU_DEP_2) | instskip(SKIP_3) | instid1(VALU_DEP_2)
	v_xor3_b32 v0, v32, v4, v0
	v_mad_u64_u32 v[4:5], null, 0xcd9e8d57, v2, 0
	s_cselect_b32 s4, -1, 0
	s_add_i32 s0, s0, 1
	v_mad_u64_u32 v[6:7], null, 0xd2511f53, v0, 0
	s_and_b32 s33, s0, 3
	s_cmp_lg_u32 s26, 2
	s_delay_alu instid0(VALU_DEP_2) | instskip(SKIP_3) | instid1(VALU_DEP_3)
	v_xor3_b32 v2, v34, v5, v3
	s_cselect_b32 s34, -1, 0
	s_and_b32 s35, s0, 28
	v_mov_b32_e32 v41, v16
	v_xor3_b32 v5, v36, v7, v1
	v_mad_u64_u32 v[0:1], null, 0xd2511f53, v2, 0
	s_cmp_lg_u32 s33, 0
	s_mov_b32 s30, 0
	s_delay_alu instid0(VALU_DEP_2) | instskip(SKIP_1) | instid1(VALU_DEP_2)
	v_mad_u64_u32 v[2:3], null, 0xcd9e8d57, v5, 0
	s_cselect_b32 s36, -1, 0
	v_xor3_b32 v1, v37, v1, v6
	s_delay_alu instid0(VALU_DEP_2) | instskip(NEXT) | instid1(VALU_DEP_2)
	v_xor3_b32 v3, v33, v3, v4
	v_mad_u64_u32 v[4:5], null, 0xcd9e8d57, v1, 0
	s_delay_alu instid0(VALU_DEP_2) | instskip(NEXT) | instid1(VALU_DEP_2)
	v_mad_u64_u32 v[6:7], null, 0xd2511f53, v3, 0
	v_xor3_b32 v1, v35, v5, v2
	s_delay_alu instid0(VALU_DEP_2) | instskip(NEXT) | instid1(VALU_DEP_2)
	v_xor3_b32 v0, v38, v7, v0
	v_mad_u64_u32 v[7:8], null, 0xd2511f53, v1, 0
	s_delay_alu instid0(VALU_DEP_2) | instskip(NEXT) | instid1(VALU_DEP_2)
	v_mad_u64_u32 v[1:2], null, 0xcd9e8d57, v0, 0
	v_mov_b32_e32 v3, v7
	s_delay_alu instid0(VALU_DEP_2) | instskip(NEXT) | instid1(VALU_DEP_4)
	v_xor3_b32 v0, v2, v4, v30
	v_xor3_b32 v2, v8, v6, v39
	s_branch .LBB13_9
.LBB13_7:                               ;   in Loop: Header=BB13_9 Depth=1
	s_or_b32 exec_lo, exec_lo, s0
	s_delay_alu instid0(VALU_DEP_1)
	v_add_co_u32 v0, vcc_lo, v8, s20
	v_add_co_ci_u32_e32 v1, vcc_lo, s21, v9, vcc_lo
	global_store_b64 v7, v[0:1], s[12:13]
.LBB13_8:                               ;   in Loop: Header=BB13_9 Depth=1
	s_or_b32 exec_lo, exec_lo, s37
	v_add_co_u32 v15, vcc_lo, v15, s29
	v_add_co_ci_u32_e32 v16, vcc_lo, 0, v16, vcc_lo
	v_mov_b32_e32 v7, v17
	v_dual_mov_b32 v0, v4 :: v_dual_mov_b32 v1, v5
	s_delay_alu instid0(VALU_DEP_3) | instskip(NEXT) | instid1(VALU_DEP_3)
	v_cmp_le_i64_e32 vcc_lo, s[2:3], v[15:16]
	v_dual_mov_b32 v2, v6 :: v_dual_mov_b32 v3, v7
	s_waitcnt_vscnt null, 0x0
	s_barrier
	buffer_gl0_inv
	s_or_b32 s30, vcc_lo, s30
	s_delay_alu instid0(SALU_CYCLE_1)
	s_and_not1_b32 exec_lo, exec_lo, s30
	s_cbranch_execz .LBB13_56
.LBB13_9:                               ; =>This Loop Header: Depth=1
                                        ;     Child Loop BB13_24 Depth 2
                                        ;     Child Loop BB13_29 Depth 2
	;; [unrolled: 1-line block ×4, first 2 shown]
	v_add_co_u32 v19, vcc_lo, v19, 1
	s_delay_alu instid0(VALU_DEP_1) | instskip(SKIP_2) | instid1(VALU_DEP_1)
	v_cndmask_b32_e64 v4, 0, 1, vcc_lo
	v_add_co_ci_u32_e32 v20, vcc_lo, 0, v20, vcc_lo
	s_mov_b32 s0, exec_lo
	v_cmp_eq_u32_e32 vcc_lo, 0, v20
	s_delay_alu instid0(VALU_DEP_3) | instskip(NEXT) | instid1(VALU_DEP_1)
	v_cndmask_b32_e32 v4, 0, v4, vcc_lo
	v_add_nc_u32_e32 v40, v4, v40
	s_delay_alu instid0(VALU_DEP_1) | instskip(SKIP_2) | instid1(VALU_DEP_2)
	v_cmp_eq_u32_e32 vcc_lo, 0, v40
	v_mad_u64_u32 v[6:7], null, 0xcd9e8d57, v40, 0
	v_cndmask_b32_e32 v4, 0, v4, vcc_lo
	v_xor3_b32 v9, v7, v11, v20
	s_delay_alu instid0(VALU_DEP_2) | instskip(SKIP_1) | instid1(VALU_DEP_3)
	v_add_nc_u32_e32 v41, v4, v41
	v_mad_u64_u32 v[4:5], null, 0xd2511f53, v19, 0
	v_mad_u64_u32 v[7:8], null, 0xd2511f53, v9, 0
	s_delay_alu instid0(VALU_DEP_2) | instskip(NEXT) | instid1(VALU_DEP_2)
	v_xor_b32_e32 v5, v5, v12
	v_xor3_b32 v8, v21, v8, v4
	s_delay_alu instid0(VALU_DEP_2) | instskip(NEXT) | instid1(VALU_DEP_1)
	v_xor_b32_e32 v5, v41, v5
	v_mad_u64_u32 v[9:10], null, 0xcd9e8d57, v5, 0
	s_delay_alu instid0(VALU_DEP_3) | instskip(NEXT) | instid1(VALU_DEP_2)
	v_mad_u64_u32 v[4:5], null, 0xcd9e8d57, v8, 0
	v_xor3_b32 v6, v22, v10, v6
	s_delay_alu instid0(VALU_DEP_2) | instskip(NEXT) | instid1(VALU_DEP_2)
	v_xor3_b32 v8, v23, v5, v9
	v_mad_u64_u32 v[17:18], null, 0xd2511f53, v6, 0
	s_delay_alu instid0(VALU_DEP_2) | instskip(NEXT) | instid1(VALU_DEP_2)
	v_mad_u64_u32 v[5:6], null, 0xd2511f53, v8, 0
	v_xor3_b32 v9, v24, v18, v7
	s_delay_alu instid0(VALU_DEP_2) | instskip(NEXT) | instid1(VALU_DEP_2)
	v_xor3_b32 v6, v25, v6, v17
	v_mad_u64_u32 v[7:8], null, 0xcd9e8d57, v9, 0
	s_delay_alu instid0(VALU_DEP_1) | instskip(NEXT) | instid1(VALU_DEP_3)
	v_xor3_b32 v4, v26, v8, v4
	v_mad_u64_u32 v[8:9], null, 0xcd9e8d57, v6, 0
	s_delay_alu instid0(VALU_DEP_2) | instskip(NEXT) | instid1(VALU_DEP_2)
	v_mad_u64_u32 v[17:18], null, 0xd2511f53, v4, 0
	v_xor3_b32 v6, v27, v9, v7
	s_delay_alu instid0(VALU_DEP_2) | instskip(NEXT) | instid1(VALU_DEP_2)
	v_xor3_b32 v9, v28, v18, v5
	v_mad_u64_u32 v[4:5], null, 0xd2511f53, v6, 0
	s_delay_alu instid0(VALU_DEP_2) | instskip(NEXT) | instid1(VALU_DEP_2)
	v_mad_u64_u32 v[6:7], null, 0xcd9e8d57, v9, 0
	v_xor3_b32 v5, v31, v5, v17
	s_delay_alu instid0(VALU_DEP_2) | instskip(NEXT) | instid1(VALU_DEP_2)
	;; [unrolled: 6-line block ×6, first 2 shown]
	v_xor3_b32 v4, v6, v7, v30
	v_mov_b32_e32 v6, v10
	v_cmpx_lt_i32_e32 1, v29
	s_xor_b32 s0, exec_lo, s0
	s_cbranch_execnz .LBB13_12
; %bb.10:                               ;   in Loop: Header=BB13_9 Depth=1
	s_and_not1_saveexec_b32 s0, s0
	s_cbranch_execnz .LBB13_17
.LBB13_11:                              ;   in Loop: Header=BB13_9 Depth=1
	s_or_b32 exec_lo, exec_lo, s0
	s_delay_alu instid0(SALU_CYCLE_1)
	s_mov_b32 s37, exec_lo
	v_cmpx_gt_i64_e64 s[16:17], v[15:16]
	s_cbranch_execnz .LBB13_20
	s_branch .LBB13_38
.LBB13_12:                              ;   in Loop: Header=BB13_9 Depth=1
	s_mov_b32 s1, exec_lo
	v_cmpx_lt_i32_e32 2, v29
	s_xor_b32 s1, exec_lo, s1
; %bb.13:                               ;   in Loop: Header=BB13_9 Depth=1
	v_dual_mov_b32 v7, v3 :: v_dual_mov_b32 v8, v4
	v_mov_b32_e32 v9, v5
	s_delay_alu instid0(VALU_DEP_2) | instskip(NEXT) | instid1(VALU_DEP_2)
	v_dual_mov_b32 v0, v7 :: v_dual_mov_b32 v1, v8
	v_dual_mov_b32 v2, v9 :: v_dual_mov_b32 v3, v10
; %bb.14:                               ;   in Loop: Header=BB13_9 Depth=1
	s_and_not1_saveexec_b32 s1, s1
; %bb.15:                               ;   in Loop: Header=BB13_9 Depth=1
	s_delay_alu instid0(VALU_DEP_1)
	v_dual_mov_b32 v0, v2 :: v_dual_mov_b32 v1, v3
	v_dual_mov_b32 v2, v4 :: v_dual_mov_b32 v3, v5
; %bb.16:                               ;   in Loop: Header=BB13_9 Depth=1
	s_or_b32 exec_lo, exec_lo, s1
	s_and_not1_saveexec_b32 s0, s0
	s_cbranch_execz .LBB13_11
.LBB13_17:                              ;   in Loop: Header=BB13_9 Depth=1
	s_mov_b32 s1, exec_lo
	v_cmpx_eq_u32_e32 1, v29
; %bb.18:                               ;   in Loop: Header=BB13_9 Depth=1
	v_dual_mov_b32 v0, v1 :: v_dual_mov_b32 v1, v2
	v_dual_mov_b32 v2, v3 :: v_dual_mov_b32 v3, v4
; %bb.19:                               ;   in Loop: Header=BB13_9 Depth=1
	s_or_b32 exec_lo, exec_lo, s1
	s_delay_alu instid0(SALU_CYCLE_1) | instskip(NEXT) | instid1(SALU_CYCLE_1)
	s_or_b32 exec_lo, exec_lo, s0
	s_mov_b32 s37, exec_lo
	v_cmpx_gt_i64_e64 s[16:17], v[15:16]
	s_cbranch_execz .LBB13_38
.LBB13_20:                              ;   in Loop: Header=BB13_9 Depth=1
	s_and_not1_b32 vcc_lo, exec_lo, s11
	s_cbranch_vccnz .LBB13_26
; %bb.21:                               ;   in Loop: Header=BB13_9 Depth=1
	v_mov_b32_e32 v7, 0
	s_and_not1_b32 vcc_lo, exec_lo, s31
	s_cbranch_vccnz .LBB13_30
; %bb.22:                               ;   in Loop: Header=BB13_9 Depth=1
	s_and_not1_b32 vcc_lo, exec_lo, s34
	s_mov_b32 s0, 0
	s_cbranch_vccnz .LBB13_27
; %bb.23:                               ;   in Loop: Header=BB13_9 Depth=1
	v_dual_mov_b32 v7, 0 :: v_dual_mov_b32 v8, v15
	s_mov_b32 s38, 0
	s_mov_b64 s[0:1], s[18:19]
	s_mov_b64 s[26:27], s[24:25]
.LBB13_24:                              ;   Parent Loop BB13_9 Depth=1
                                        ; =>  This Inner Loop Header: Depth=2
	s_clause 0x1
	s_load_b256 s[40:47], s[0:1], 0x4
	s_load_b128 s[48:51], s[0:1], 0x24
	s_load_b128 s[52:55], s[26:27], 0x0
	s_add_u32 s0, s0, 48
	s_addc_u32 s1, s1, 0
	s_add_i32 s38, s38, 4
	s_add_u32 s26, s26, 16
	s_addc_u32 s27, s27, 0
	s_cmp_lg_u32 s35, s38
	s_waitcnt lgkmcnt(0)
	v_mul_hi_u32 v9, s41, v8
	s_delay_alu instid0(VALU_DEP_1) | instskip(NEXT) | instid1(VALU_DEP_1)
	v_add_nc_u32_e32 v9, v8, v9
	v_lshrrev_b32_e32 v9, s42, v9
	s_delay_alu instid0(VALU_DEP_1) | instskip(SKIP_1) | instid1(VALU_DEP_2)
	v_mul_hi_u32 v10, s44, v9
	v_mul_lo_u32 v42, v9, s40
	v_add_nc_u32_e32 v10, v9, v10
	s_delay_alu instid0(VALU_DEP_2) | instskip(NEXT) | instid1(VALU_DEP_2)
	v_sub_nc_u32_e32 v42, v8, v42
	v_lshrrev_b32_e32 v10, s45, v10
	s_delay_alu instid0(VALU_DEP_2) | instskip(NEXT) | instid1(VALU_DEP_2)
	v_mul_lo_u32 v42, v42, s52
	v_mul_hi_u32 v14, s47, v10
	v_mul_lo_u32 v43, v10, s43
	s_delay_alu instid0(VALU_DEP_2) | instskip(NEXT) | instid1(VALU_DEP_2)
	v_add_nc_u32_e32 v14, v10, v14
	v_sub_nc_u32_e32 v9, v9, v43
	s_delay_alu instid0(VALU_DEP_2) | instskip(NEXT) | instid1(VALU_DEP_2)
	v_lshrrev_b32_e32 v14, s48, v14
	v_mul_lo_u32 v9, v9, s53
	s_delay_alu instid0(VALU_DEP_2) | instskip(NEXT) | instid1(VALU_DEP_2)
	v_mul_hi_u32 v18, s50, v14
	v_add3_u32 v7, v42, v7, v9
	s_delay_alu instid0(VALU_DEP_2) | instskip(NEXT) | instid1(VALU_DEP_1)
	v_add_nc_u32_e32 v18, v14, v18
	v_lshrrev_b32_e32 v8, s51, v18
	v_mul_lo_u32 v18, v14, s46
	s_delay_alu instid0(VALU_DEP_2) | instskip(NEXT) | instid1(VALU_DEP_2)
	v_mul_lo_u32 v44, v8, s49
	v_sub_nc_u32_e32 v10, v10, v18
	s_delay_alu instid0(VALU_DEP_2) | instskip(NEXT) | instid1(VALU_DEP_2)
	v_sub_nc_u32_e32 v14, v14, v44
	v_mul_lo_u32 v10, v10, s54
	s_delay_alu instid0(VALU_DEP_2) | instskip(NEXT) | instid1(VALU_DEP_1)
	v_mul_lo_u32 v14, v14, s55
	v_add3_u32 v7, v10, v7, v14
	s_cbranch_scc1 .LBB13_24
; %bb.25:                               ;   in Loop: Header=BB13_9 Depth=1
	s_mov_b32 s0, s35
	s_and_not1_b32 vcc_lo, exec_lo, s36
	s_cbranch_vccz .LBB13_28
	s_branch .LBB13_30
.LBB13_26:                              ;   in Loop: Header=BB13_9 Depth=1
                                        ; implicit-def: $vgpr7
	s_branch .LBB13_31
.LBB13_27:                              ;   in Loop: Header=BB13_9 Depth=1
	v_mov_b32_e32 v8, v15
	s_and_not1_b32 vcc_lo, exec_lo, s36
	s_cbranch_vccnz .LBB13_30
.LBB13_28:                              ;   in Loop: Header=BB13_9 Depth=1
	s_lshl_b32 s1, s0, 2
	s_mul_i32 s26, s0, 12
	s_add_u32 s0, s24, s1
	s_addc_u32 s1, s25, 0
	s_add_u32 s26, s18, s26
	s_addc_u32 s27, s19, 0
	s_mov_b32 s38, s33
	.p2align	6
.LBB13_29:                              ;   Parent Loop BB13_9 Depth=1
                                        ; =>  This Inner Loop Header: Depth=2
	s_clause 0x1
	s_load_b64 s[40:41], s[26:27], 0x4
	s_load_b32 s39, s[26:27], 0xc
	s_add_u32 s26, s26, 12
	s_addc_u32 s27, s27, 0
	s_waitcnt lgkmcnt(0)
	v_mul_hi_u32 v9, s41, v8
	s_load_b32 s41, s[0:1], 0x0
	s_add_u32 s0, s0, 4
	s_addc_u32 s1, s1, 0
	s_add_i32 s38, s38, -1
	s_delay_alu instid0(SALU_CYCLE_1) | instskip(NEXT) | instid1(VALU_DEP_1)
	s_cmp_lg_u32 s38, 0
	v_add_nc_u32_e32 v9, v8, v9
	s_delay_alu instid0(VALU_DEP_1) | instskip(NEXT) | instid1(VALU_DEP_1)
	v_lshrrev_b32_e32 v14, s39, v9
	v_mul_lo_u32 v9, v14, s40
	s_delay_alu instid0(VALU_DEP_1) | instskip(SKIP_1) | instid1(VALU_DEP_1)
	v_sub_nc_u32_e32 v8, v8, v9
	s_waitcnt lgkmcnt(0)
	v_mad_u64_u32 v[9:10], null, v8, s41, v[7:8]
	s_delay_alu instid0(VALU_DEP_1)
	v_dual_mov_b32 v8, v14 :: v_dual_mov_b32 v7, v9
	s_cbranch_scc1 .LBB13_29
.LBB13_30:                              ;   in Loop: Header=BB13_9 Depth=1
	s_cbranch_execnz .LBB13_33
.LBB13_31:                              ;   in Loop: Header=BB13_9 Depth=1
	v_mul_hi_u32 v7, v15, s6
	s_and_not1_b32 vcc_lo, exec_lo, s4
	s_delay_alu instid0(VALU_DEP_1) | instskip(NEXT) | instid1(VALU_DEP_1)
	v_add_nc_u32_e32 v7, v7, v15
	v_lshrrev_b32_e32 v8, s7, v7
	s_delay_alu instid0(VALU_DEP_1) | instskip(NEXT) | instid1(VALU_DEP_1)
	v_mul_lo_u32 v7, v8, s5
	v_sub_nc_u32_e32 v7, v15, v7
	s_delay_alu instid0(VALU_DEP_1)
	v_mul_lo_u32 v7, v7, s22
	s_cbranch_vccnz .LBB13_33
; %bb.32:                               ;   in Loop: Header=BB13_9 Depth=1
	v_mul_hi_u32 v9, s9, v8
	s_delay_alu instid0(VALU_DEP_1) | instskip(NEXT) | instid1(VALU_DEP_1)
	v_add_nc_u32_e32 v9, v8, v9
	v_lshrrev_b32_e32 v9, s10, v9
	s_delay_alu instid0(VALU_DEP_1) | instskip(NEXT) | instid1(VALU_DEP_1)
	v_mul_lo_u32 v9, v9, s8
	v_sub_nc_u32_e32 v10, v8, v9
	s_delay_alu instid0(VALU_DEP_1) | instskip(NEXT) | instid1(VALU_DEP_1)
	v_mad_u64_u32 v[8:9], null, v10, s23, v[7:8]
	v_mov_b32_e32 v7, v8
.LBB13_33:                              ;   in Loop: Header=BB13_9 Depth=1
	v_or_b32_e32 v14, s15, v0
                                        ; implicit-def: $vgpr8_vgpr9
	s_mov_b32 s0, exec_lo
	s_delay_alu instid0(VALU_DEP_1)
	v_cmpx_ne_u64_e32 0, v[13:14]
	s_xor_b32 s1, exec_lo, s0
	s_cbranch_execz .LBB13_35
; %bb.34:                               ;   in Loop: Header=BB13_9 Depth=1
	v_cvt_f32_u32_e32 v8, s14
	v_cvt_f32_u32_e32 v9, s15
	s_sub_u32 s0, 0, s14
	s_subb_u32 s26, 0, s15
	s_delay_alu instid0(VALU_DEP_1) | instskip(NEXT) | instid1(VALU_DEP_1)
	v_fmac_f32_e32 v8, 0x4f800000, v9
	v_rcp_f32_e32 v8, v8
	s_waitcnt_depctr 0xfff
	v_mul_f32_e32 v8, 0x5f7ffffc, v8
	s_delay_alu instid0(VALU_DEP_1) | instskip(NEXT) | instid1(VALU_DEP_1)
	v_mul_f32_e32 v9, 0x2f800000, v8
	v_trunc_f32_e32 v9, v9
	s_delay_alu instid0(VALU_DEP_1) | instskip(SKIP_1) | instid1(VALU_DEP_2)
	v_fmac_f32_e32 v8, 0xcf800000, v9
	v_cvt_u32_f32_e32 v9, v9
	v_cvt_u32_f32_e32 v8, v8
	s_delay_alu instid0(VALU_DEP_2) | instskip(NEXT) | instid1(VALU_DEP_2)
	v_mul_lo_u32 v10, s0, v9
	v_mul_hi_u32 v14, s0, v8
	v_mul_lo_u32 v18, s26, v8
	s_delay_alu instid0(VALU_DEP_2) | instskip(SKIP_1) | instid1(VALU_DEP_2)
	v_add_nc_u32_e32 v10, v14, v10
	v_mul_lo_u32 v14, s0, v8
	v_add_nc_u32_e32 v10, v10, v18
	s_delay_alu instid0(VALU_DEP_2) | instskip(NEXT) | instid1(VALU_DEP_2)
	v_mul_hi_u32 v18, v8, v14
	v_mul_lo_u32 v42, v8, v10
	v_mul_hi_u32 v43, v8, v10
	v_mul_hi_u32 v44, v9, v14
	v_mul_lo_u32 v14, v9, v14
	v_mul_hi_u32 v45, v9, v10
	v_mul_lo_u32 v10, v9, v10
	v_add_co_u32 v18, vcc_lo, v18, v42
	v_add_co_ci_u32_e32 v42, vcc_lo, 0, v43, vcc_lo
	s_delay_alu instid0(VALU_DEP_2) | instskip(NEXT) | instid1(VALU_DEP_2)
	v_add_co_u32 v14, vcc_lo, v18, v14
	v_add_co_ci_u32_e32 v14, vcc_lo, v42, v44, vcc_lo
	v_add_co_ci_u32_e32 v18, vcc_lo, 0, v45, vcc_lo
	s_delay_alu instid0(VALU_DEP_2) | instskip(NEXT) | instid1(VALU_DEP_2)
	v_add_co_u32 v10, vcc_lo, v14, v10
	v_add_co_ci_u32_e32 v14, vcc_lo, 0, v18, vcc_lo
	s_delay_alu instid0(VALU_DEP_2) | instskip(NEXT) | instid1(VALU_DEP_2)
	v_add_co_u32 v8, vcc_lo, v8, v10
	v_add_co_ci_u32_e32 v9, vcc_lo, v9, v14, vcc_lo
	s_delay_alu instid0(VALU_DEP_2) | instskip(SKIP_1) | instid1(VALU_DEP_3)
	v_mul_hi_u32 v10, s0, v8
	v_mul_lo_u32 v18, s26, v8
	v_mul_lo_u32 v14, s0, v9
	s_delay_alu instid0(VALU_DEP_1) | instskip(SKIP_1) | instid1(VALU_DEP_2)
	v_add_nc_u32_e32 v10, v10, v14
	v_mul_lo_u32 v14, s0, v8
	v_add_nc_u32_e32 v10, v10, v18
	s_delay_alu instid0(VALU_DEP_2) | instskip(NEXT) | instid1(VALU_DEP_2)
	v_mul_hi_u32 v18, v8, v14
	v_mul_lo_u32 v42, v8, v10
	v_mul_hi_u32 v43, v8, v10
	v_mul_hi_u32 v44, v9, v14
	v_mul_lo_u32 v14, v9, v14
	v_mul_hi_u32 v45, v9, v10
	v_mul_lo_u32 v10, v9, v10
	v_add_co_u32 v18, vcc_lo, v18, v42
	v_add_co_ci_u32_e32 v42, vcc_lo, 0, v43, vcc_lo
	s_delay_alu instid0(VALU_DEP_2) | instskip(NEXT) | instid1(VALU_DEP_2)
	v_add_co_u32 v14, vcc_lo, v18, v14
	v_add_co_ci_u32_e32 v14, vcc_lo, v42, v44, vcc_lo
	v_add_co_ci_u32_e32 v18, vcc_lo, 0, v45, vcc_lo
	s_delay_alu instid0(VALU_DEP_2) | instskip(NEXT) | instid1(VALU_DEP_2)
	v_add_co_u32 v10, vcc_lo, v14, v10
	v_add_co_ci_u32_e32 v14, vcc_lo, 0, v18, vcc_lo
	s_delay_alu instid0(VALU_DEP_2) | instskip(NEXT) | instid1(VALU_DEP_2)
	v_add_co_u32 v10, vcc_lo, v8, v10
	v_add_co_ci_u32_e32 v14, vcc_lo, v9, v14, vcc_lo
	s_delay_alu instid0(VALU_DEP_2) | instskip(SKIP_1) | instid1(VALU_DEP_3)
	v_mul_hi_u32 v18, v1, v10
	v_mad_u64_u32 v[42:43], null, v0, v10, 0
	v_mad_u64_u32 v[8:9], null, v1, v14, 0
	;; [unrolled: 1-line block ×3, first 2 shown]
	s_delay_alu instid0(VALU_DEP_2) | instskip(NEXT) | instid1(VALU_DEP_3)
	v_add_co_u32 v8, vcc_lo, v18, v8
	v_add_co_ci_u32_e32 v9, vcc_lo, 0, v9, vcc_lo
	s_delay_alu instid0(VALU_DEP_2) | instskip(NEXT) | instid1(VALU_DEP_2)
	v_add_co_u32 v8, vcc_lo, v8, v42
	v_add_co_ci_u32_e32 v8, vcc_lo, v9, v43, vcc_lo
	v_add_co_ci_u32_e32 v9, vcc_lo, 0, v45, vcc_lo
	s_delay_alu instid0(VALU_DEP_2) | instskip(NEXT) | instid1(VALU_DEP_2)
	v_add_co_u32 v10, vcc_lo, v8, v44
	v_add_co_ci_u32_e32 v14, vcc_lo, 0, v9, vcc_lo
	s_delay_alu instid0(VALU_DEP_2) | instskip(SKIP_1) | instid1(VALU_DEP_3)
	v_mul_lo_u32 v18, s15, v10
	v_mad_u64_u32 v[8:9], null, s14, v10, 0
	v_mul_lo_u32 v10, s14, v14
	s_delay_alu instid0(VALU_DEP_2) | instskip(NEXT) | instid1(VALU_DEP_2)
	v_sub_co_u32 v8, vcc_lo, v1, v8
	v_add3_u32 v9, v9, v10, v18
	s_delay_alu instid0(VALU_DEP_1) | instskip(NEXT) | instid1(VALU_DEP_1)
	v_sub_nc_u32_e32 v10, v0, v9
	v_subrev_co_ci_u32_e64 v10, s0, s15, v10, vcc_lo
	v_sub_co_ci_u32_e32 v0, vcc_lo, v0, v9, vcc_lo
	v_sub_co_u32 v9, vcc_lo, v8, s14
	s_delay_alu instid0(VALU_DEP_1) | instskip(SKIP_3) | instid1(VALU_DEP_3)
	v_subrev_co_ci_u32_e64 v14, s0, 0, v10, vcc_lo
	v_cmp_le_u32_e64 s0, s14, v8
	v_subrev_co_ci_u32_e32 v10, vcc_lo, s15, v10, vcc_lo
	v_cmp_le_u32_e32 vcc_lo, s15, v0
	v_cndmask_b32_e64 v18, 0, -1, s0
	v_cmp_le_u32_e64 s0, s14, v9
	v_cndmask_b32_e64 v44, 0, -1, vcc_lo
	v_cmp_eq_u32_e32 vcc_lo, s15, v14
	s_delay_alu instid0(VALU_DEP_3) | instskip(SKIP_1) | instid1(VALU_DEP_1)
	v_cndmask_b32_e64 v42, 0, -1, s0
	v_cmp_le_u32_e64 s0, s15, v14
	v_cndmask_b32_e64 v43, 0, -1, s0
	v_cmp_eq_u32_e64 s0, s15, v0
	s_delay_alu instid0(VALU_DEP_2) | instskip(SKIP_2) | instid1(VALU_DEP_3)
	v_cndmask_b32_e32 v42, v43, v42, vcc_lo
	v_sub_co_u32 v43, vcc_lo, v9, s14
	v_subrev_co_ci_u32_e32 v10, vcc_lo, 0, v10, vcc_lo
	v_cmp_ne_u32_e32 vcc_lo, 0, v42
	v_cndmask_b32_e64 v18, v44, v18, s0
	s_delay_alu instid0(VALU_DEP_3) | instskip(SKIP_1) | instid1(VALU_DEP_3)
	v_cndmask_b32_e32 v10, v14, v10, vcc_lo
	v_cndmask_b32_e32 v14, v9, v43, vcc_lo
	v_cmp_ne_u32_e32 vcc_lo, 0, v18
	s_delay_alu instid0(VALU_DEP_3) | instskip(NEXT) | instid1(VALU_DEP_3)
	v_cndmask_b32_e32 v9, v0, v10, vcc_lo
	v_cndmask_b32_e32 v8, v8, v14, vcc_lo
.LBB13_35:                              ;   in Loop: Header=BB13_9 Depth=1
	s_and_not1_saveexec_b32 s0, s1
	s_cbranch_execz .LBB13_37
; %bb.36:                               ;   in Loop: Header=BB13_9 Depth=1
	v_cvt_f32_u32_e32 v0, s14
	s_sub_i32 s1, 0, s14
	v_mov_b32_e32 v9, v13
	s_delay_alu instid0(VALU_DEP_2) | instskip(SKIP_2) | instid1(VALU_DEP_1)
	v_rcp_iflag_f32_e32 v0, v0
	s_waitcnt_depctr 0xfff
	v_mul_f32_e32 v0, 0x4f7ffffe, v0
	v_cvt_u32_f32_e32 v0, v0
	s_delay_alu instid0(VALU_DEP_1) | instskip(NEXT) | instid1(VALU_DEP_1)
	v_mul_lo_u32 v8, s1, v0
	v_mul_hi_u32 v8, v0, v8
	s_delay_alu instid0(VALU_DEP_1) | instskip(NEXT) | instid1(VALU_DEP_1)
	v_add_nc_u32_e32 v0, v0, v8
	v_mul_hi_u32 v0, v1, v0
	s_delay_alu instid0(VALU_DEP_1) | instskip(NEXT) | instid1(VALU_DEP_1)
	v_mul_lo_u32 v0, v0, s14
	v_sub_nc_u32_e32 v0, v1, v0
	s_delay_alu instid0(VALU_DEP_1) | instskip(SKIP_1) | instid1(VALU_DEP_2)
	v_subrev_nc_u32_e32 v1, s14, v0
	v_cmp_le_u32_e32 vcc_lo, s14, v0
	v_cndmask_b32_e32 v0, v0, v1, vcc_lo
	s_delay_alu instid0(VALU_DEP_1) | instskip(SKIP_1) | instid1(VALU_DEP_2)
	v_subrev_nc_u32_e32 v1, s14, v0
	v_cmp_le_u32_e32 vcc_lo, s14, v0
	v_cndmask_b32_e32 v8, v0, v1, vcc_lo
.LBB13_37:                              ;   in Loop: Header=BB13_9 Depth=1
	s_or_b32 exec_lo, exec_lo, s0
	s_delay_alu instid0(VALU_DEP_1)
	v_add_co_u32 v0, vcc_lo, v8, s20
	v_add_co_ci_u32_e32 v1, vcc_lo, s21, v9, vcc_lo
	global_store_b64 v7, v[0:1], s[12:13]
.LBB13_38:                              ;   in Loop: Header=BB13_9 Depth=1
	s_or_b32 exec_lo, exec_lo, s37
	v_add_co_u32 v0, vcc_lo, v15, s28
	v_add_co_ci_u32_e32 v1, vcc_lo, 0, v16, vcc_lo
	s_mov_b32 s37, exec_lo
	s_delay_alu instid0(VALU_DEP_1)
	v_cmpx_gt_i64_e64 s[16:17], v[0:1]
	s_cbranch_execz .LBB13_8
; %bb.39:                               ;   in Loop: Header=BB13_9 Depth=1
	s_and_not1_b32 vcc_lo, exec_lo, s11
	s_cbranch_vccnz .LBB13_45
; %bb.40:                               ;   in Loop: Header=BB13_9 Depth=1
	v_mov_b32_e32 v7, 0
	s_and_not1_b32 vcc_lo, exec_lo, s31
	s_cbranch_vccnz .LBB13_49
; %bb.41:                               ;   in Loop: Header=BB13_9 Depth=1
	s_and_not1_b32 vcc_lo, exec_lo, s34
	s_mov_b32 s0, 0
	s_cbranch_vccnz .LBB13_46
; %bb.42:                               ;   in Loop: Header=BB13_9 Depth=1
	v_mov_b32_e32 v7, 0
	v_mov_b32_e32 v1, v0
	s_mov_b32 s38, 0
	s_mov_b64 s[0:1], s[18:19]
	s_mov_b64 s[26:27], s[24:25]
.LBB13_43:                              ;   Parent Loop BB13_9 Depth=1
                                        ; =>  This Inner Loop Header: Depth=2
	s_clause 0x1
	s_load_b256 s[40:47], s[0:1], 0x4
	s_load_b128 s[48:51], s[0:1], 0x24
	s_load_b128 s[52:55], s[26:27], 0x0
	s_add_u32 s0, s0, 48
	s_addc_u32 s1, s1, 0
	s_add_i32 s38, s38, 4
	s_add_u32 s26, s26, 16
	s_addc_u32 s27, s27, 0
	s_cmp_eq_u32 s35, s38
	s_waitcnt lgkmcnt(0)
	v_mul_hi_u32 v8, s41, v1
	s_delay_alu instid0(VALU_DEP_1) | instskip(NEXT) | instid1(VALU_DEP_1)
	v_add_nc_u32_e32 v8, v1, v8
	v_lshrrev_b32_e32 v8, s42, v8
	s_delay_alu instid0(VALU_DEP_1) | instskip(SKIP_1) | instid1(VALU_DEP_2)
	v_mul_hi_u32 v9, s44, v8
	v_mul_lo_u32 v18, v8, s40
	v_add_nc_u32_e32 v9, v8, v9
	s_delay_alu instid0(VALU_DEP_2) | instskip(NEXT) | instid1(VALU_DEP_2)
	v_sub_nc_u32_e32 v18, v1, v18
	v_lshrrev_b32_e32 v9, s45, v9
	s_delay_alu instid0(VALU_DEP_2) | instskip(NEXT) | instid1(VALU_DEP_2)
	v_mul_lo_u32 v18, v18, s52
	v_mul_hi_u32 v10, s47, v9
	v_mul_lo_u32 v42, v9, s43
	s_delay_alu instid0(VALU_DEP_2) | instskip(NEXT) | instid1(VALU_DEP_2)
	v_add_nc_u32_e32 v10, v9, v10
	v_sub_nc_u32_e32 v8, v8, v42
	s_delay_alu instid0(VALU_DEP_2) | instskip(NEXT) | instid1(VALU_DEP_2)
	v_lshrrev_b32_e32 v10, s48, v10
	v_mul_lo_u32 v8, v8, s53
	s_delay_alu instid0(VALU_DEP_2) | instskip(NEXT) | instid1(VALU_DEP_2)
	v_mul_hi_u32 v14, s50, v10
	v_add3_u32 v7, v18, v7, v8
	s_delay_alu instid0(VALU_DEP_2) | instskip(NEXT) | instid1(VALU_DEP_1)
	v_add_nc_u32_e32 v14, v10, v14
	v_lshrrev_b32_e32 v1, s51, v14
	v_mul_lo_u32 v14, v10, s46
	s_delay_alu instid0(VALU_DEP_2) | instskip(NEXT) | instid1(VALU_DEP_2)
	v_mul_lo_u32 v43, v1, s49
	v_sub_nc_u32_e32 v9, v9, v14
	s_delay_alu instid0(VALU_DEP_2) | instskip(NEXT) | instid1(VALU_DEP_2)
	v_sub_nc_u32_e32 v10, v10, v43
	v_mul_lo_u32 v9, v9, s54
	s_delay_alu instid0(VALU_DEP_2) | instskip(NEXT) | instid1(VALU_DEP_1)
	v_mul_lo_u32 v10, v10, s55
	v_add3_u32 v7, v9, v7, v10
	s_cbranch_scc0 .LBB13_43
; %bb.44:                               ;   in Loop: Header=BB13_9 Depth=1
	s_mov_b32 s0, s35
	s_and_not1_b32 vcc_lo, exec_lo, s36
	s_cbranch_vccz .LBB13_47
	s_branch .LBB13_49
.LBB13_45:                              ;   in Loop: Header=BB13_9 Depth=1
                                        ; implicit-def: $vgpr7
	s_branch .LBB13_50
.LBB13_46:                              ;   in Loop: Header=BB13_9 Depth=1
	v_mov_b32_e32 v1, v0
	s_and_not1_b32 vcc_lo, exec_lo, s36
	s_cbranch_vccnz .LBB13_49
.LBB13_47:                              ;   in Loop: Header=BB13_9 Depth=1
	s_lshl_b32 s1, s0, 2
	s_mul_i32 s26, s0, 12
	s_add_u32 s0, s24, s1
	s_addc_u32 s1, s25, 0
	s_add_u32 s26, s18, s26
	s_addc_u32 s27, s19, 0
	s_mov_b32 s38, s33
	.p2align	6
.LBB13_48:                              ;   Parent Loop BB13_9 Depth=1
                                        ; =>  This Inner Loop Header: Depth=2
	s_clause 0x1
	s_load_b64 s[40:41], s[26:27], 0x4
	s_load_b32 s39, s[26:27], 0xc
	s_add_u32 s26, s26, 12
	s_addc_u32 s27, s27, 0
	s_waitcnt lgkmcnt(0)
	v_mul_hi_u32 v8, s41, v1
	s_load_b32 s41, s[0:1], 0x0
	s_add_u32 s0, s0, 4
	s_addc_u32 s1, s1, 0
	s_add_i32 s38, s38, -1
	s_delay_alu instid0(SALU_CYCLE_1) | instskip(NEXT) | instid1(VALU_DEP_1)
	s_cmp_lg_u32 s38, 0
	v_add_nc_u32_e32 v8, v1, v8
	s_delay_alu instid0(VALU_DEP_1) | instskip(NEXT) | instid1(VALU_DEP_1)
	v_lshrrev_b32_e32 v10, s39, v8
	v_mul_lo_u32 v8, v10, s40
	s_delay_alu instid0(VALU_DEP_1) | instskip(SKIP_1) | instid1(VALU_DEP_1)
	v_sub_nc_u32_e32 v1, v1, v8
	s_waitcnt lgkmcnt(0)
	v_mad_u64_u32 v[8:9], null, v1, s41, v[7:8]
	v_mov_b32_e32 v1, v10
	s_delay_alu instid0(VALU_DEP_2)
	v_mov_b32_e32 v7, v8
	s_cbranch_scc1 .LBB13_48
.LBB13_49:                              ;   in Loop: Header=BB13_9 Depth=1
	s_cbranch_execnz .LBB13_52
.LBB13_50:                              ;   in Loop: Header=BB13_9 Depth=1
	v_mul_hi_u32 v1, v0, s6
	s_and_not1_b32 vcc_lo, exec_lo, s4
	s_delay_alu instid0(VALU_DEP_1) | instskip(NEXT) | instid1(VALU_DEP_1)
	v_add_nc_u32_e32 v1, v1, v0
	v_lshrrev_b32_e32 v1, s7, v1
	s_delay_alu instid0(VALU_DEP_1) | instskip(NEXT) | instid1(VALU_DEP_1)
	v_mul_lo_u32 v7, v1, s5
	v_sub_nc_u32_e32 v0, v0, v7
	s_delay_alu instid0(VALU_DEP_1)
	v_mul_lo_u32 v7, v0, s22
	s_cbranch_vccnz .LBB13_52
; %bb.51:                               ;   in Loop: Header=BB13_9 Depth=1
	v_mul_hi_u32 v0, s9, v1
	s_delay_alu instid0(VALU_DEP_1) | instskip(NEXT) | instid1(VALU_DEP_1)
	v_add_nc_u32_e32 v0, v1, v0
	v_lshrrev_b32_e32 v0, s10, v0
	s_delay_alu instid0(VALU_DEP_1) | instskip(NEXT) | instid1(VALU_DEP_1)
	v_mul_lo_u32 v0, v0, s8
	v_sub_nc_u32_e32 v8, v1, v0
	s_delay_alu instid0(VALU_DEP_1) | instskip(NEXT) | instid1(VALU_DEP_1)
	v_mad_u64_u32 v[0:1], null, v8, s23, v[7:8]
	v_mov_b32_e32 v7, v0
.LBB13_52:                              ;   in Loop: Header=BB13_9 Depth=1
	v_or_b32_e32 v14, s15, v2
                                        ; implicit-def: $vgpr8_vgpr9
	s_mov_b32 s0, exec_lo
	s_delay_alu instid0(VALU_DEP_1)
	v_cmpx_ne_u64_e32 0, v[13:14]
	s_xor_b32 s1, exec_lo, s0
	s_cbranch_execz .LBB13_54
; %bb.53:                               ;   in Loop: Header=BB13_9 Depth=1
	v_cvt_f32_u32_e32 v0, s14
	v_cvt_f32_u32_e32 v1, s15
	s_sub_u32 s0, 0, s14
	s_subb_u32 s26, 0, s15
	s_delay_alu instid0(VALU_DEP_1) | instskip(NEXT) | instid1(VALU_DEP_1)
	v_fmac_f32_e32 v0, 0x4f800000, v1
	v_rcp_f32_e32 v0, v0
	s_waitcnt_depctr 0xfff
	v_mul_f32_e32 v0, 0x5f7ffffc, v0
	s_delay_alu instid0(VALU_DEP_1) | instskip(NEXT) | instid1(VALU_DEP_1)
	v_mul_f32_e32 v1, 0x2f800000, v0
	v_trunc_f32_e32 v1, v1
	s_delay_alu instid0(VALU_DEP_1) | instskip(SKIP_1) | instid1(VALU_DEP_2)
	v_fmac_f32_e32 v0, 0xcf800000, v1
	v_cvt_u32_f32_e32 v1, v1
	v_cvt_u32_f32_e32 v0, v0
	s_delay_alu instid0(VALU_DEP_2) | instskip(NEXT) | instid1(VALU_DEP_2)
	v_mul_lo_u32 v8, s0, v1
	v_mul_hi_u32 v9, s0, v0
	v_mul_lo_u32 v10, s26, v0
	s_delay_alu instid0(VALU_DEP_2) | instskip(SKIP_1) | instid1(VALU_DEP_2)
	v_add_nc_u32_e32 v8, v9, v8
	v_mul_lo_u32 v9, s0, v0
	v_add_nc_u32_e32 v8, v8, v10
	s_delay_alu instid0(VALU_DEP_2) | instskip(NEXT) | instid1(VALU_DEP_2)
	v_mul_hi_u32 v10, v0, v9
	v_mul_lo_u32 v14, v0, v8
	v_mul_hi_u32 v18, v0, v8
	v_mul_hi_u32 v42, v1, v9
	v_mul_lo_u32 v9, v1, v9
	v_mul_hi_u32 v43, v1, v8
	v_mul_lo_u32 v8, v1, v8
	v_add_co_u32 v10, vcc_lo, v10, v14
	v_add_co_ci_u32_e32 v14, vcc_lo, 0, v18, vcc_lo
	s_delay_alu instid0(VALU_DEP_2) | instskip(NEXT) | instid1(VALU_DEP_2)
	v_add_co_u32 v9, vcc_lo, v10, v9
	v_add_co_ci_u32_e32 v9, vcc_lo, v14, v42, vcc_lo
	v_add_co_ci_u32_e32 v10, vcc_lo, 0, v43, vcc_lo
	s_delay_alu instid0(VALU_DEP_2) | instskip(NEXT) | instid1(VALU_DEP_2)
	v_add_co_u32 v8, vcc_lo, v9, v8
	v_add_co_ci_u32_e32 v9, vcc_lo, 0, v10, vcc_lo
	s_delay_alu instid0(VALU_DEP_2) | instskip(NEXT) | instid1(VALU_DEP_2)
	v_add_co_u32 v0, vcc_lo, v0, v8
	v_add_co_ci_u32_e32 v1, vcc_lo, v1, v9, vcc_lo
	s_delay_alu instid0(VALU_DEP_2) | instskip(SKIP_1) | instid1(VALU_DEP_3)
	v_mul_hi_u32 v8, s0, v0
	v_mul_lo_u32 v10, s26, v0
	v_mul_lo_u32 v9, s0, v1
	s_delay_alu instid0(VALU_DEP_1) | instskip(SKIP_1) | instid1(VALU_DEP_2)
	v_add_nc_u32_e32 v8, v8, v9
	v_mul_lo_u32 v9, s0, v0
	v_add_nc_u32_e32 v8, v8, v10
	s_delay_alu instid0(VALU_DEP_2) | instskip(NEXT) | instid1(VALU_DEP_2)
	v_mul_hi_u32 v10, v0, v9
	v_mul_lo_u32 v14, v0, v8
	v_mul_hi_u32 v18, v0, v8
	v_mul_hi_u32 v42, v1, v9
	v_mul_lo_u32 v9, v1, v9
	v_mul_hi_u32 v43, v1, v8
	v_mul_lo_u32 v8, v1, v8
	v_add_co_u32 v10, vcc_lo, v10, v14
	v_add_co_ci_u32_e32 v14, vcc_lo, 0, v18, vcc_lo
	s_delay_alu instid0(VALU_DEP_2) | instskip(NEXT) | instid1(VALU_DEP_2)
	v_add_co_u32 v9, vcc_lo, v10, v9
	v_add_co_ci_u32_e32 v9, vcc_lo, v14, v42, vcc_lo
	v_add_co_ci_u32_e32 v10, vcc_lo, 0, v43, vcc_lo
	s_delay_alu instid0(VALU_DEP_2) | instskip(NEXT) | instid1(VALU_DEP_2)
	v_add_co_u32 v8, vcc_lo, v9, v8
	v_add_co_ci_u32_e32 v9, vcc_lo, 0, v10, vcc_lo
	s_delay_alu instid0(VALU_DEP_2) | instskip(NEXT) | instid1(VALU_DEP_2)
	v_add_co_u32 v10, vcc_lo, v0, v8
	v_add_co_ci_u32_e32 v14, vcc_lo, v1, v9, vcc_lo
	s_delay_alu instid0(VALU_DEP_2) | instskip(SKIP_1) | instid1(VALU_DEP_3)
	v_mul_hi_u32 v18, v3, v10
	v_mad_u64_u32 v[8:9], null, v2, v10, 0
	v_mad_u64_u32 v[0:1], null, v3, v14, 0
	;; [unrolled: 1-line block ×3, first 2 shown]
	s_delay_alu instid0(VALU_DEP_2) | instskip(NEXT) | instid1(VALU_DEP_3)
	v_add_co_u32 v0, vcc_lo, v18, v0
	v_add_co_ci_u32_e32 v1, vcc_lo, 0, v1, vcc_lo
	s_delay_alu instid0(VALU_DEP_2) | instskip(NEXT) | instid1(VALU_DEP_2)
	v_add_co_u32 v0, vcc_lo, v0, v8
	v_add_co_ci_u32_e32 v0, vcc_lo, v1, v9, vcc_lo
	v_add_co_ci_u32_e32 v1, vcc_lo, 0, v43, vcc_lo
	s_delay_alu instid0(VALU_DEP_2) | instskip(NEXT) | instid1(VALU_DEP_2)
	v_add_co_u32 v8, vcc_lo, v0, v42
	v_add_co_ci_u32_e32 v9, vcc_lo, 0, v1, vcc_lo
	s_delay_alu instid0(VALU_DEP_2) | instskip(SKIP_1) | instid1(VALU_DEP_3)
	v_mul_lo_u32 v10, s15, v8
	v_mad_u64_u32 v[0:1], null, s14, v8, 0
	v_mul_lo_u32 v8, s14, v9
	s_delay_alu instid0(VALU_DEP_2) | instskip(NEXT) | instid1(VALU_DEP_2)
	v_sub_co_u32 v0, vcc_lo, v3, v0
	v_add3_u32 v1, v1, v8, v10
	s_delay_alu instid0(VALU_DEP_1) | instskip(NEXT) | instid1(VALU_DEP_1)
	v_sub_nc_u32_e32 v8, v2, v1
	v_subrev_co_ci_u32_e64 v3, s0, s15, v8, vcc_lo
	v_sub_co_ci_u32_e32 v1, vcc_lo, v2, v1, vcc_lo
	v_sub_co_u32 v2, vcc_lo, v0, s14
	s_delay_alu instid0(VALU_DEP_1) | instskip(SKIP_3) | instid1(VALU_DEP_3)
	v_subrev_co_ci_u32_e64 v8, s0, 0, v3, vcc_lo
	v_cmp_le_u32_e64 s0, s14, v0
	v_subrev_co_ci_u32_e32 v3, vcc_lo, s15, v3, vcc_lo
	v_cmp_le_u32_e32 vcc_lo, s15, v1
	v_cndmask_b32_e64 v9, 0, -1, s0
	v_cmp_le_u32_e64 s0, s14, v2
	v_cndmask_b32_e64 v18, 0, -1, vcc_lo
	v_cmp_eq_u32_e32 vcc_lo, s15, v8
	s_delay_alu instid0(VALU_DEP_3) | instskip(SKIP_1) | instid1(VALU_DEP_1)
	v_cndmask_b32_e64 v10, 0, -1, s0
	v_cmp_le_u32_e64 s0, s15, v8
	v_cndmask_b32_e64 v14, 0, -1, s0
	v_cmp_eq_u32_e64 s0, s15, v1
	s_delay_alu instid0(VALU_DEP_2) | instskip(SKIP_2) | instid1(VALU_DEP_3)
	v_cndmask_b32_e32 v10, v14, v10, vcc_lo
	v_sub_co_u32 v14, vcc_lo, v2, s14
	v_subrev_co_ci_u32_e32 v3, vcc_lo, 0, v3, vcc_lo
	v_cmp_ne_u32_e32 vcc_lo, 0, v10
	v_cndmask_b32_e64 v9, v18, v9, s0
	s_delay_alu instid0(VALU_DEP_3) | instskip(NEXT) | instid1(VALU_DEP_2)
	v_dual_cndmask_b32 v3, v8, v3 :: v_dual_cndmask_b32 v2, v2, v14
	v_cmp_ne_u32_e32 vcc_lo, 0, v9
	s_delay_alu instid0(VALU_DEP_2)
	v_dual_cndmask_b32 v9, v1, v3 :: v_dual_cndmask_b32 v8, v0, v2
                                        ; implicit-def: $vgpr0_vgpr1_vgpr2_vgpr3
.LBB13_54:                              ;   in Loop: Header=BB13_9 Depth=1
	s_and_not1_saveexec_b32 s0, s1
	s_cbranch_execz .LBB13_7
; %bb.55:                               ;   in Loop: Header=BB13_9 Depth=1
	v_cvt_f32_u32_e32 v0, s14
	s_sub_i32 s1, 0, s14
	v_mov_b32_e32 v9, v13
	s_delay_alu instid0(VALU_DEP_2) | instskip(SKIP_2) | instid1(VALU_DEP_1)
	v_rcp_iflag_f32_e32 v0, v0
	s_waitcnt_depctr 0xfff
	v_mul_f32_e32 v0, 0x4f7ffffe, v0
	v_cvt_u32_f32_e32 v0, v0
	s_delay_alu instid0(VALU_DEP_1) | instskip(NEXT) | instid1(VALU_DEP_1)
	v_mul_lo_u32 v1, s1, v0
	v_mul_hi_u32 v1, v0, v1
	s_delay_alu instid0(VALU_DEP_1) | instskip(NEXT) | instid1(VALU_DEP_1)
	v_add_nc_u32_e32 v0, v0, v1
	v_mul_hi_u32 v0, v3, v0
	s_delay_alu instid0(VALU_DEP_1) | instskip(NEXT) | instid1(VALU_DEP_1)
	v_mul_lo_u32 v0, v0, s14
	v_sub_nc_u32_e32 v0, v3, v0
	s_delay_alu instid0(VALU_DEP_1) | instskip(SKIP_1) | instid1(VALU_DEP_2)
	v_subrev_nc_u32_e32 v1, s14, v0
	v_cmp_le_u32_e32 vcc_lo, s14, v0
	v_cndmask_b32_e32 v0, v0, v1, vcc_lo
	s_delay_alu instid0(VALU_DEP_1) | instskip(SKIP_1) | instid1(VALU_DEP_2)
	v_subrev_nc_u32_e32 v1, s14, v0
	v_cmp_le_u32_e32 vcc_lo, s14, v0
	v_cndmask_b32_e32 v8, v0, v1, vcc_lo
	s_branch .LBB13_7
.LBB13_56:
	s_endpgm
.LBB13_57:
                                        ; implicit-def: $sgpr2_sgpr3
	s_branch .LBB13_4
	.section	.rodata,"a",@progbits
	.p2align	6, 0x0
	.amdhsa_kernel _ZN2at6native12_GLOBAL__N_143distribution_elementwise_grid_stride_kernelImLi2EZZZNS0_9templates4cuda21random_from_to_kernelIPNS_17CUDAGeneratorImplEEEvRNS_18TensorIteratorBaseEmlT_ENKUlvE_clEvENKUlvE2_clEvEUlP25hiprandStatePhilox4_32_10E_ZNS1_27distribution_nullary_kernelIlm15HIP_vector_typeIyLj2EES7_SF_ZZZNS5_IS7_EEvS9_mlSA_ENKSB_clEvENKSC_clEvEUlmE_EEvS9_T2_RKT3_T4_EUlimE0_EEvlNS_15PhiloxCudaStateET1_SK_
		.amdhsa_group_segment_fixed_size 0
		.amdhsa_private_segment_fixed_size 0
		.amdhsa_kernarg_size 592
		.amdhsa_user_sgpr_count 15
		.amdhsa_user_sgpr_dispatch_ptr 0
		.amdhsa_user_sgpr_queue_ptr 0
		.amdhsa_user_sgpr_kernarg_segment_ptr 1
		.amdhsa_user_sgpr_dispatch_id 0
		.amdhsa_user_sgpr_private_segment_size 0
		.amdhsa_wavefront_size32 1
		.amdhsa_uses_dynamic_stack 0
		.amdhsa_enable_private_segment 0
		.amdhsa_system_sgpr_workgroup_id_x 1
		.amdhsa_system_sgpr_workgroup_id_y 0
		.amdhsa_system_sgpr_workgroup_id_z 0
		.amdhsa_system_sgpr_workgroup_info 0
		.amdhsa_system_vgpr_workitem_id 0
		.amdhsa_next_free_vgpr 46
		.amdhsa_next_free_sgpr 56
		.amdhsa_reserve_vcc 1
		.amdhsa_float_round_mode_32 0
		.amdhsa_float_round_mode_16_64 0
		.amdhsa_float_denorm_mode_32 3
		.amdhsa_float_denorm_mode_16_64 3
		.amdhsa_dx10_clamp 1
		.amdhsa_ieee_mode 1
		.amdhsa_fp16_overflow 0
		.amdhsa_workgroup_processor_mode 1
		.amdhsa_memory_ordered 1
		.amdhsa_forward_progress 0
		.amdhsa_shared_vgpr_count 0
		.amdhsa_exception_fp_ieee_invalid_op 0
		.amdhsa_exception_fp_denorm_src 0
		.amdhsa_exception_fp_ieee_div_zero 0
		.amdhsa_exception_fp_ieee_overflow 0
		.amdhsa_exception_fp_ieee_underflow 0
		.amdhsa_exception_fp_ieee_inexact 0
		.amdhsa_exception_int_div_zero 0
	.end_amdhsa_kernel
	.section	.text._ZN2at6native12_GLOBAL__N_143distribution_elementwise_grid_stride_kernelImLi2EZZZNS0_9templates4cuda21random_from_to_kernelIPNS_17CUDAGeneratorImplEEEvRNS_18TensorIteratorBaseEmlT_ENKUlvE_clEvENKUlvE2_clEvEUlP25hiprandStatePhilox4_32_10E_ZNS1_27distribution_nullary_kernelIlm15HIP_vector_typeIyLj2EES7_SF_ZZZNS5_IS7_EEvS9_mlSA_ENKSB_clEvENKSC_clEvEUlmE_EEvS9_T2_RKT3_T4_EUlimE0_EEvlNS_15PhiloxCudaStateET1_SK_,"axG",@progbits,_ZN2at6native12_GLOBAL__N_143distribution_elementwise_grid_stride_kernelImLi2EZZZNS0_9templates4cuda21random_from_to_kernelIPNS_17CUDAGeneratorImplEEEvRNS_18TensorIteratorBaseEmlT_ENKUlvE_clEvENKUlvE2_clEvEUlP25hiprandStatePhilox4_32_10E_ZNS1_27distribution_nullary_kernelIlm15HIP_vector_typeIyLj2EES7_SF_ZZZNS5_IS7_EEvS9_mlSA_ENKSB_clEvENKSC_clEvEUlmE_EEvS9_T2_RKT3_T4_EUlimE0_EEvlNS_15PhiloxCudaStateET1_SK_,comdat
.Lfunc_end13:
	.size	_ZN2at6native12_GLOBAL__N_143distribution_elementwise_grid_stride_kernelImLi2EZZZNS0_9templates4cuda21random_from_to_kernelIPNS_17CUDAGeneratorImplEEEvRNS_18TensorIteratorBaseEmlT_ENKUlvE_clEvENKUlvE2_clEvEUlP25hiprandStatePhilox4_32_10E_ZNS1_27distribution_nullary_kernelIlm15HIP_vector_typeIyLj2EES7_SF_ZZZNS5_IS7_EEvS9_mlSA_ENKSB_clEvENKSC_clEvEUlmE_EEvS9_T2_RKT3_T4_EUlimE0_EEvlNS_15PhiloxCudaStateET1_SK_, .Lfunc_end13-_ZN2at6native12_GLOBAL__N_143distribution_elementwise_grid_stride_kernelImLi2EZZZNS0_9templates4cuda21random_from_to_kernelIPNS_17CUDAGeneratorImplEEEvRNS_18TensorIteratorBaseEmlT_ENKUlvE_clEvENKUlvE2_clEvEUlP25hiprandStatePhilox4_32_10E_ZNS1_27distribution_nullary_kernelIlm15HIP_vector_typeIyLj2EES7_SF_ZZZNS5_IS7_EEvS9_mlSA_ENKSB_clEvENKSC_clEvEUlmE_EEvS9_T2_RKT3_T4_EUlimE0_EEvlNS_15PhiloxCudaStateET1_SK_
                                        ; -- End function
	.section	.AMDGPU.csdata,"",@progbits
; Kernel info:
; codeLenInByte = 5648
; NumSgprs: 58
; NumVgprs: 46
; ScratchSize: 0
; MemoryBound: 0
; FloatMode: 240
; IeeeMode: 1
; LDSByteSize: 0 bytes/workgroup (compile time only)
; SGPRBlocks: 7
; VGPRBlocks: 5
; NumSGPRsForWavesPerEU: 58
; NumVGPRsForWavesPerEU: 46
; Occupancy: 16
; WaveLimiterHint : 1
; COMPUTE_PGM_RSRC2:SCRATCH_EN: 0
; COMPUTE_PGM_RSRC2:USER_SGPR: 15
; COMPUTE_PGM_RSRC2:TRAP_HANDLER: 0
; COMPUTE_PGM_RSRC2:TGID_X_EN: 1
; COMPUTE_PGM_RSRC2:TGID_Y_EN: 0
; COMPUTE_PGM_RSRC2:TGID_Z_EN: 0
; COMPUTE_PGM_RSRC2:TIDIG_COMP_CNT: 0
	.section	.text._ZN2at6native12_GLOBAL__N_143distribution_elementwise_grid_stride_kernelIjLi4EZZZNS0_9templates4cuda21random_from_to_kernelIPNS_17CUDAGeneratorImplEEEvRNS_18TensorIteratorBaseEmlT_ENKUlvE_clEvENKUlvE2_clEvEUlP25hiprandStatePhilox4_32_10E0_ZNS1_27distribution_nullary_kernelIlj15HIP_vector_typeIjLj4EES7_SF_ZZZNS5_IS7_EEvS9_mlSA_ENKSB_clEvENKSC_clEvEUljE_EEvS9_T2_RKT3_T4_EUlijE_EEvlNS_15PhiloxCudaStateET1_SK_,"axG",@progbits,_ZN2at6native12_GLOBAL__N_143distribution_elementwise_grid_stride_kernelIjLi4EZZZNS0_9templates4cuda21random_from_to_kernelIPNS_17CUDAGeneratorImplEEEvRNS_18TensorIteratorBaseEmlT_ENKUlvE_clEvENKUlvE2_clEvEUlP25hiprandStatePhilox4_32_10E0_ZNS1_27distribution_nullary_kernelIlj15HIP_vector_typeIjLj4EES7_SF_ZZZNS5_IS7_EEvS9_mlSA_ENKSB_clEvENKSC_clEvEUljE_EEvS9_T2_RKT3_T4_EUlijE_EEvlNS_15PhiloxCudaStateET1_SK_,comdat
	.globl	_ZN2at6native12_GLOBAL__N_143distribution_elementwise_grid_stride_kernelIjLi4EZZZNS0_9templates4cuda21random_from_to_kernelIPNS_17CUDAGeneratorImplEEEvRNS_18TensorIteratorBaseEmlT_ENKUlvE_clEvENKUlvE2_clEvEUlP25hiprandStatePhilox4_32_10E0_ZNS1_27distribution_nullary_kernelIlj15HIP_vector_typeIjLj4EES7_SF_ZZZNS5_IS7_EEvS9_mlSA_ENKSB_clEvENKSC_clEvEUljE_EEvS9_T2_RKT3_T4_EUlijE_EEvlNS_15PhiloxCudaStateET1_SK_ ; -- Begin function _ZN2at6native12_GLOBAL__N_143distribution_elementwise_grid_stride_kernelIjLi4EZZZNS0_9templates4cuda21random_from_to_kernelIPNS_17CUDAGeneratorImplEEEvRNS_18TensorIteratorBaseEmlT_ENKUlvE_clEvENKUlvE2_clEvEUlP25hiprandStatePhilox4_32_10E0_ZNS1_27distribution_nullary_kernelIlj15HIP_vector_typeIjLj4EES7_SF_ZZZNS5_IS7_EEvS9_mlSA_ENKSB_clEvENKSC_clEvEUljE_EEvS9_T2_RKT3_T4_EUlijE_EEvlNS_15PhiloxCudaStateET1_SK_
	.p2align	8
	.type	_ZN2at6native12_GLOBAL__N_143distribution_elementwise_grid_stride_kernelIjLi4EZZZNS0_9templates4cuda21random_from_to_kernelIPNS_17CUDAGeneratorImplEEEvRNS_18TensorIteratorBaseEmlT_ENKUlvE_clEvENKUlvE2_clEvEUlP25hiprandStatePhilox4_32_10E0_ZNS1_27distribution_nullary_kernelIlj15HIP_vector_typeIjLj4EES7_SF_ZZZNS5_IS7_EEvS9_mlSA_ENKSB_clEvENKSC_clEvEUljE_EEvS9_T2_RKT3_T4_EUlijE_EEvlNS_15PhiloxCudaStateET1_SK_,@function
_ZN2at6native12_GLOBAL__N_143distribution_elementwise_grid_stride_kernelIjLi4EZZZNS0_9templates4cuda21random_from_to_kernelIPNS_17CUDAGeneratorImplEEEvRNS_18TensorIteratorBaseEmlT_ENKUlvE_clEvENKUlvE2_clEvEUlP25hiprandStatePhilox4_32_10E0_ZNS1_27distribution_nullary_kernelIlj15HIP_vector_typeIjLj4EES7_SF_ZZZNS5_IS7_EEvS9_mlSA_ENKSB_clEvENKSC_clEvEUljE_EEvS9_T2_RKT3_T4_EUlijE_EEvlNS_15PhiloxCudaStateET1_SK_: ; @_ZN2at6native12_GLOBAL__N_143distribution_elementwise_grid_stride_kernelIjLi4EZZZNS0_9templates4cuda21random_from_to_kernelIPNS_17CUDAGeneratorImplEEEvRNS_18TensorIteratorBaseEmlT_ENKUlvE_clEvENKUlvE2_clEvEUlP25hiprandStatePhilox4_32_10E0_ZNS1_27distribution_nullary_kernelIlj15HIP_vector_typeIjLj4EES7_SF_ZZZNS5_IS7_EEvS9_mlSA_ENKSB_clEvENKSC_clEvEUljE_EEvS9_T2_RKT3_T4_EUlijE_EEvlNS_15PhiloxCudaStateET1_SK_
; %bb.0:
	s_clause 0x2
	s_load_b64 s[8:9], s[0:1], 0x10
	s_load_b128 s[4:7], s[0:1], 0x0
	s_load_b32 s2, s[0:1], 0x20
	s_waitcnt lgkmcnt(0)
	v_dual_mov_b32 v2, s8 :: v_dual_mov_b32 v3, s9
	v_dual_mov_b32 v14, s7 :: v_dual_mov_b32 v13, s6
	s_bitcmp0_b32 s2, 0
	s_mov_b32 s2, 0
	s_cbranch_scc1 .LBB14_2
; %bb.1:
	v_dual_mov_b32 v1, s8 :: v_dual_mov_b32 v2, s9
	v_dual_mov_b32 v4, s6 :: v_dual_mov_b32 v5, s7
	s_load_b64 s[6:7], s[0:1], 0x18
	flat_load_b64 v[2:3], v[1:2]
	flat_load_b64 v[13:14], v[4:5]
	s_waitcnt vmcnt(1) lgkmcnt(0)
	v_add_co_u32 v2, vcc_lo, v2, s6
	v_add_co_ci_u32_e32 v3, vcc_lo, s7, v3, vcc_lo
.LBB14_2:
	s_clause 0x1
	s_load_b32 s3, s[0:1], 0x5c
	s_load_b32 s16, s[0:1], 0x50
	s_waitcnt lgkmcnt(0)
	s_and_b32 s14, s3, 0xffff
	s_add_u32 s6, s4, -1
	s_mul_i32 s10, s16, s14
	s_addc_u32 s3, s5, -1
	s_lshl_b32 s11, s10, 2
	s_cmp_lg_u64 s[2:3], 0
	s_cbranch_scc0 .LBB14_35
; %bb.3:
	v_cvt_f32_ubyte0_e32 v1, 0
	v_cvt_f32_u32_e32 v4, s11
	s_sub_u32 s8, 0, s11
	s_subb_u32 s9, 0, 0
	s_delay_alu instid0(VALU_DEP_1) | instskip(NEXT) | instid1(VALU_DEP_1)
	v_fmamk_f32 v1, v1, 0x4f800000, v4
	v_rcp_f32_e32 v1, v1
	s_waitcnt_depctr 0xfff
	v_mul_f32_e32 v1, 0x5f7ffffc, v1
	s_delay_alu instid0(VALU_DEP_1) | instskip(NEXT) | instid1(VALU_DEP_1)
	v_mul_f32_e32 v4, 0x2f800000, v1
	v_trunc_f32_e32 v4, v4
	s_delay_alu instid0(VALU_DEP_1) | instskip(SKIP_1) | instid1(VALU_DEP_2)
	v_fmamk_f32 v1, v4, 0xcf800000, v1
	v_cvt_u32_f32_e32 v4, v4
	v_cvt_u32_f32_e32 v1, v1
	s_delay_alu instid0(VALU_DEP_2) | instskip(NEXT) | instid1(VALU_DEP_2)
	v_readfirstlane_b32 s2, v4
	v_readfirstlane_b32 s7, v1
	s_delay_alu instid0(VALU_DEP_2) | instskip(NEXT) | instid1(VALU_DEP_1)
	s_mul_i32 s12, s8, s2
	s_mul_hi_u32 s17, s8, s7
	s_mul_i32 s13, s9, s7
	s_add_i32 s12, s17, s12
	s_mul_i32 s18, s8, s7
	s_add_i32 s12, s12, s13
	s_mul_hi_u32 s17, s7, s18
	s_mul_hi_u32 s19, s2, s18
	s_mul_i32 s13, s2, s18
	s_mul_hi_u32 s18, s7, s12
	s_mul_i32 s7, s7, s12
	s_mul_hi_u32 s20, s2, s12
	s_add_u32 s7, s17, s7
	s_addc_u32 s17, 0, s18
	s_add_u32 s7, s7, s13
	s_mul_i32 s12, s2, s12
	s_addc_u32 s7, s17, s19
	s_addc_u32 s13, s20, 0
	s_add_u32 s7, s7, s12
	s_addc_u32 s12, 0, s13
	v_add_co_u32 v1, s7, v1, s7
	s_delay_alu instid0(VALU_DEP_1) | instskip(SKIP_1) | instid1(VALU_DEP_1)
	s_cmp_lg_u32 s7, 0
	s_addc_u32 s2, s2, s12
	v_readfirstlane_b32 s7, v1
	s_mul_i32 s12, s8, s2
	s_delay_alu instid0(VALU_DEP_1)
	s_mul_hi_u32 s13, s8, s7
	s_mul_i32 s9, s9, s7
	s_add_i32 s12, s13, s12
	s_mul_i32 s8, s8, s7
	s_add_i32 s12, s12, s9
	s_mul_hi_u32 s13, s2, s8
	s_mul_i32 s17, s2, s8
	s_mul_hi_u32 s8, s7, s8
	s_mul_hi_u32 s18, s7, s12
	s_mul_i32 s7, s7, s12
	s_mul_hi_u32 s9, s2, s12
	s_add_u32 s7, s8, s7
	s_addc_u32 s8, 0, s18
	s_add_u32 s7, s7, s17
	s_mul_i32 s12, s2, s12
	s_addc_u32 s7, s8, s13
	s_addc_u32 s8, s9, 0
	s_add_u32 s7, s7, s12
	s_addc_u32 s8, 0, s8
	v_add_co_u32 v1, s7, v1, s7
	s_delay_alu instid0(VALU_DEP_1) | instskip(SKIP_2) | instid1(VALU_DEP_1)
	s_cmp_lg_u32 s7, 0
	s_addc_u32 s7, s2, s8
	s_ashr_i32 s8, s3, 31
	v_readfirstlane_b32 s12, v1
	s_add_u32 s2, s6, s8
	s_mov_b32 s9, s8
	s_addc_u32 s3, s3, s8
	s_delay_alu instid0(SALU_CYCLE_1) | instskip(NEXT) | instid1(SALU_CYCLE_1)
	s_xor_b64 s[2:3], s[2:3], s[8:9]
	s_mul_i32 s17, s2, s7
	s_mul_hi_u32 s18, s2, s12
	s_mul_hi_u32 s13, s2, s7
	s_mul_hi_u32 s20, s3, s12
	s_mul_i32 s12, s3, s12
	s_add_u32 s17, s18, s17
	s_addc_u32 s13, 0, s13
	s_mul_hi_u32 s19, s3, s7
	s_add_u32 s12, s17, s12
	s_mul_i32 s7, s3, s7
	s_addc_u32 s12, s13, s20
	s_addc_u32 s13, s19, 0
	s_add_u32 s7, s12, s7
	s_addc_u32 s12, 0, s13
	s_mul_i32 s17, s11, s7
	s_add_u32 s13, s7, 1
	v_sub_co_u32 v1, s2, s2, s17
	s_mul_hi_u32 s17, s11, s7
	s_addc_u32 s18, s12, 0
	s_mul_i32 s19, s11, s12
	s_delay_alu instid0(VALU_DEP_1)
	v_sub_co_u32 v4, s20, v1, s11
	s_add_u32 s21, s7, 2
	s_addc_u32 s22, s12, 0
	s_add_i32 s17, s17, s19
	s_cmp_lg_u32 s2, 0
	v_readfirstlane_b32 s2, v4
	s_subb_u32 s3, s3, s17
	s_cmp_lg_u32 s20, 0
	s_subb_u32 s17, s3, 0
	s_delay_alu instid0(VALU_DEP_1) | instskip(SKIP_4) | instid1(SALU_CYCLE_1)
	s_cmp_ge_u32 s2, s11
	s_cselect_b32 s2, -1, 0
	s_cmp_eq_u32 s17, 0
	v_readfirstlane_b32 s17, v1
	s_cselect_b32 s2, s2, -1
	s_cmp_lg_u32 s2, 0
	s_cselect_b32 s2, s21, s13
	s_cselect_b32 s13, s22, s18
	s_cmp_ge_u32 s17, s11
	s_cselect_b32 s17, -1, 0
	s_cmp_eq_u32 s3, 0
	s_cselect_b32 s3, s17, -1
	s_delay_alu instid0(SALU_CYCLE_1) | instskip(SKIP_2) | instid1(SALU_CYCLE_1)
	s_cmp_lg_u32 s3, 0
	s_cselect_b32 s3, s13, s12
	s_cselect_b32 s2, s2, s7
	s_xor_b64 s[2:3], s[2:3], s[8:9]
	s_delay_alu instid0(SALU_CYCLE_1)
	s_sub_u32 s2, s2, s8
	s_subb_u32 s3, s3, s8
	s_cbranch_execnz .LBB14_5
.LBB14_4:
	v_cvt_f32_u32_e32 v1, s11
	s_sub_i32 s3, 0, s11
	s_delay_alu instid0(VALU_DEP_1) | instskip(SKIP_2) | instid1(VALU_DEP_1)
	v_rcp_iflag_f32_e32 v1, v1
	s_waitcnt_depctr 0xfff
	v_mul_f32_e32 v1, 0x4f7ffffe, v1
	v_cvt_u32_f32_e32 v1, v1
	s_delay_alu instid0(VALU_DEP_1) | instskip(NEXT) | instid1(VALU_DEP_1)
	v_readfirstlane_b32 s2, v1
	s_mul_i32 s3, s3, s2
	s_delay_alu instid0(SALU_CYCLE_1) | instskip(NEXT) | instid1(SALU_CYCLE_1)
	s_mul_hi_u32 s3, s2, s3
	s_add_i32 s2, s2, s3
	s_delay_alu instid0(SALU_CYCLE_1) | instskip(NEXT) | instid1(SALU_CYCLE_1)
	s_mul_hi_u32 s2, s6, s2
	s_mul_i32 s3, s2, s11
	s_delay_alu instid0(SALU_CYCLE_1)
	s_sub_i32 s3, s6, s3
	s_add_i32 s6, s2, 1
	s_sub_i32 s7, s3, s11
	s_cmp_ge_u32 s3, s11
	s_cselect_b32 s2, s6, s2
	s_cselect_b32 s3, s7, s3
	s_add_i32 s6, s2, 1
	s_cmp_ge_u32 s3, s11
	s_mov_b32 s3, 0
	s_cselect_b32 s2, s6, s2
.LBB14_5:
	v_mov_b32_e32 v1, 0
	s_add_u32 s2, s2, 1
	s_addc_u32 s3, s3, 0
	s_mul_hi_u32 s6, s10, s2
	s_mul_i32 s3, s10, s3
	v_mad_u64_u32 v[15:16], null, s14, s15, v[0:1]
	s_mul_hi_u32 s7, s16, s14
	s_add_i32 s3, s6, s3
	s_mul_i32 s7, s7, s2
	s_mul_i32 s2, s10, s2
	s_add_i32 s3, s3, s7
	s_delay_alu instid0(SALU_CYCLE_1)
	s_lshl_b64 s[6:7], s[2:3], 2
	s_mov_b32 s2, exec_lo
	v_cmpx_gt_i64_e64 s[6:7], v[15:16]
	s_cbranch_execz .LBB14_34
; %bb.6:
	v_alignbit_b32 v19, v3, v2, 2
	v_mad_u64_u32 v[6:7], null, 0xcd9e8d57, v15, 0
	v_lshrrev_b32_e32 v20, 2, v3
	s_waitcnt vmcnt(0)
	v_dual_mov_b32 v11, v14 :: v_dual_add_nc_u32 v32, 0x8ff34781, v13
	v_mad_u64_u32 v[4:5], null, 0xd2511f53, v19, 0
	v_add_co_u32 v22, null, 0x9e3779b9, v13
	s_delay_alu instid0(VALU_DEP_3) | instskip(SKIP_1) | instid1(VALU_DEP_4)
	v_add_co_u32 v21, null, 0xbb67ae85, v11
	v_add_co_u32 v23, null, 0x3c6ef372, v13
	v_xor_b32_e32 v3, v5, v14
	v_xor3_b32 v5, v13, v7, v20
	v_add_co_u32 v24, null, 0x76cf5d0a, v11
	v_add_co_u32 v25, null, 0x32370b8f, v11
	s_delay_alu instid0(VALU_DEP_4) | instskip(NEXT) | instid1(VALU_DEP_4)
	v_xor_b32_e32 v3, v3, v16
	v_mad_u64_u32 v[7:8], null, 0xd2511f53, v5, 0
	v_add_co_u32 v26, null, 0xdaa66d2b, v13
	s_delay_alu instid0(VALU_DEP_3) | instskip(SKIP_1) | instid1(VALU_DEP_4)
	v_mad_u64_u32 v[9:10], null, 0xcd9e8d57, v3, 0
	v_add_co_u32 v27, null, 0x78dde6e4, v13
	v_xor3_b32 v5, v21, v8, v4
	v_add_co_u32 v28, null, 0xed9eba14, v11
	v_add_co_u32 v29, null, 0xa9066899, v11
	v_xor3_b32 v8, v22, v10, v6
	s_delay_alu instid0(VALU_DEP_4) | instskip(SKIP_1) | instid1(VALU_DEP_3)
	v_mad_u64_u32 v[3:4], null, 0xcd9e8d57, v5, 0
	v_add_co_u32 v30, null, 0x1715609d, v13
	v_mad_u64_u32 v[5:6], null, 0xd2511f53, v8, 0
	v_and_b32_e32 v31, 3, v2
	v_add_co_u32 v35, null, 0xb54cda56, v13
	v_xor3_b32 v4, v23, v4, v9
	v_add_co_u32 v36, null, 0x646e171e, v11
	v_xor3_b32 v10, v24, v6, v7
	v_add_co_u32 v34, null, 0x5384540f, v13
	s_delay_alu instid0(VALU_DEP_4) | instskip(NEXT) | instid1(VALU_DEP_3)
	v_mad_u64_u32 v[6:7], null, 0xd2511f53, v4, 0
	v_mad_u64_u32 v[8:9], null, 0xcd9e8d57, v10, 0
	v_add_co_u32 v38, null, 0x1fd5c5a3, v11
	s_clause 0x1
	s_load_b64 s[8:9], s[0:1], 0x30
	s_load_b32 s17, s[0:1], 0x38
	v_add_co_u32 v37, null, 0xf1bbcdc8, v13
	s_delay_alu instid0(VALU_DEP_4) | instskip(NEXT) | instid1(VALU_DEP_4)
	v_xor3_b32 v5, v25, v7, v5
	v_xor3_b32 v7, v26, v9, v3
	v_add_co_u32 v40, null, 0xdb3d7428, v11
	s_load_b128 s[0:3], s[0:1], 0x40
	s_delay_alu instid0(VALU_DEP_3) | instskip(NEXT) | instid1(VALU_DEP_3)
	v_mad_u64_u32 v[3:4], null, 0xcd9e8d57, v5, 0
	v_mad_u64_u32 v[9:10], null, 0xd2511f53, v7, 0
	s_mul_i32 s18, s16, 3
	s_lshl_b32 s19, s16, 1
	s_add_i32 s20, s15, s16
	s_add_i32 s18, s15, s18
	s_delay_alu instid0(VALU_DEP_2) | instskip(SKIP_1) | instid1(VALU_DEP_3)
	v_xor3_b32 v7, v27, v4, v8
	v_mad_u64_u32 v[11:12], null, s20, s14, v[0:1]
	v_xor3_b32 v8, v28, v10, v6
	v_mad_u64_u32 v[17:18], null, s18, s14, v[0:1]
	s_delay_alu instid0(VALU_DEP_4) | instskip(NEXT) | instid1(VALU_DEP_3)
	v_mad_u64_u32 v[4:5], null, 0xd2511f53, v7, 0
	v_mad_u64_u32 v[6:7], null, 0xcd9e8d57, v8, 0
	v_add_nc_u32_e32 v33, 0x96a522ad, v14
	s_waitcnt lgkmcnt(0)
	v_mul_lo_u32 v44, s17, v11
	v_mul_lo_u32 v42, s17, v17
	v_mov_b32_e32 v39, v15
	v_xor3_b32 v5, v29, v5, v9
	v_mov_b32_e32 v45, v16
	v_xor3_b32 v9, v30, v7, v3
	s_mov_b32 s12, 0
	s_lshl_b32 s13, s10, 1
	v_mad_u64_u32 v[2:3], null, 0xcd9e8d57, v5, 0
	s_delay_alu instid0(VALU_DEP_2) | instskip(NEXT) | instid1(VALU_DEP_2)
	v_mad_u64_u32 v[7:8], null, 0xd2511f53, v9, 0
	v_xor3_b32 v9, v35, v3, v6
	v_mad_u64_u32 v[5:6], null, s15, s14, v[0:1]
	s_delay_alu instid0(VALU_DEP_3) | instskip(SKIP_1) | instid1(VALU_DEP_3)
	v_xor3_b32 v10, v36, v8, v4
	s_add_i32 s15, s15, s19
	v_mad_u64_u32 v[3:4], null, 0xd2511f53, v9, 0
	s_delay_alu instid0(VALU_DEP_2) | instskip(NEXT) | instid1(VALU_DEP_4)
	v_mad_u64_u32 v[8:9], null, 0xcd9e8d57, v10, 0
	v_mul_lo_u32 v41, s17, v5
	s_delay_alu instid0(VALU_DEP_3) | instskip(NEXT) | instid1(VALU_DEP_3)
	v_xor3_b32 v4, v38, v4, v7
	v_xor3_b32 v2, v34, v9, v2
	s_delay_alu instid0(VALU_DEP_2) | instskip(NEXT) | instid1(VALU_DEP_2)
	v_mad_u64_u32 v[6:7], null, 0xcd9e8d57, v4, 0
	v_mad_u64_u32 v[9:10], null, 0xd2511f53, v2, 0
	s_delay_alu instid0(VALU_DEP_2) | instskip(NEXT) | instid1(VALU_DEP_2)
	v_xor3_b32 v4, v37, v7, v8
	v_xor3_b32 v10, v40, v10, v3
	v_mad_u64_u32 v[2:3], null, s15, s14, v[0:1]
	s_delay_alu instid0(VALU_DEP_3) | instskip(NEXT) | instid1(VALU_DEP_3)
	v_mad_u64_u32 v[7:8], null, 0xd2511f53, v4, 0
	v_mad_u64_u32 v[3:4], null, 0xcd9e8d57, v10, 0
	s_mul_i32 s15, s16, s17
	s_mov_b32 s16, 0
	s_delay_alu instid0(VALU_DEP_3) | instskip(SKIP_1) | instid1(VALU_DEP_3)
	v_mul_lo_u32 v43, s17, v2
	s_mul_i32 s15, s15, s14
	v_mov_b32_e32 v5, v7
	s_mul_i32 s14, s10, 3
	s_delay_alu instid0(VALU_DEP_3)
	v_xor3_b32 v2, v4, v6, v32
	v_xor3_b32 v4, v8, v9, v33
	s_lshl_b32 s15, s15, 2
	s_branch .LBB14_9
.LBB14_7:                               ;   in Loop: Header=BB14_9 Depth=1
	s_or_b32 exec_lo, exec_lo, s18
	v_add_nc_u32_e32 v2, s16, v42
	s_delay_alu instid0(VALU_DEP_1) | instskip(SKIP_1) | instid1(VALU_DEP_2)
	v_ashrrev_i32_e32 v3, 31, v2
	v_add_co_u32 v2, vcc_lo, s8, v2
	v_add_co_ci_u32_e32 v3, vcc_lo, s9, v3, vcc_lo
	v_add_co_u32 v4, vcc_lo, v0, s2
	v_add_co_ci_u32_e32 v5, vcc_lo, s3, v1, vcc_lo
	global_store_b64 v[2:3], v[4:5], off
.LBB14_8:                               ;   in Loop: Header=BB14_9 Depth=1
	s_or_b32 exec_lo, exec_lo, s17
	v_add_co_u32 v15, vcc_lo, v15, s11
	v_add_co_ci_u32_e32 v16, vcc_lo, 0, v16, vcc_lo
	v_mov_b32_e32 v9, v17
	v_dual_mov_b32 v2, v6 :: v_dual_mov_b32 v3, v7
	s_delay_alu instid0(VALU_DEP_3) | instskip(NEXT) | instid1(VALU_DEP_3)
	v_cmp_le_i64_e32 vcc_lo, s[6:7], v[15:16]
	v_dual_mov_b32 v4, v8 :: v_dual_mov_b32 v5, v9
	s_add_i32 s16, s16, s15
	s_waitcnt_vscnt null, 0x0
	s_barrier
	s_or_b32 s12, vcc_lo, s12
	buffer_gl0_inv
	s_and_not1_b32 exec_lo, exec_lo, s12
	s_cbranch_execz .LBB14_34
.LBB14_9:                               ; =>This Inner Loop Header: Depth=1
	v_add_co_u32 v19, vcc_lo, v19, 1
	s_delay_alu instid0(VALU_DEP_1) | instskip(SKIP_1) | instid1(VALU_DEP_3)
	v_cndmask_b32_e64 v0, 0, 1, vcc_lo
	v_add_co_ci_u32_e32 v20, vcc_lo, 0, v20, vcc_lo
	v_mad_u64_u32 v[6:7], null, 0xd2511f53, v19, 0
	s_mov_b32 s17, exec_lo
	s_delay_alu instid0(VALU_DEP_2) | instskip(SKIP_1) | instid1(VALU_DEP_1)
	v_cmp_eq_u32_e32 vcc_lo, 0, v20
	v_cndmask_b32_e32 v0, 0, v0, vcc_lo
	v_add_nc_u32_e32 v39, v0, v39
	s_delay_alu instid0(VALU_DEP_1) | instskip(SKIP_2) | instid1(VALU_DEP_2)
	v_cmp_eq_u32_e32 vcc_lo, 0, v39
	v_cndmask_b32_e32 v0, 0, v0, vcc_lo
	v_mad_u64_u32 v[8:9], null, 0xcd9e8d57, v39, 0
	v_add_nc_u32_e32 v45, v0, v45
	v_xor_b32_e32 v0, v7, v14
	s_delay_alu instid0(VALU_DEP_3) | instskip(NEXT) | instid1(VALU_DEP_2)
	v_xor3_b32 v7, v9, v13, v20
	v_xor_b32_e32 v0, v45, v0
	s_delay_alu instid0(VALU_DEP_2) | instskip(NEXT) | instid1(VALU_DEP_2)
	v_mad_u64_u32 v[9:10], null, 0xd2511f53, v7, 0
	v_mad_u64_u32 v[11:12], null, 0xcd9e8d57, v0, 0
	s_delay_alu instid0(VALU_DEP_2) | instskip(NEXT) | instid1(VALU_DEP_2)
	v_xor3_b32 v0, v21, v10, v6
	v_xor3_b32 v8, v22, v12, v8
	s_delay_alu instid0(VALU_DEP_2) | instskip(NEXT) | instid1(VALU_DEP_2)
	v_mad_u64_u32 v[6:7], null, 0xcd9e8d57, v0, 0
	v_mad_u64_u32 v[17:18], null, 0xd2511f53, v8, 0
	s_delay_alu instid0(VALU_DEP_2) | instskip(NEXT) | instid1(VALU_DEP_2)
	v_xor3_b32 v0, v23, v7, v11
	v_xor3_b32 v11, v24, v18, v9
	;; [unrolled: 6-line block ×9, first 2 shown]
	s_delay_alu instid0(VALU_DEP_2)
	v_mov_b32_e32 v8, v12
	v_cmpx_lt_i32_e32 1, v31
	s_xor_b32 s17, exec_lo, s17
	s_cbranch_execnz .LBB14_12
; %bb.10:                               ;   in Loop: Header=BB14_9 Depth=1
	s_and_not1_saveexec_b32 s17, s17
	s_cbranch_execnz .LBB14_17
.LBB14_11:                              ;   in Loop: Header=BB14_9 Depth=1
	s_or_b32 exec_lo, exec_lo, s17
	s_delay_alu instid0(SALU_CYCLE_1)
	s_mov_b32 s17, exec_lo
	v_cmpx_gt_i64_e64 s[4:5], v[15:16]
	s_cbranch_execnz .LBB14_20
	s_branch .LBB14_23
.LBB14_12:                              ;   in Loop: Header=BB14_9 Depth=1
	s_mov_b32 s18, exec_lo
	v_cmpx_lt_i32_e32 2, v31
	s_xor_b32 s18, exec_lo, s18
; %bb.13:                               ;   in Loop: Header=BB14_9 Depth=1
	v_dual_mov_b32 v9, v5 :: v_dual_mov_b32 v10, v6
	v_mov_b32_e32 v11, v7
	s_delay_alu instid0(VALU_DEP_2) | instskip(NEXT) | instid1(VALU_DEP_2)
	v_dual_mov_b32 v2, v9 :: v_dual_mov_b32 v3, v10
	v_dual_mov_b32 v4, v11 :: v_dual_mov_b32 v5, v12
; %bb.14:                               ;   in Loop: Header=BB14_9 Depth=1
	s_and_not1_saveexec_b32 s18, s18
; %bb.15:                               ;   in Loop: Header=BB14_9 Depth=1
	s_delay_alu instid0(VALU_DEP_1)
	v_dual_mov_b32 v2, v4 :: v_dual_mov_b32 v3, v5
	v_dual_mov_b32 v4, v6 :: v_dual_mov_b32 v5, v7
; %bb.16:                               ;   in Loop: Header=BB14_9 Depth=1
	s_or_b32 exec_lo, exec_lo, s18
	s_and_not1_saveexec_b32 s17, s17
	s_cbranch_execz .LBB14_11
.LBB14_17:                              ;   in Loop: Header=BB14_9 Depth=1
	s_mov_b32 s18, exec_lo
	v_cmpx_eq_u32_e32 1, v31
; %bb.18:                               ;   in Loop: Header=BB14_9 Depth=1
	v_dual_mov_b32 v2, v3 :: v_dual_mov_b32 v3, v4
	v_dual_mov_b32 v4, v5 :: v_dual_mov_b32 v5, v6
; %bb.19:                               ;   in Loop: Header=BB14_9 Depth=1
	s_or_b32 exec_lo, exec_lo, s18
	s_delay_alu instid0(SALU_CYCLE_1) | instskip(NEXT) | instid1(SALU_CYCLE_1)
	s_or_b32 exec_lo, exec_lo, s17
	s_mov_b32 s17, exec_lo
	v_cmpx_gt_i64_e64 s[4:5], v[15:16]
	s_cbranch_execz .LBB14_23
.LBB14_20:                              ;   in Loop: Header=BB14_9 Depth=1
	v_mov_b32_e32 v0, v2
	s_mov_b32 s18, exec_lo
	s_delay_alu instid0(VALU_DEP_1)
	v_cmpx_le_u64_e64 s[0:1], v[0:1]
	s_cbranch_execz .LBB14_22
; %bb.21:                               ;   in Loop: Header=BB14_9 Depth=1
	v_cvt_f32_u32_e32 v2, s0
	s_sub_i32 s19, 0, s0
	s_delay_alu instid0(VALU_DEP_1) | instskip(SKIP_2) | instid1(VALU_DEP_1)
	v_rcp_iflag_f32_e32 v2, v2
	s_waitcnt_depctr 0xfff
	v_mul_f32_e32 v2, 0x4f7ffffe, v2
	v_cvt_u32_f32_e32 v2, v2
	s_delay_alu instid0(VALU_DEP_1) | instskip(NEXT) | instid1(VALU_DEP_1)
	v_mul_lo_u32 v9, s19, v2
	v_mul_hi_u32 v9, v2, v9
	s_delay_alu instid0(VALU_DEP_1) | instskip(NEXT) | instid1(VALU_DEP_1)
	v_add_nc_u32_e32 v2, v2, v9
	v_mul_hi_u32 v2, v0, v2
	s_delay_alu instid0(VALU_DEP_1) | instskip(NEXT) | instid1(VALU_DEP_1)
	v_mul_lo_u32 v2, v2, s0
	v_sub_nc_u32_e32 v0, v0, v2
	s_delay_alu instid0(VALU_DEP_1) | instskip(SKIP_1) | instid1(VALU_DEP_2)
	v_subrev_nc_u32_e32 v2, s0, v0
	v_cmp_le_u32_e32 vcc_lo, s0, v0
	v_cndmask_b32_e32 v0, v0, v2, vcc_lo
	s_delay_alu instid0(VALU_DEP_1) | instskip(SKIP_1) | instid1(VALU_DEP_2)
	v_subrev_nc_u32_e32 v2, s0, v0
	v_cmp_le_u32_e32 vcc_lo, s0, v0
	v_cndmask_b32_e32 v0, v0, v2, vcc_lo
.LBB14_22:                              ;   in Loop: Header=BB14_9 Depth=1
	s_or_b32 exec_lo, exec_lo, s18
	v_add_nc_u32_e32 v2, s16, v41
	s_delay_alu instid0(VALU_DEP_1) | instskip(SKIP_1) | instid1(VALU_DEP_2)
	v_ashrrev_i32_e32 v10, 31, v2
	v_add_co_u32 v9, vcc_lo, s8, v2
	v_add_co_ci_u32_e32 v10, vcc_lo, s9, v10, vcc_lo
	v_add_co_u32 v11, vcc_lo, v0, s2
	v_add_co_ci_u32_e32 v12, vcc_lo, s3, v1, vcc_lo
	global_store_b64 v[9:10], v[11:12], off
.LBB14_23:                              ;   in Loop: Header=BB14_9 Depth=1
	s_or_b32 exec_lo, exec_lo, s17
	v_add_co_u32 v9, vcc_lo, s10, v15
	v_add_co_ci_u32_e32 v10, vcc_lo, 0, v16, vcc_lo
	s_mov_b32 s17, exec_lo
	s_delay_alu instid0(VALU_DEP_1)
	v_cmpx_gt_i64_e64 s[4:5], v[9:10]
	s_cbranch_execz .LBB14_27
; %bb.24:                               ;   in Loop: Header=BB14_9 Depth=1
	v_mov_b32_e32 v0, v3
	s_mov_b32 s18, exec_lo
	s_delay_alu instid0(VALU_DEP_1)
	v_cmpx_le_u64_e64 s[0:1], v[0:1]
	s_cbranch_execz .LBB14_26
; %bb.25:                               ;   in Loop: Header=BB14_9 Depth=1
	v_cvt_f32_u32_e32 v2, s0
	s_sub_i32 s19, 0, s0
	s_delay_alu instid0(VALU_DEP_1) | instskip(SKIP_2) | instid1(VALU_DEP_1)
	v_rcp_iflag_f32_e32 v2, v2
	s_waitcnt_depctr 0xfff
	v_mul_f32_e32 v2, 0x4f7ffffe, v2
	v_cvt_u32_f32_e32 v2, v2
	s_delay_alu instid0(VALU_DEP_1) | instskip(NEXT) | instid1(VALU_DEP_1)
	v_mul_lo_u32 v3, s19, v2
	v_mul_hi_u32 v3, v2, v3
	s_delay_alu instid0(VALU_DEP_1) | instskip(NEXT) | instid1(VALU_DEP_1)
	v_add_nc_u32_e32 v2, v2, v3
	v_mul_hi_u32 v2, v0, v2
	s_delay_alu instid0(VALU_DEP_1) | instskip(NEXT) | instid1(VALU_DEP_1)
	v_mul_lo_u32 v2, v2, s0
	v_sub_nc_u32_e32 v0, v0, v2
	s_delay_alu instid0(VALU_DEP_1) | instskip(SKIP_1) | instid1(VALU_DEP_2)
	v_subrev_nc_u32_e32 v2, s0, v0
	v_cmp_le_u32_e32 vcc_lo, s0, v0
	v_cndmask_b32_e32 v0, v0, v2, vcc_lo
	s_delay_alu instid0(VALU_DEP_1) | instskip(SKIP_1) | instid1(VALU_DEP_2)
	v_subrev_nc_u32_e32 v2, s0, v0
	v_cmp_le_u32_e32 vcc_lo, s0, v0
	v_cndmask_b32_e32 v0, v0, v2, vcc_lo
.LBB14_26:                              ;   in Loop: Header=BB14_9 Depth=1
	s_or_b32 exec_lo, exec_lo, s18
	v_add_nc_u32_e32 v2, s16, v44
	s_delay_alu instid0(VALU_DEP_1) | instskip(SKIP_1) | instid1(VALU_DEP_2)
	v_ashrrev_i32_e32 v3, 31, v2
	v_add_co_u32 v2, vcc_lo, s8, v2
	v_add_co_ci_u32_e32 v3, vcc_lo, s9, v3, vcc_lo
	v_add_co_u32 v9, vcc_lo, v0, s2
	v_add_co_ci_u32_e32 v10, vcc_lo, s3, v1, vcc_lo
	global_store_b64 v[2:3], v[9:10], off
.LBB14_27:                              ;   in Loop: Header=BB14_9 Depth=1
	s_or_b32 exec_lo, exec_lo, s17
	v_add_co_u32 v2, vcc_lo, s13, v15
	v_add_co_ci_u32_e32 v3, vcc_lo, 0, v16, vcc_lo
	s_mov_b32 s17, exec_lo
	s_delay_alu instid0(VALU_DEP_1)
	v_cmpx_gt_i64_e64 s[4:5], v[2:3]
	s_cbranch_execz .LBB14_31
; %bb.28:                               ;   in Loop: Header=BB14_9 Depth=1
	v_mov_b32_e32 v0, v4
	s_mov_b32 s18, exec_lo
	s_delay_alu instid0(VALU_DEP_1)
	v_cmpx_le_u64_e64 s[0:1], v[0:1]
	s_cbranch_execz .LBB14_30
; %bb.29:                               ;   in Loop: Header=BB14_9 Depth=1
	v_cvt_f32_u32_e32 v2, s0
	s_sub_i32 s19, 0, s0
	s_delay_alu instid0(VALU_DEP_1) | instskip(SKIP_2) | instid1(VALU_DEP_1)
	v_rcp_iflag_f32_e32 v2, v2
	s_waitcnt_depctr 0xfff
	v_mul_f32_e32 v2, 0x4f7ffffe, v2
	v_cvt_u32_f32_e32 v2, v2
	s_delay_alu instid0(VALU_DEP_1) | instskip(NEXT) | instid1(VALU_DEP_1)
	v_mul_lo_u32 v3, s19, v2
	v_mul_hi_u32 v3, v2, v3
	s_delay_alu instid0(VALU_DEP_1) | instskip(NEXT) | instid1(VALU_DEP_1)
	v_add_nc_u32_e32 v2, v2, v3
	v_mul_hi_u32 v2, v0, v2
	s_delay_alu instid0(VALU_DEP_1) | instskip(NEXT) | instid1(VALU_DEP_1)
	v_mul_lo_u32 v2, v2, s0
	v_sub_nc_u32_e32 v0, v0, v2
	s_delay_alu instid0(VALU_DEP_1) | instskip(SKIP_1) | instid1(VALU_DEP_2)
	v_subrev_nc_u32_e32 v2, s0, v0
	v_cmp_le_u32_e32 vcc_lo, s0, v0
	v_cndmask_b32_e32 v0, v0, v2, vcc_lo
	s_delay_alu instid0(VALU_DEP_1) | instskip(SKIP_1) | instid1(VALU_DEP_2)
	v_subrev_nc_u32_e32 v2, s0, v0
	v_cmp_le_u32_e32 vcc_lo, s0, v0
	v_cndmask_b32_e32 v0, v0, v2, vcc_lo
.LBB14_30:                              ;   in Loop: Header=BB14_9 Depth=1
	s_or_b32 exec_lo, exec_lo, s18
	v_add_nc_u32_e32 v2, s16, v43
	s_delay_alu instid0(VALU_DEP_1) | instskip(SKIP_1) | instid1(VALU_DEP_2)
	v_ashrrev_i32_e32 v3, 31, v2
	v_add_co_u32 v2, vcc_lo, s8, v2
	v_add_co_ci_u32_e32 v3, vcc_lo, s9, v3, vcc_lo
	v_add_co_u32 v9, vcc_lo, v0, s2
	v_add_co_ci_u32_e32 v10, vcc_lo, s3, v1, vcc_lo
	global_store_b64 v[2:3], v[9:10], off
.LBB14_31:                              ;   in Loop: Header=BB14_9 Depth=1
	s_or_b32 exec_lo, exec_lo, s17
	v_add_co_u32 v2, vcc_lo, s14, v15
	v_add_co_ci_u32_e32 v3, vcc_lo, 0, v16, vcc_lo
	s_mov_b32 s17, exec_lo
	s_delay_alu instid0(VALU_DEP_1)
	v_cmpx_gt_i64_e64 s[4:5], v[2:3]
	s_cbranch_execz .LBB14_8
; %bb.32:                               ;   in Loop: Header=BB14_9 Depth=1
	v_mov_b32_e32 v0, v5
	s_mov_b32 s18, exec_lo
	s_delay_alu instid0(VALU_DEP_1)
	v_cmpx_le_u64_e64 s[0:1], v[0:1]
	s_cbranch_execz .LBB14_7
; %bb.33:                               ;   in Loop: Header=BB14_9 Depth=1
	v_cvt_f32_u32_e32 v2, s0
	s_sub_i32 s19, 0, s0
	s_delay_alu instid0(VALU_DEP_1) | instskip(SKIP_2) | instid1(VALU_DEP_1)
	v_rcp_iflag_f32_e32 v2, v2
	s_waitcnt_depctr 0xfff
	v_mul_f32_e32 v2, 0x4f7ffffe, v2
	v_cvt_u32_f32_e32 v2, v2
	s_delay_alu instid0(VALU_DEP_1) | instskip(NEXT) | instid1(VALU_DEP_1)
	v_mul_lo_u32 v3, s19, v2
	v_mul_hi_u32 v3, v2, v3
	s_delay_alu instid0(VALU_DEP_1) | instskip(NEXT) | instid1(VALU_DEP_1)
	v_add_nc_u32_e32 v2, v2, v3
	v_mul_hi_u32 v2, v0, v2
	s_delay_alu instid0(VALU_DEP_1) | instskip(NEXT) | instid1(VALU_DEP_1)
	v_mul_lo_u32 v2, v2, s0
	v_sub_nc_u32_e32 v0, v0, v2
	s_delay_alu instid0(VALU_DEP_1) | instskip(SKIP_1) | instid1(VALU_DEP_2)
	v_subrev_nc_u32_e32 v2, s0, v0
	v_cmp_le_u32_e32 vcc_lo, s0, v0
	v_cndmask_b32_e32 v0, v0, v2, vcc_lo
	s_delay_alu instid0(VALU_DEP_1) | instskip(SKIP_1) | instid1(VALU_DEP_2)
	v_subrev_nc_u32_e32 v2, s0, v0
	v_cmp_le_u32_e32 vcc_lo, s0, v0
	v_cndmask_b32_e32 v0, v0, v2, vcc_lo
	s_branch .LBB14_7
.LBB14_34:
	s_endpgm
.LBB14_35:
                                        ; implicit-def: $sgpr2_sgpr3
	s_branch .LBB14_4
	.section	.rodata,"a",@progbits
	.p2align	6, 0x0
	.amdhsa_kernel _ZN2at6native12_GLOBAL__N_143distribution_elementwise_grid_stride_kernelIjLi4EZZZNS0_9templates4cuda21random_from_to_kernelIPNS_17CUDAGeneratorImplEEEvRNS_18TensorIteratorBaseEmlT_ENKUlvE_clEvENKUlvE2_clEvEUlP25hiprandStatePhilox4_32_10E0_ZNS1_27distribution_nullary_kernelIlj15HIP_vector_typeIjLj4EES7_SF_ZZZNS5_IS7_EEvS9_mlSA_ENKSB_clEvENKSC_clEvEUljE_EEvS9_T2_RKT3_T4_EUlijE_EEvlNS_15PhiloxCudaStateET1_SK_
		.amdhsa_group_segment_fixed_size 0
		.amdhsa_private_segment_fixed_size 0
		.amdhsa_kernarg_size 336
		.amdhsa_user_sgpr_count 15
		.amdhsa_user_sgpr_dispatch_ptr 0
		.amdhsa_user_sgpr_queue_ptr 0
		.amdhsa_user_sgpr_kernarg_segment_ptr 1
		.amdhsa_user_sgpr_dispatch_id 0
		.amdhsa_user_sgpr_private_segment_size 0
		.amdhsa_wavefront_size32 1
		.amdhsa_uses_dynamic_stack 0
		.amdhsa_enable_private_segment 0
		.amdhsa_system_sgpr_workgroup_id_x 1
		.amdhsa_system_sgpr_workgroup_id_y 0
		.amdhsa_system_sgpr_workgroup_id_z 0
		.amdhsa_system_sgpr_workgroup_info 0
		.amdhsa_system_vgpr_workitem_id 0
		.amdhsa_next_free_vgpr 46
		.amdhsa_next_free_sgpr 23
		.amdhsa_reserve_vcc 1
		.amdhsa_float_round_mode_32 0
		.amdhsa_float_round_mode_16_64 0
		.amdhsa_float_denorm_mode_32 3
		.amdhsa_float_denorm_mode_16_64 3
		.amdhsa_dx10_clamp 1
		.amdhsa_ieee_mode 1
		.amdhsa_fp16_overflow 0
		.amdhsa_workgroup_processor_mode 1
		.amdhsa_memory_ordered 1
		.amdhsa_forward_progress 0
		.amdhsa_shared_vgpr_count 0
		.amdhsa_exception_fp_ieee_invalid_op 0
		.amdhsa_exception_fp_denorm_src 0
		.amdhsa_exception_fp_ieee_div_zero 0
		.amdhsa_exception_fp_ieee_overflow 0
		.amdhsa_exception_fp_ieee_underflow 0
		.amdhsa_exception_fp_ieee_inexact 0
		.amdhsa_exception_int_div_zero 0
	.end_amdhsa_kernel
	.section	.text._ZN2at6native12_GLOBAL__N_143distribution_elementwise_grid_stride_kernelIjLi4EZZZNS0_9templates4cuda21random_from_to_kernelIPNS_17CUDAGeneratorImplEEEvRNS_18TensorIteratorBaseEmlT_ENKUlvE_clEvENKUlvE2_clEvEUlP25hiprandStatePhilox4_32_10E0_ZNS1_27distribution_nullary_kernelIlj15HIP_vector_typeIjLj4EES7_SF_ZZZNS5_IS7_EEvS9_mlSA_ENKSB_clEvENKSC_clEvEUljE_EEvS9_T2_RKT3_T4_EUlijE_EEvlNS_15PhiloxCudaStateET1_SK_,"axG",@progbits,_ZN2at6native12_GLOBAL__N_143distribution_elementwise_grid_stride_kernelIjLi4EZZZNS0_9templates4cuda21random_from_to_kernelIPNS_17CUDAGeneratorImplEEEvRNS_18TensorIteratorBaseEmlT_ENKUlvE_clEvENKUlvE2_clEvEUlP25hiprandStatePhilox4_32_10E0_ZNS1_27distribution_nullary_kernelIlj15HIP_vector_typeIjLj4EES7_SF_ZZZNS5_IS7_EEvS9_mlSA_ENKSB_clEvENKSC_clEvEUljE_EEvS9_T2_RKT3_T4_EUlijE_EEvlNS_15PhiloxCudaStateET1_SK_,comdat
.Lfunc_end14:
	.size	_ZN2at6native12_GLOBAL__N_143distribution_elementwise_grid_stride_kernelIjLi4EZZZNS0_9templates4cuda21random_from_to_kernelIPNS_17CUDAGeneratorImplEEEvRNS_18TensorIteratorBaseEmlT_ENKUlvE_clEvENKUlvE2_clEvEUlP25hiprandStatePhilox4_32_10E0_ZNS1_27distribution_nullary_kernelIlj15HIP_vector_typeIjLj4EES7_SF_ZZZNS5_IS7_EEvS9_mlSA_ENKSB_clEvENKSC_clEvEUljE_EEvS9_T2_RKT3_T4_EUlijE_EEvlNS_15PhiloxCudaStateET1_SK_, .Lfunc_end14-_ZN2at6native12_GLOBAL__N_143distribution_elementwise_grid_stride_kernelIjLi4EZZZNS0_9templates4cuda21random_from_to_kernelIPNS_17CUDAGeneratorImplEEEvRNS_18TensorIteratorBaseEmlT_ENKUlvE_clEvENKUlvE2_clEvEUlP25hiprandStatePhilox4_32_10E0_ZNS1_27distribution_nullary_kernelIlj15HIP_vector_typeIjLj4EES7_SF_ZZZNS5_IS7_EEvS9_mlSA_ENKSB_clEvENKSC_clEvEUljE_EEvS9_T2_RKT3_T4_EUlijE_EEvlNS_15PhiloxCudaStateET1_SK_
                                        ; -- End function
	.section	.AMDGPU.csdata,"",@progbits
; Kernel info:
; codeLenInByte = 3440
; NumSgprs: 25
; NumVgprs: 46
; ScratchSize: 0
; MemoryBound: 0
; FloatMode: 240
; IeeeMode: 1
; LDSByteSize: 0 bytes/workgroup (compile time only)
; SGPRBlocks: 3
; VGPRBlocks: 5
; NumSGPRsForWavesPerEU: 25
; NumVGPRsForWavesPerEU: 46
; Occupancy: 16
; WaveLimiterHint : 0
; COMPUTE_PGM_RSRC2:SCRATCH_EN: 0
; COMPUTE_PGM_RSRC2:USER_SGPR: 15
; COMPUTE_PGM_RSRC2:TRAP_HANDLER: 0
; COMPUTE_PGM_RSRC2:TGID_X_EN: 1
; COMPUTE_PGM_RSRC2:TGID_Y_EN: 0
; COMPUTE_PGM_RSRC2:TGID_Z_EN: 0
; COMPUTE_PGM_RSRC2:TIDIG_COMP_CNT: 0
	.section	.text._ZN2at6native12_GLOBAL__N_143distribution_elementwise_grid_stride_kernelIjLi4EZZZNS0_9templates4cuda21random_from_to_kernelIPNS_17CUDAGeneratorImplEEEvRNS_18TensorIteratorBaseEmlT_ENKUlvE_clEvENKUlvE2_clEvEUlP25hiprandStatePhilox4_32_10E0_ZNS1_27distribution_nullary_kernelIlj15HIP_vector_typeIjLj4EES7_SF_ZZZNS5_IS7_EEvS9_mlSA_ENKSB_clEvENKSC_clEvEUljE_EEvS9_T2_RKT3_T4_EUlijE0_EEvlNS_15PhiloxCudaStateET1_SK_,"axG",@progbits,_ZN2at6native12_GLOBAL__N_143distribution_elementwise_grid_stride_kernelIjLi4EZZZNS0_9templates4cuda21random_from_to_kernelIPNS_17CUDAGeneratorImplEEEvRNS_18TensorIteratorBaseEmlT_ENKUlvE_clEvENKUlvE2_clEvEUlP25hiprandStatePhilox4_32_10E0_ZNS1_27distribution_nullary_kernelIlj15HIP_vector_typeIjLj4EES7_SF_ZZZNS5_IS7_EEvS9_mlSA_ENKSB_clEvENKSC_clEvEUljE_EEvS9_T2_RKT3_T4_EUlijE0_EEvlNS_15PhiloxCudaStateET1_SK_,comdat
	.globl	_ZN2at6native12_GLOBAL__N_143distribution_elementwise_grid_stride_kernelIjLi4EZZZNS0_9templates4cuda21random_from_to_kernelIPNS_17CUDAGeneratorImplEEEvRNS_18TensorIteratorBaseEmlT_ENKUlvE_clEvENKUlvE2_clEvEUlP25hiprandStatePhilox4_32_10E0_ZNS1_27distribution_nullary_kernelIlj15HIP_vector_typeIjLj4EES7_SF_ZZZNS5_IS7_EEvS9_mlSA_ENKSB_clEvENKSC_clEvEUljE_EEvS9_T2_RKT3_T4_EUlijE0_EEvlNS_15PhiloxCudaStateET1_SK_ ; -- Begin function _ZN2at6native12_GLOBAL__N_143distribution_elementwise_grid_stride_kernelIjLi4EZZZNS0_9templates4cuda21random_from_to_kernelIPNS_17CUDAGeneratorImplEEEvRNS_18TensorIteratorBaseEmlT_ENKUlvE_clEvENKUlvE2_clEvEUlP25hiprandStatePhilox4_32_10E0_ZNS1_27distribution_nullary_kernelIlj15HIP_vector_typeIjLj4EES7_SF_ZZZNS5_IS7_EEvS9_mlSA_ENKSB_clEvENKSC_clEvEUljE_EEvS9_T2_RKT3_T4_EUlijE0_EEvlNS_15PhiloxCudaStateET1_SK_
	.p2align	8
	.type	_ZN2at6native12_GLOBAL__N_143distribution_elementwise_grid_stride_kernelIjLi4EZZZNS0_9templates4cuda21random_from_to_kernelIPNS_17CUDAGeneratorImplEEEvRNS_18TensorIteratorBaseEmlT_ENKUlvE_clEvENKUlvE2_clEvEUlP25hiprandStatePhilox4_32_10E0_ZNS1_27distribution_nullary_kernelIlj15HIP_vector_typeIjLj4EES7_SF_ZZZNS5_IS7_EEvS9_mlSA_ENKSB_clEvENKSC_clEvEUljE_EEvS9_T2_RKT3_T4_EUlijE0_EEvlNS_15PhiloxCudaStateET1_SK_,@function
_ZN2at6native12_GLOBAL__N_143distribution_elementwise_grid_stride_kernelIjLi4EZZZNS0_9templates4cuda21random_from_to_kernelIPNS_17CUDAGeneratorImplEEEvRNS_18TensorIteratorBaseEmlT_ENKUlvE_clEvENKUlvE2_clEvEUlP25hiprandStatePhilox4_32_10E0_ZNS1_27distribution_nullary_kernelIlj15HIP_vector_typeIjLj4EES7_SF_ZZZNS5_IS7_EEvS9_mlSA_ENKSB_clEvENKSC_clEvEUljE_EEvS9_T2_RKT3_T4_EUlijE0_EEvlNS_15PhiloxCudaStateET1_SK_: ; @_ZN2at6native12_GLOBAL__N_143distribution_elementwise_grid_stride_kernelIjLi4EZZZNS0_9templates4cuda21random_from_to_kernelIPNS_17CUDAGeneratorImplEEEvRNS_18TensorIteratorBaseEmlT_ENKUlvE_clEvENKUlvE2_clEvEUlP25hiprandStatePhilox4_32_10E0_ZNS1_27distribution_nullary_kernelIlj15HIP_vector_typeIjLj4EES7_SF_ZZZNS5_IS7_EEvS9_mlSA_ENKSB_clEvENKSC_clEvEUljE_EEvS9_T2_RKT3_T4_EUlijE0_EEvlNS_15PhiloxCudaStateET1_SK_
; %bb.0:
	s_clause 0x2
	s_load_b64 s[4:5], s[0:1], 0x10
	s_load_b128 s[16:19], s[0:1], 0x0
	s_load_b32 s2, s[0:1], 0x20
	s_waitcnt lgkmcnt(0)
	v_dual_mov_b32 v2, s4 :: v_dual_mov_b32 v3, s5
	v_dual_mov_b32 v13, s18 :: v_dual_mov_b32 v14, s19
	s_bitcmp0_b32 s2, 0
	s_mov_b32 s2, 0
	s_cbranch_scc1 .LBB15_2
; %bb.1:
	v_dual_mov_b32 v1, s4 :: v_dual_mov_b32 v2, s5
	v_dual_mov_b32 v4, s18 :: v_dual_mov_b32 v5, s19
	s_load_b64 s[4:5], s[0:1], 0x18
	flat_load_b64 v[2:3], v[1:2]
	flat_load_b64 v[13:14], v[4:5]
	s_waitcnt vmcnt(1) lgkmcnt(0)
	v_add_co_u32 v2, vcc_lo, v2, s4
	v_add_co_ci_u32_e32 v3, vcc_lo, s5, v3, vcc_lo
.LBB15_2:
	s_clause 0x1
	s_load_b32 s3, s[0:1], 0x15c
	s_load_b32 s4, s[0:1], 0x150
	s_waitcnt lgkmcnt(0)
	s_and_b32 s5, s3, 0xffff
	s_add_u32 s6, s16, -1
	s_mul_i32 s28, s4, s5
	s_addc_u32 s3, s17, -1
	s_lshl_b32 s29, s28, 2
	s_cmp_lg_u64 s[2:3], 0
	s_cbranch_scc0 .LBB15_87
; %bb.3:
	v_cvt_f32_ubyte0_e32 v1, 0
	v_cvt_f32_u32_e32 v4, s29
	s_sub_u32 s8, 0, s29
	s_subb_u32 s9, 0, 0
	s_delay_alu instid0(VALU_DEP_1) | instskip(NEXT) | instid1(VALU_DEP_1)
	v_fmamk_f32 v1, v1, 0x4f800000, v4
	v_rcp_f32_e32 v1, v1
	s_waitcnt_depctr 0xfff
	v_mul_f32_e32 v1, 0x5f7ffffc, v1
	s_delay_alu instid0(VALU_DEP_1) | instskip(NEXT) | instid1(VALU_DEP_1)
	v_mul_f32_e32 v4, 0x2f800000, v1
	v_trunc_f32_e32 v4, v4
	s_delay_alu instid0(VALU_DEP_1) | instskip(SKIP_1) | instid1(VALU_DEP_2)
	v_fmamk_f32 v1, v4, 0xcf800000, v1
	v_cvt_u32_f32_e32 v4, v4
	v_cvt_u32_f32_e32 v1, v1
	s_delay_alu instid0(VALU_DEP_2) | instskip(NEXT) | instid1(VALU_DEP_2)
	v_readfirstlane_b32 s2, v4
	v_readfirstlane_b32 s7, v1
	s_delay_alu instid0(VALU_DEP_2) | instskip(NEXT) | instid1(VALU_DEP_1)
	s_mul_i32 s10, s8, s2
	s_mul_hi_u32 s12, s8, s7
	s_mul_i32 s11, s9, s7
	s_add_i32 s10, s12, s10
	s_mul_i32 s13, s8, s7
	s_add_i32 s10, s10, s11
	s_mul_hi_u32 s12, s7, s13
	s_mul_hi_u32 s14, s2, s13
	s_mul_i32 s11, s2, s13
	s_mul_hi_u32 s13, s7, s10
	s_mul_i32 s7, s7, s10
	s_mul_hi_u32 s18, s2, s10
	s_add_u32 s7, s12, s7
	s_addc_u32 s12, 0, s13
	s_add_u32 s7, s7, s11
	s_mul_i32 s10, s2, s10
	s_addc_u32 s7, s12, s14
	s_addc_u32 s11, s18, 0
	s_add_u32 s7, s7, s10
	s_addc_u32 s10, 0, s11
	v_add_co_u32 v1, s7, v1, s7
	s_delay_alu instid0(VALU_DEP_1) | instskip(SKIP_1) | instid1(VALU_DEP_1)
	s_cmp_lg_u32 s7, 0
	s_addc_u32 s2, s2, s10
	v_readfirstlane_b32 s7, v1
	s_mul_i32 s10, s8, s2
	s_delay_alu instid0(VALU_DEP_1)
	s_mul_hi_u32 s11, s8, s7
	s_mul_i32 s9, s9, s7
	s_add_i32 s10, s11, s10
	s_mul_i32 s8, s8, s7
	s_add_i32 s10, s10, s9
	s_mul_hi_u32 s11, s2, s8
	s_mul_i32 s12, s2, s8
	s_mul_hi_u32 s8, s7, s8
	s_mul_hi_u32 s13, s7, s10
	s_mul_i32 s7, s7, s10
	s_mul_hi_u32 s9, s2, s10
	s_add_u32 s7, s8, s7
	s_addc_u32 s8, 0, s13
	s_add_u32 s7, s7, s12
	s_mul_i32 s10, s2, s10
	s_addc_u32 s7, s8, s11
	s_addc_u32 s8, s9, 0
	s_add_u32 s7, s7, s10
	s_addc_u32 s8, 0, s8
	v_add_co_u32 v1, s7, v1, s7
	s_delay_alu instid0(VALU_DEP_1) | instskip(SKIP_2) | instid1(VALU_DEP_1)
	s_cmp_lg_u32 s7, 0
	s_addc_u32 s7, s2, s8
	s_ashr_i32 s8, s3, 31
	v_readfirstlane_b32 s10, v1
	s_add_u32 s2, s6, s8
	s_mov_b32 s9, s8
	s_addc_u32 s3, s3, s8
	s_delay_alu instid0(SALU_CYCLE_1) | instskip(NEXT) | instid1(SALU_CYCLE_1)
	s_xor_b64 s[2:3], s[2:3], s[8:9]
	s_mul_i32 s12, s2, s7
	s_mul_hi_u32 s13, s2, s10
	s_mul_hi_u32 s11, s2, s7
	;; [unrolled: 1-line block ×3, first 2 shown]
	s_mul_i32 s10, s3, s10
	s_add_u32 s12, s13, s12
	s_addc_u32 s11, 0, s11
	s_mul_hi_u32 s14, s3, s7
	s_add_u32 s10, s12, s10
	s_mul_i32 s7, s3, s7
	s_addc_u32 s10, s11, s18
	s_addc_u32 s11, s14, 0
	s_add_u32 s7, s10, s7
	s_addc_u32 s10, 0, s11
	s_mul_i32 s12, s29, s7
	s_add_u32 s11, s7, 1
	v_sub_co_u32 v1, s2, s2, s12
	s_mul_hi_u32 s12, s29, s7
	s_addc_u32 s13, s10, 0
	s_mul_i32 s14, s29, s10
	s_delay_alu instid0(VALU_DEP_1)
	v_sub_co_u32 v4, s18, v1, s29
	s_add_u32 s19, s7, 2
	s_addc_u32 s20, s10, 0
	s_add_i32 s12, s12, s14
	s_cmp_lg_u32 s2, 0
	v_readfirstlane_b32 s2, v4
	s_subb_u32 s3, s3, s12
	s_cmp_lg_u32 s18, 0
	s_subb_u32 s12, s3, 0
	s_delay_alu instid0(VALU_DEP_1) | instskip(SKIP_4) | instid1(SALU_CYCLE_1)
	s_cmp_ge_u32 s2, s29
	s_cselect_b32 s2, -1, 0
	s_cmp_eq_u32 s12, 0
	v_readfirstlane_b32 s12, v1
	s_cselect_b32 s2, s2, -1
	s_cmp_lg_u32 s2, 0
	s_cselect_b32 s2, s19, s11
	s_cselect_b32 s11, s20, s13
	s_cmp_ge_u32 s12, s29
	s_cselect_b32 s12, -1, 0
	s_cmp_eq_u32 s3, 0
	s_cselect_b32 s3, s12, -1
	s_delay_alu instid0(SALU_CYCLE_1) | instskip(SKIP_2) | instid1(SALU_CYCLE_1)
	s_cmp_lg_u32 s3, 0
	s_cselect_b32 s3, s11, s10
	s_cselect_b32 s2, s2, s7
	s_xor_b64 s[2:3], s[2:3], s[8:9]
	s_delay_alu instid0(SALU_CYCLE_1)
	s_sub_u32 s2, s2, s8
	s_subb_u32 s3, s3, s8
	s_cbranch_execnz .LBB15_5
.LBB15_4:
	v_cvt_f32_u32_e32 v1, s29
	s_sub_i32 s3, 0, s29
	s_delay_alu instid0(VALU_DEP_1) | instskip(SKIP_2) | instid1(VALU_DEP_1)
	v_rcp_iflag_f32_e32 v1, v1
	s_waitcnt_depctr 0xfff
	v_mul_f32_e32 v1, 0x4f7ffffe, v1
	v_cvt_u32_f32_e32 v1, v1
	s_delay_alu instid0(VALU_DEP_1) | instskip(NEXT) | instid1(VALU_DEP_1)
	v_readfirstlane_b32 s2, v1
	s_mul_i32 s3, s3, s2
	s_delay_alu instid0(SALU_CYCLE_1) | instskip(NEXT) | instid1(SALU_CYCLE_1)
	s_mul_hi_u32 s3, s2, s3
	s_add_i32 s2, s2, s3
	s_delay_alu instid0(SALU_CYCLE_1) | instskip(NEXT) | instid1(SALU_CYCLE_1)
	s_mul_hi_u32 s2, s6, s2
	s_mul_i32 s3, s2, s29
	s_delay_alu instid0(SALU_CYCLE_1)
	s_sub_i32 s3, s6, s3
	s_add_i32 s6, s2, 1
	s_sub_i32 s7, s3, s29
	s_cmp_ge_u32 s3, s29
	s_cselect_b32 s2, s6, s2
	s_cselect_b32 s3, s7, s3
	s_add_i32 s6, s2, 1
	s_cmp_ge_u32 s3, s29
	s_mov_b32 s3, 0
	s_cselect_b32 s2, s6, s2
.LBB15_5:
	v_mov_b32_e32 v1, 0
	s_add_u32 s2, s2, 1
	s_addc_u32 s3, s3, 0
	s_mul_hi_u32 s6, s28, s2
	s_mul_i32 s3, s28, s3
	v_mad_u64_u32 v[15:16], null, s5, s15, v[0:1]
	s_mul_hi_u32 s4, s4, s5
	s_add_i32 s3, s6, s3
	s_mul_i32 s4, s4, s2
	s_mul_i32 s2, s28, s2
	s_add_i32 s3, s3, s4
	s_mov_b32 s4, exec_lo
	s_lshl_b64 s[2:3], s[2:3], 2
	s_delay_alu instid0(SALU_CYCLE_1)
	v_cmpx_gt_i64_e64 s[2:3], v[15:16]
	s_cbranch_execz .LBB15_86
; %bb.6:
	v_alignbit_b32 v19, v3, v2, 2
	v_mad_u64_u32 v[6:7], null, 0xcd9e8d57, v15, 0
	v_lshrrev_b32_e32 v20, 2, v3
	s_waitcnt vmcnt(0)
	v_dual_mov_b32 v11, v14 :: v_dual_add_nc_u32 v28, 0x8ff34781, v13
	v_mad_u64_u32 v[4:5], null, 0xd2511f53, v19, 0
	v_add_co_u32 v22, null, 0x9e3779b9, v13
	v_xor3_b32 v3, v13, v7, v20
	s_delay_alu instid0(VALU_DEP_4) | instskip(SKIP_2) | instid1(VALU_DEP_4)
	v_add_co_u32 v21, null, 0xbb67ae85, v11
	v_add_co_u32 v23, null, 0x3c6ef372, v13
	v_xor_b32_e32 v0, v5, v14
	v_mad_u64_u32 v[7:8], null, 0xd2511f53, v3, 0
	v_add_co_u32 v24, null, 0x76cf5d0a, v11
	s_delay_alu instid0(VALU_DEP_3) | instskip(SKIP_2) | instid1(VALU_DEP_3)
	v_xor_b32_e32 v0, v0, v16
	v_add_co_u32 v25, null, 0x32370b8f, v11
	v_add_co_u32 v26, null, 0xdaa66d2b, v13
	v_mad_u64_u32 v[9:10], null, 0xcd9e8d57, v0, 0
	v_xor3_b32 v0, v21, v8, v4
	v_dual_mov_b32 v38, v15 :: v_dual_and_b32 v27, 3, v2
	v_add_co_u32 v29, null, 0x78dde6e4, v13
	s_delay_alu instid0(VALU_DEP_3) | instskip(SKIP_3) | instid1(VALU_DEP_3)
	v_mad_u64_u32 v[3:4], null, 0xcd9e8d57, v0, 0
	v_xor3_b32 v8, v22, v10, v6
	v_add_co_u32 v31, null, 0xed9eba14, v11
	v_add_co_u32 v33, null, 0xa9066899, v11
	v_mad_u64_u32 v[5:6], null, 0xd2511f53, v8, 0
	v_xor3_b32 v0, v23, v4, v9
	v_add_co_u32 v34, null, 0x1715609d, v13
	v_add_co_u32 v35, null, 0xb54cda56, v13
	;; [unrolled: 1-line block ×3, first 2 shown]
	v_xor3_b32 v4, v24, v6, v7
	v_mad_u64_u32 v[6:7], null, 0xd2511f53, v0, 0
	s_load_b256 s[4:11], s[0:1], 0x30
	v_add_co_u32 v32, null, 0x5384540f, v13
	s_delay_alu instid0(VALU_DEP_3) | instskip(SKIP_1) | instid1(VALU_DEP_4)
	v_mad_u64_u32 v[8:9], null, 0xcd9e8d57, v4, 0
	v_add_co_u32 v39, null, 0x1fd5c5a3, v11
	v_xor3_b32 v0, v25, v7, v5
	v_add_co_u32 v36, null, 0xf1bbcdc8, v13
	v_add_co_u32 v40, null, 0xdb3d7428, v11
	v_xor3_b32 v7, v26, v9, v3
	s_delay_alu instid0(VALU_DEP_4) | instskip(SKIP_2) | instid1(VALU_DEP_2)
	v_mad_u64_u32 v[2:3], null, 0xcd9e8d57, v0, 0
	s_add_u32 s18, s0, 48
	s_load_b64 s[20:21], s[0:1], 0x148
	v_mad_u64_u32 v[4:5], null, 0xd2511f53, v7, 0
	s_clause 0x1
	s_load_b64 s[22:23], s[0:1], 0xf4
	s_load_b128 s[12:15], s[0:1], 0x138
	s_addc_u32 s19, s1, 0
	v_xor3_b32 v0, v29, v3, v8
	s_waitcnt lgkmcnt(0)
	s_add_i32 s24, s4, -1
	v_mov_b32_e32 v41, v16
	s_cmp_gt_u32 s24, 1
	v_xor3_b32 v3, v31, v5, v6
	v_mad_u64_u32 v[5:6], null, 0xd2511f53, v0, 0
	s_cselect_b32 s11, -1, 0
	s_cmp_lg_u32 s4, 0
	s_delay_alu instid0(VALU_DEP_2) | instskip(SKIP_2) | instid1(VALU_DEP_2)
	v_mad_u64_u32 v[7:8], null, 0xcd9e8d57, v3, 0
	s_cselect_b32 s31, -1, 0
	s_add_u32 s0, s0, 0xf4
	v_xor3_b32 v0, v33, v6, v4
	s_addc_u32 s1, s1, 0
	s_min_u32 s25, s24, 15
	s_cmp_gt_u32 s4, 1
	s_delay_alu instid0(VALU_DEP_2) | instskip(SKIP_3) | instid1(VALU_DEP_2)
	v_xor3_b32 v4, v34, v8, v2
	v_mad_u64_u32 v[2:3], null, 0xcd9e8d57, v0, 0
	s_cselect_b32 s4, -1, 0
	s_add_i32 s25, s25, 1
	v_mad_u64_u32 v[8:9], null, 0xd2511f53, v4, 0
	s_lshl_b32 s33, s28, 1
	s_and_b32 s34, s25, 3
	s_delay_alu instid0(VALU_DEP_2) | instskip(SKIP_3) | instid1(VALU_DEP_2)
	v_xor3_b32 v0, v35, v3, v7
	s_cmp_lg_u32 s24, 2
	s_mov_b32 s30, 0
	s_cselect_b32 s35, -1, 0
	v_xor3_b32 v7, v37, v9, v5
	v_mad_u64_u32 v[3:4], null, 0xd2511f53, v0, 0
	s_and_b32 s36, s25, 28
	s_cmp_lg_u32 s34, 0
	s_delay_alu instid0(VALU_DEP_2) | instskip(SKIP_2) | instid1(VALU_DEP_2)
	v_mad_u64_u32 v[5:6], null, 0xcd9e8d57, v7, 0
	s_mul_i32 s37, s28, 3
	s_cselect_b32 s38, -1, 0
	v_xor3_b32 v0, v39, v4, v8
	s_delay_alu instid0(VALU_DEP_2) | instskip(NEXT) | instid1(VALU_DEP_2)
	v_xor3_b32 v2, v32, v6, v2
	v_mad_u64_u32 v[6:7], null, 0xcd9e8d57, v0, 0
	s_delay_alu instid0(VALU_DEP_2) | instskip(NEXT) | instid1(VALU_DEP_2)
	v_mad_u64_u32 v[8:9], null, 0xd2511f53, v2, 0
	v_xor3_b32 v0, v36, v7, v5
	s_delay_alu instid0(VALU_DEP_2) | instskip(NEXT) | instid1(VALU_DEP_2)
	v_xor3_b32 v2, v40, v9, v3
	v_mad_u64_u32 v[9:10], null, 0xd2511f53, v0, 0
	v_add_nc_u32_e32 v30, 0x96a522ad, v14
	s_delay_alu instid0(VALU_DEP_3) | instskip(NEXT) | instid1(VALU_DEP_3)
	v_mad_u64_u32 v[3:4], null, 0xcd9e8d57, v2, 0
	v_mov_b32_e32 v5, v9
	s_delay_alu instid0(VALU_DEP_2) | instskip(NEXT) | instid1(VALU_DEP_4)
	v_xor3_b32 v2, v4, v6, v28
	v_xor3_b32 v4, v10, v8, v30
	s_branch .LBB15_9
.LBB15_7:                               ;   in Loop: Header=BB15_9 Depth=1
	s_or_b32 exec_lo, exec_lo, s24
	s_delay_alu instid0(VALU_DEP_1)
	v_add_co_u32 v3, vcc_lo, v0, s20
	v_add_co_ci_u32_e32 v4, vcc_lo, s21, v1, vcc_lo
	global_store_b64 v2, v[3:4], s[12:13]
.LBB15_8:                               ;   in Loop: Header=BB15_9 Depth=1
	s_or_b32 exec_lo, exec_lo, s39
	v_add_co_u32 v15, vcc_lo, v15, s29
	v_add_co_ci_u32_e32 v16, vcc_lo, 0, v16, vcc_lo
	v_mov_b32_e32 v9, v17
	v_dual_mov_b32 v2, v6 :: v_dual_mov_b32 v3, v7
	s_delay_alu instid0(VALU_DEP_3) | instskip(NEXT) | instid1(VALU_DEP_3)
	v_cmp_le_i64_e32 vcc_lo, s[2:3], v[15:16]
	v_dual_mov_b32 v4, v8 :: v_dual_mov_b32 v5, v9
	s_waitcnt_vscnt null, 0x0
	s_barrier
	buffer_gl0_inv
	s_or_b32 s30, vcc_lo, s30
	s_delay_alu instid0(SALU_CYCLE_1)
	s_and_not1_b32 exec_lo, exec_lo, s30
	s_cbranch_execz .LBB15_86
.LBB15_9:                               ; =>This Loop Header: Depth=1
                                        ;     Child Loop BB15_24 Depth 2
                                        ;     Child Loop BB15_29 Depth 2
	;; [unrolled: 1-line block ×8, first 2 shown]
	v_add_co_u32 v19, vcc_lo, v19, 1
	s_delay_alu instid0(VALU_DEP_1) | instskip(SKIP_1) | instid1(VALU_DEP_3)
	v_cndmask_b32_e64 v0, 0, 1, vcc_lo
	v_add_co_ci_u32_e32 v20, vcc_lo, 0, v20, vcc_lo
	v_mad_u64_u32 v[6:7], null, 0xd2511f53, v19, 0
	s_mov_b32 s24, exec_lo
	s_delay_alu instid0(VALU_DEP_2) | instskip(SKIP_1) | instid1(VALU_DEP_1)
	v_cmp_eq_u32_e32 vcc_lo, 0, v20
	v_cndmask_b32_e32 v0, 0, v0, vcc_lo
	v_add_nc_u32_e32 v38, v0, v38
	s_delay_alu instid0(VALU_DEP_1) | instskip(SKIP_2) | instid1(VALU_DEP_1)
	v_cmp_eq_u32_e32 vcc_lo, 0, v38
	v_mad_u64_u32 v[8:9], null, 0xcd9e8d57, v38, 0
	v_cndmask_b32_e32 v0, 0, v0, vcc_lo
	v_add_nc_u32_e32 v41, v0, v41
	v_xor_b32_e32 v0, v7, v14
	s_delay_alu instid0(VALU_DEP_4) | instskip(NEXT) | instid1(VALU_DEP_2)
	v_xor3_b32 v7, v9, v13, v20
	v_xor_b32_e32 v0, v41, v0
	s_delay_alu instid0(VALU_DEP_2) | instskip(NEXT) | instid1(VALU_DEP_2)
	v_mad_u64_u32 v[9:10], null, 0xd2511f53, v7, 0
	v_mad_u64_u32 v[11:12], null, 0xcd9e8d57, v0, 0
	s_delay_alu instid0(VALU_DEP_2) | instskip(NEXT) | instid1(VALU_DEP_2)
	v_xor3_b32 v0, v21, v10, v6
	v_xor3_b32 v8, v22, v12, v8
	s_delay_alu instid0(VALU_DEP_2) | instskip(NEXT) | instid1(VALU_DEP_2)
	v_mad_u64_u32 v[6:7], null, 0xcd9e8d57, v0, 0
	v_mad_u64_u32 v[17:18], null, 0xd2511f53, v8, 0
	s_delay_alu instid0(VALU_DEP_2) | instskip(NEXT) | instid1(VALU_DEP_2)
	v_xor3_b32 v0, v23, v7, v11
	v_xor3_b32 v11, v24, v18, v9
	;; [unrolled: 6-line block ×9, first 2 shown]
	s_delay_alu instid0(VALU_DEP_2)
	v_mov_b32_e32 v8, v12
	v_cmpx_lt_i32_e32 1, v27
	s_xor_b32 s24, exec_lo, s24
	s_cbranch_execnz .LBB15_12
; %bb.10:                               ;   in Loop: Header=BB15_9 Depth=1
	s_and_not1_saveexec_b32 s24, s24
	s_cbranch_execnz .LBB15_17
.LBB15_11:                              ;   in Loop: Header=BB15_9 Depth=1
	s_or_b32 exec_lo, exec_lo, s24
	s_delay_alu instid0(SALU_CYCLE_1)
	s_mov_b32 s39, exec_lo
	v_cmpx_gt_i64_e64 s[16:17], v[15:16]
	s_cbranch_execnz .LBB15_20
	s_branch .LBB15_36
.LBB15_12:                              ;   in Loop: Header=BB15_9 Depth=1
	s_mov_b32 s25, exec_lo
	v_cmpx_lt_i32_e32 2, v27
	s_xor_b32 s25, exec_lo, s25
; %bb.13:                               ;   in Loop: Header=BB15_9 Depth=1
	v_dual_mov_b32 v9, v5 :: v_dual_mov_b32 v10, v6
	v_mov_b32_e32 v11, v7
	s_delay_alu instid0(VALU_DEP_2) | instskip(NEXT) | instid1(VALU_DEP_2)
	v_dual_mov_b32 v2, v9 :: v_dual_mov_b32 v3, v10
	v_dual_mov_b32 v4, v11 :: v_dual_mov_b32 v5, v12
; %bb.14:                               ;   in Loop: Header=BB15_9 Depth=1
	s_and_not1_saveexec_b32 s25, s25
; %bb.15:                               ;   in Loop: Header=BB15_9 Depth=1
	s_delay_alu instid0(VALU_DEP_1)
	v_dual_mov_b32 v2, v4 :: v_dual_mov_b32 v3, v5
	v_dual_mov_b32 v4, v6 :: v_dual_mov_b32 v5, v7
; %bb.16:                               ;   in Loop: Header=BB15_9 Depth=1
	s_or_b32 exec_lo, exec_lo, s25
	s_and_not1_saveexec_b32 s24, s24
	s_cbranch_execz .LBB15_11
.LBB15_17:                              ;   in Loop: Header=BB15_9 Depth=1
	s_mov_b32 s25, exec_lo
	v_cmpx_eq_u32_e32 1, v27
; %bb.18:                               ;   in Loop: Header=BB15_9 Depth=1
	v_dual_mov_b32 v2, v3 :: v_dual_mov_b32 v3, v4
	v_dual_mov_b32 v4, v5 :: v_dual_mov_b32 v5, v6
; %bb.19:                               ;   in Loop: Header=BB15_9 Depth=1
	s_or_b32 exec_lo, exec_lo, s25
	s_delay_alu instid0(SALU_CYCLE_1) | instskip(NEXT) | instid1(SALU_CYCLE_1)
	s_or_b32 exec_lo, exec_lo, s24
	s_mov_b32 s39, exec_lo
	v_cmpx_gt_i64_e64 s[16:17], v[15:16]
	s_cbranch_execz .LBB15_36
.LBB15_20:                              ;   in Loop: Header=BB15_9 Depth=1
	s_and_not1_b32 vcc_lo, exec_lo, s11
	s_cbranch_vccnz .LBB15_26
; %bb.21:                               ;   in Loop: Header=BB15_9 Depth=1
	v_mov_b32_e32 v9, 0
	s_and_not1_b32 vcc_lo, exec_lo, s31
	s_cbranch_vccnz .LBB15_30
; %bb.22:                               ;   in Loop: Header=BB15_9 Depth=1
	s_and_not1_b32 vcc_lo, exec_lo, s35
	s_mov_b32 s24, 0
	s_cbranch_vccnz .LBB15_27
; %bb.23:                               ;   in Loop: Header=BB15_9 Depth=1
	v_dual_mov_b32 v9, 0 :: v_dual_mov_b32 v0, v15
	s_mov_b32 s40, 0
	s_mov_b64 s[24:25], s[18:19]
	s_mov_b64 s[26:27], s[0:1]
.LBB15_24:                              ;   Parent Loop BB15_9 Depth=1
                                        ; =>  This Inner Loop Header: Depth=2
	s_clause 0x1
	s_load_b256 s[44:51], s[24:25], 0x4
	s_load_b128 s[52:55], s[24:25], 0x24
	s_load_b128 s[56:59], s[26:27], 0x0
	s_add_u32 s24, s24, 48
	s_addc_u32 s25, s25, 0
	s_add_i32 s40, s40, 4
	s_add_u32 s26, s26, 16
	s_addc_u32 s27, s27, 0
	s_cmp_lg_u32 s36, s40
	s_waitcnt lgkmcnt(0)
	v_mul_hi_u32 v10, s45, v0
	s_delay_alu instid0(VALU_DEP_1) | instskip(NEXT) | instid1(VALU_DEP_1)
	v_add_nc_u32_e32 v10, v0, v10
	v_lshrrev_b32_e32 v10, s46, v10
	s_delay_alu instid0(VALU_DEP_1) | instskip(SKIP_1) | instid1(VALU_DEP_2)
	v_mul_hi_u32 v11, s48, v10
	v_mul_lo_u32 v42, v10, s44
	v_add_nc_u32_e32 v11, v10, v11
	s_delay_alu instid0(VALU_DEP_2) | instskip(NEXT) | instid1(VALU_DEP_2)
	v_sub_nc_u32_e32 v42, v0, v42
	v_lshrrev_b32_e32 v11, s49, v11
	s_delay_alu instid0(VALU_DEP_2) | instskip(NEXT) | instid1(VALU_DEP_2)
	v_mul_lo_u32 v42, v42, s56
	v_mul_hi_u32 v12, s51, v11
	v_mul_lo_u32 v43, v11, s47
	s_delay_alu instid0(VALU_DEP_2) | instskip(NEXT) | instid1(VALU_DEP_2)
	v_add_nc_u32_e32 v12, v11, v12
	v_sub_nc_u32_e32 v10, v10, v43
	s_delay_alu instid0(VALU_DEP_2) | instskip(NEXT) | instid1(VALU_DEP_2)
	v_lshrrev_b32_e32 v12, s52, v12
	v_mul_lo_u32 v10, v10, s57
	s_delay_alu instid0(VALU_DEP_2) | instskip(NEXT) | instid1(VALU_DEP_2)
	v_mul_hi_u32 v18, s54, v12
	v_add3_u32 v9, v42, v9, v10
	s_delay_alu instid0(VALU_DEP_2) | instskip(NEXT) | instid1(VALU_DEP_1)
	v_add_nc_u32_e32 v18, v12, v18
	v_lshrrev_b32_e32 v0, s55, v18
	v_mul_lo_u32 v18, v12, s50
	s_delay_alu instid0(VALU_DEP_2) | instskip(NEXT) | instid1(VALU_DEP_2)
	v_mul_lo_u32 v44, v0, s53
	v_sub_nc_u32_e32 v11, v11, v18
	s_delay_alu instid0(VALU_DEP_2) | instskip(NEXT) | instid1(VALU_DEP_2)
	v_sub_nc_u32_e32 v12, v12, v44
	v_mul_lo_u32 v11, v11, s58
	s_delay_alu instid0(VALU_DEP_2) | instskip(NEXT) | instid1(VALU_DEP_1)
	v_mul_lo_u32 v12, v12, s59
	v_add3_u32 v9, v11, v9, v12
	s_cbranch_scc1 .LBB15_24
; %bb.25:                               ;   in Loop: Header=BB15_9 Depth=1
	s_mov_b32 s24, s36
	s_and_not1_b32 vcc_lo, exec_lo, s38
	s_cbranch_vccz .LBB15_28
	s_branch .LBB15_30
.LBB15_26:                              ;   in Loop: Header=BB15_9 Depth=1
                                        ; implicit-def: $vgpr9
	s_branch .LBB15_31
.LBB15_27:                              ;   in Loop: Header=BB15_9 Depth=1
	v_mov_b32_e32 v0, v15
	s_and_not1_b32 vcc_lo, exec_lo, s38
	s_cbranch_vccnz .LBB15_30
.LBB15_28:                              ;   in Loop: Header=BB15_9 Depth=1
	s_lshl_b32 s25, s24, 2
	s_mul_i32 s26, s24, 12
	s_add_u32 s24, s0, s25
	s_addc_u32 s25, s1, 0
	s_add_u32 s26, s18, s26
	s_addc_u32 s27, s19, 0
	s_mov_b32 s40, s34
	.p2align	6
.LBB15_29:                              ;   Parent Loop BB15_9 Depth=1
                                        ; =>  This Inner Loop Header: Depth=2
	s_clause 0x1
	s_load_b64 s[42:43], s[26:27], 0x4
	s_load_b32 s41, s[26:27], 0xc
	s_add_u32 s26, s26, 12
	s_addc_u32 s27, s27, 0
	s_waitcnt lgkmcnt(0)
	v_mul_hi_u32 v10, s43, v0
	s_load_b32 s43, s[24:25], 0x0
	s_add_u32 s24, s24, 4
	s_addc_u32 s25, s25, 0
	s_add_i32 s40, s40, -1
	s_delay_alu instid0(SALU_CYCLE_1) | instskip(NEXT) | instid1(VALU_DEP_1)
	s_cmp_lg_u32 s40, 0
	v_add_nc_u32_e32 v10, v0, v10
	s_delay_alu instid0(VALU_DEP_1) | instskip(NEXT) | instid1(VALU_DEP_1)
	v_lshrrev_b32_e32 v12, s41, v10
	v_mul_lo_u32 v10, v12, s42
	s_delay_alu instid0(VALU_DEP_1) | instskip(SKIP_1) | instid1(VALU_DEP_1)
	v_sub_nc_u32_e32 v0, v0, v10
	s_waitcnt lgkmcnt(0)
	v_mad_u64_u32 v[10:11], null, v0, s43, v[9:10]
	s_delay_alu instid0(VALU_DEP_1)
	v_dual_mov_b32 v0, v12 :: v_dual_mov_b32 v9, v10
	s_cbranch_scc1 .LBB15_29
.LBB15_30:                              ;   in Loop: Header=BB15_9 Depth=1
	s_cbranch_execnz .LBB15_33
.LBB15_31:                              ;   in Loop: Header=BB15_9 Depth=1
	v_mul_hi_u32 v0, v15, s6
	s_and_not1_b32 vcc_lo, exec_lo, s4
	s_delay_alu instid0(VALU_DEP_1) | instskip(NEXT) | instid1(VALU_DEP_1)
	v_add_nc_u32_e32 v0, v0, v15
	v_lshrrev_b32_e32 v0, s7, v0
	s_delay_alu instid0(VALU_DEP_1) | instskip(NEXT) | instid1(VALU_DEP_1)
	v_mul_lo_u32 v9, v0, s5
	v_sub_nc_u32_e32 v9, v15, v9
	s_delay_alu instid0(VALU_DEP_1)
	v_mul_lo_u32 v9, v9, s22
	s_cbranch_vccnz .LBB15_33
; %bb.32:                               ;   in Loop: Header=BB15_9 Depth=1
	v_mul_hi_u32 v10, s9, v0
	s_delay_alu instid0(VALU_DEP_1) | instskip(NEXT) | instid1(VALU_DEP_1)
	v_add_nc_u32_e32 v10, v0, v10
	v_lshrrev_b32_e32 v10, s10, v10
	s_delay_alu instid0(VALU_DEP_1) | instskip(NEXT) | instid1(VALU_DEP_1)
	v_mul_lo_u32 v10, v10, s8
	v_sub_nc_u32_e32 v0, v0, v10
	s_delay_alu instid0(VALU_DEP_1) | instskip(NEXT) | instid1(VALU_DEP_1)
	v_mad_u64_u32 v[10:11], null, v0, s23, v[9:10]
	v_mov_b32_e32 v9, v10
.LBB15_33:                              ;   in Loop: Header=BB15_9 Depth=1
	v_mov_b32_e32 v0, v2
	s_mov_b32 s24, exec_lo
	s_delay_alu instid0(VALU_DEP_1)
	v_cmpx_le_u64_e64 s[14:15], v[0:1]
	s_cbranch_execz .LBB15_35
; %bb.34:                               ;   in Loop: Header=BB15_9 Depth=1
	v_cvt_f32_u32_e32 v2, s14
	s_sub_i32 s25, 0, s14
	s_delay_alu instid0(VALU_DEP_1) | instskip(SKIP_2) | instid1(VALU_DEP_1)
	v_rcp_iflag_f32_e32 v2, v2
	s_waitcnt_depctr 0xfff
	v_mul_f32_e32 v2, 0x4f7ffffe, v2
	v_cvt_u32_f32_e32 v2, v2
	s_delay_alu instid0(VALU_DEP_1) | instskip(NEXT) | instid1(VALU_DEP_1)
	v_mul_lo_u32 v10, s25, v2
	v_mul_hi_u32 v10, v2, v10
	s_delay_alu instid0(VALU_DEP_1) | instskip(NEXT) | instid1(VALU_DEP_1)
	v_add_nc_u32_e32 v2, v2, v10
	v_mul_hi_u32 v2, v0, v2
	s_delay_alu instid0(VALU_DEP_1) | instskip(NEXT) | instid1(VALU_DEP_1)
	v_mul_lo_u32 v2, v2, s14
	v_sub_nc_u32_e32 v0, v0, v2
	s_delay_alu instid0(VALU_DEP_1) | instskip(SKIP_1) | instid1(VALU_DEP_2)
	v_subrev_nc_u32_e32 v2, s14, v0
	v_cmp_le_u32_e32 vcc_lo, s14, v0
	v_cndmask_b32_e32 v0, v0, v2, vcc_lo
	s_delay_alu instid0(VALU_DEP_1) | instskip(SKIP_1) | instid1(VALU_DEP_2)
	v_subrev_nc_u32_e32 v2, s14, v0
	v_cmp_le_u32_e32 vcc_lo, s14, v0
	v_cndmask_b32_e32 v0, v0, v2, vcc_lo
.LBB15_35:                              ;   in Loop: Header=BB15_9 Depth=1
	s_or_b32 exec_lo, exec_lo, s24
	s_delay_alu instid0(VALU_DEP_1)
	v_add_co_u32 v10, vcc_lo, v0, s20
	v_add_co_ci_u32_e32 v11, vcc_lo, s21, v1, vcc_lo
	global_store_b64 v9, v[10:11], s[12:13]
.LBB15_36:                              ;   in Loop: Header=BB15_9 Depth=1
	s_or_b32 exec_lo, exec_lo, s39
	v_add_co_u32 v9, vcc_lo, v15, s28
	v_add_co_ci_u32_e32 v10, vcc_lo, 0, v16, vcc_lo
	s_mov_b32 s39, exec_lo
	s_delay_alu instid0(VALU_DEP_1)
	v_cmpx_gt_i64_e64 s[16:17], v[9:10]
	s_cbranch_execz .LBB15_53
; %bb.37:                               ;   in Loop: Header=BB15_9 Depth=1
	s_and_not1_b32 vcc_lo, exec_lo, s11
	s_cbranch_vccnz .LBB15_43
; %bb.38:                               ;   in Loop: Header=BB15_9 Depth=1
	v_mov_b32_e32 v2, 0
	s_and_not1_b32 vcc_lo, exec_lo, s31
	s_cbranch_vccnz .LBB15_47
; %bb.39:                               ;   in Loop: Header=BB15_9 Depth=1
	s_and_not1_b32 vcc_lo, exec_lo, s35
	s_mov_b32 s24, 0
	s_cbranch_vccnz .LBB15_44
; %bb.40:                               ;   in Loop: Header=BB15_9 Depth=1
	v_mov_b32_e32 v2, 0
	v_mov_b32_e32 v0, v9
	s_mov_b32 s40, 0
	s_mov_b64 s[24:25], s[18:19]
	s_mov_b64 s[26:27], s[0:1]
.LBB15_41:                              ;   Parent Loop BB15_9 Depth=1
                                        ; =>  This Inner Loop Header: Depth=2
	s_clause 0x1
	s_load_b256 s[44:51], s[24:25], 0x4
	s_load_b128 s[52:55], s[24:25], 0x24
	s_load_b128 s[56:59], s[26:27], 0x0
	s_add_u32 s24, s24, 48
	s_addc_u32 s25, s25, 0
	s_add_i32 s40, s40, 4
	s_add_u32 s26, s26, 16
	s_addc_u32 s27, s27, 0
	s_cmp_eq_u32 s36, s40
	s_waitcnt lgkmcnt(0)
	v_mul_hi_u32 v10, s45, v0
	s_delay_alu instid0(VALU_DEP_1) | instskip(NEXT) | instid1(VALU_DEP_1)
	v_add_nc_u32_e32 v10, v0, v10
	v_lshrrev_b32_e32 v10, s46, v10
	s_delay_alu instid0(VALU_DEP_1) | instskip(SKIP_1) | instid1(VALU_DEP_2)
	v_mul_hi_u32 v11, s48, v10
	v_mul_lo_u32 v42, v10, s44
	v_add_nc_u32_e32 v11, v10, v11
	s_delay_alu instid0(VALU_DEP_2) | instskip(NEXT) | instid1(VALU_DEP_2)
	v_sub_nc_u32_e32 v42, v0, v42
	v_lshrrev_b32_e32 v11, s49, v11
	s_delay_alu instid0(VALU_DEP_2) | instskip(NEXT) | instid1(VALU_DEP_2)
	v_mul_lo_u32 v42, v42, s56
	v_mul_hi_u32 v12, s51, v11
	v_mul_lo_u32 v43, v11, s47
	s_delay_alu instid0(VALU_DEP_2) | instskip(NEXT) | instid1(VALU_DEP_2)
	v_add_nc_u32_e32 v12, v11, v12
	v_sub_nc_u32_e32 v10, v10, v43
	s_delay_alu instid0(VALU_DEP_2) | instskip(NEXT) | instid1(VALU_DEP_2)
	v_lshrrev_b32_e32 v12, s52, v12
	v_mul_lo_u32 v10, v10, s57
	s_delay_alu instid0(VALU_DEP_2) | instskip(NEXT) | instid1(VALU_DEP_2)
	v_mul_hi_u32 v18, s54, v12
	v_add3_u32 v2, v42, v2, v10
	s_delay_alu instid0(VALU_DEP_2) | instskip(NEXT) | instid1(VALU_DEP_1)
	v_add_nc_u32_e32 v18, v12, v18
	v_lshrrev_b32_e32 v0, s55, v18
	v_mul_lo_u32 v18, v12, s50
	s_delay_alu instid0(VALU_DEP_2) | instskip(NEXT) | instid1(VALU_DEP_2)
	v_mul_lo_u32 v44, v0, s53
	v_sub_nc_u32_e32 v11, v11, v18
	s_delay_alu instid0(VALU_DEP_2) | instskip(NEXT) | instid1(VALU_DEP_2)
	v_sub_nc_u32_e32 v12, v12, v44
	v_mul_lo_u32 v11, v11, s58
	s_delay_alu instid0(VALU_DEP_2) | instskip(NEXT) | instid1(VALU_DEP_1)
	v_mul_lo_u32 v12, v12, s59
	v_add3_u32 v2, v11, v2, v12
	s_cbranch_scc0 .LBB15_41
; %bb.42:                               ;   in Loop: Header=BB15_9 Depth=1
	s_mov_b32 s24, s36
	s_and_not1_b32 vcc_lo, exec_lo, s38
	s_cbranch_vccz .LBB15_45
	s_branch .LBB15_47
.LBB15_43:                              ;   in Loop: Header=BB15_9 Depth=1
                                        ; implicit-def: $vgpr2
	s_branch .LBB15_48
.LBB15_44:                              ;   in Loop: Header=BB15_9 Depth=1
	v_mov_b32_e32 v0, v9
	s_and_not1_b32 vcc_lo, exec_lo, s38
	s_cbranch_vccnz .LBB15_47
.LBB15_45:                              ;   in Loop: Header=BB15_9 Depth=1
	s_lshl_b32 s25, s24, 2
	s_mul_i32 s26, s24, 12
	s_add_u32 s24, s0, s25
	s_addc_u32 s25, s1, 0
	s_add_u32 s26, s18, s26
	s_addc_u32 s27, s19, 0
	s_mov_b32 s40, s34
	.p2align	6
.LBB15_46:                              ;   Parent Loop BB15_9 Depth=1
                                        ; =>  This Inner Loop Header: Depth=2
	s_clause 0x1
	s_load_b64 s[42:43], s[26:27], 0x4
	s_load_b32 s41, s[26:27], 0xc
	s_add_u32 s26, s26, 12
	s_addc_u32 s27, s27, 0
	s_waitcnt lgkmcnt(0)
	v_mul_hi_u32 v10, s43, v0
	s_load_b32 s43, s[24:25], 0x0
	s_add_u32 s24, s24, 4
	s_addc_u32 s25, s25, 0
	s_add_i32 s40, s40, -1
	s_delay_alu instid0(SALU_CYCLE_1) | instskip(NEXT) | instid1(VALU_DEP_1)
	s_cmp_lg_u32 s40, 0
	v_add_nc_u32_e32 v10, v0, v10
	s_delay_alu instid0(VALU_DEP_1) | instskip(NEXT) | instid1(VALU_DEP_1)
	v_lshrrev_b32_e32 v12, s41, v10
	v_mul_lo_u32 v10, v12, s42
	s_delay_alu instid0(VALU_DEP_1) | instskip(SKIP_1) | instid1(VALU_DEP_1)
	v_sub_nc_u32_e32 v0, v0, v10
	s_waitcnt lgkmcnt(0)
	v_mad_u64_u32 v[10:11], null, v0, s43, v[2:3]
	v_mov_b32_e32 v0, v12
	s_delay_alu instid0(VALU_DEP_2)
	v_mov_b32_e32 v2, v10
	s_cbranch_scc1 .LBB15_46
.LBB15_47:                              ;   in Loop: Header=BB15_9 Depth=1
	s_cbranch_execnz .LBB15_50
.LBB15_48:                              ;   in Loop: Header=BB15_9 Depth=1
	v_mul_hi_u32 v0, v9, s6
	s_and_not1_b32 vcc_lo, exec_lo, s4
	s_delay_alu instid0(VALU_DEP_1) | instskip(NEXT) | instid1(VALU_DEP_1)
	v_add_nc_u32_e32 v0, v0, v9
	v_lshrrev_b32_e32 v0, s7, v0
	s_delay_alu instid0(VALU_DEP_1) | instskip(NEXT) | instid1(VALU_DEP_1)
	v_mul_lo_u32 v2, v0, s5
	v_sub_nc_u32_e32 v2, v9, v2
	s_delay_alu instid0(VALU_DEP_1)
	v_mul_lo_u32 v2, v2, s22
	s_cbranch_vccnz .LBB15_50
; %bb.49:                               ;   in Loop: Header=BB15_9 Depth=1
	v_mul_hi_u32 v9, s9, v0
	s_delay_alu instid0(VALU_DEP_1) | instskip(NEXT) | instid1(VALU_DEP_1)
	v_add_nc_u32_e32 v9, v0, v9
	v_lshrrev_b32_e32 v9, s10, v9
	s_delay_alu instid0(VALU_DEP_1) | instskip(NEXT) | instid1(VALU_DEP_1)
	v_mul_lo_u32 v9, v9, s8
	v_sub_nc_u32_e32 v0, v0, v9
	s_delay_alu instid0(VALU_DEP_1) | instskip(NEXT) | instid1(VALU_DEP_1)
	v_mad_u64_u32 v[9:10], null, v0, s23, v[2:3]
	v_mov_b32_e32 v2, v9
.LBB15_50:                              ;   in Loop: Header=BB15_9 Depth=1
	v_mov_b32_e32 v0, v3
	s_mov_b32 s24, exec_lo
	s_delay_alu instid0(VALU_DEP_1)
	v_cmpx_le_u64_e64 s[14:15], v[0:1]
	s_cbranch_execz .LBB15_52
; %bb.51:                               ;   in Loop: Header=BB15_9 Depth=1
	v_cvt_f32_u32_e32 v3, s14
	s_sub_i32 s25, 0, s14
	s_delay_alu instid0(VALU_DEP_1) | instskip(SKIP_2) | instid1(VALU_DEP_1)
	v_rcp_iflag_f32_e32 v3, v3
	s_waitcnt_depctr 0xfff
	v_mul_f32_e32 v3, 0x4f7ffffe, v3
	v_cvt_u32_f32_e32 v3, v3
	s_delay_alu instid0(VALU_DEP_1) | instskip(NEXT) | instid1(VALU_DEP_1)
	v_mul_lo_u32 v9, s25, v3
	v_mul_hi_u32 v9, v3, v9
	s_delay_alu instid0(VALU_DEP_1) | instskip(NEXT) | instid1(VALU_DEP_1)
	v_add_nc_u32_e32 v3, v3, v9
	v_mul_hi_u32 v3, v0, v3
	s_delay_alu instid0(VALU_DEP_1) | instskip(NEXT) | instid1(VALU_DEP_1)
	v_mul_lo_u32 v3, v3, s14
	v_sub_nc_u32_e32 v0, v0, v3
	s_delay_alu instid0(VALU_DEP_1) | instskip(SKIP_1) | instid1(VALU_DEP_2)
	v_subrev_nc_u32_e32 v3, s14, v0
	v_cmp_le_u32_e32 vcc_lo, s14, v0
	v_cndmask_b32_e32 v0, v0, v3, vcc_lo
	s_delay_alu instid0(VALU_DEP_1) | instskip(SKIP_1) | instid1(VALU_DEP_2)
	v_subrev_nc_u32_e32 v3, s14, v0
	v_cmp_le_u32_e32 vcc_lo, s14, v0
	v_cndmask_b32_e32 v0, v0, v3, vcc_lo
.LBB15_52:                              ;   in Loop: Header=BB15_9 Depth=1
	s_or_b32 exec_lo, exec_lo, s24
	s_delay_alu instid0(VALU_DEP_1)
	v_add_co_u32 v9, vcc_lo, v0, s20
	v_add_co_ci_u32_e32 v10, vcc_lo, s21, v1, vcc_lo
	global_store_b64 v2, v[9:10], s[12:13]
.LBB15_53:                              ;   in Loop: Header=BB15_9 Depth=1
	s_or_b32 exec_lo, exec_lo, s39
	v_add_co_u32 v9, vcc_lo, v15, s33
	v_add_co_ci_u32_e32 v10, vcc_lo, 0, v16, vcc_lo
	s_mov_b32 s39, exec_lo
	s_delay_alu instid0(VALU_DEP_1)
	v_cmpx_gt_i64_e64 s[16:17], v[9:10]
	s_cbranch_execz .LBB15_70
; %bb.54:                               ;   in Loop: Header=BB15_9 Depth=1
	s_and_not1_b32 vcc_lo, exec_lo, s11
	s_cbranch_vccnz .LBB15_60
; %bb.55:                               ;   in Loop: Header=BB15_9 Depth=1
	v_mov_b32_e32 v2, 0
	s_and_not1_b32 vcc_lo, exec_lo, s31
	s_cbranch_vccnz .LBB15_64
; %bb.56:                               ;   in Loop: Header=BB15_9 Depth=1
	s_and_not1_b32 vcc_lo, exec_lo, s35
	s_mov_b32 s24, 0
	s_cbranch_vccnz .LBB15_61
; %bb.57:                               ;   in Loop: Header=BB15_9 Depth=1
	v_mov_b32_e32 v2, 0
	v_mov_b32_e32 v0, v9
	s_mov_b32 s40, 0
	s_mov_b64 s[24:25], s[18:19]
	s_mov_b64 s[26:27], s[0:1]
.LBB15_58:                              ;   Parent Loop BB15_9 Depth=1
                                        ; =>  This Inner Loop Header: Depth=2
	s_clause 0x1
	s_load_b256 s[44:51], s[24:25], 0x4
	s_load_b128 s[52:55], s[24:25], 0x24
	s_load_b128 s[56:59], s[26:27], 0x0
	s_add_u32 s24, s24, 48
	s_addc_u32 s25, s25, 0
	s_add_i32 s40, s40, 4
	s_add_u32 s26, s26, 16
	s_addc_u32 s27, s27, 0
	s_cmp_eq_u32 s36, s40
	s_waitcnt lgkmcnt(0)
	v_mul_hi_u32 v3, s45, v0
	s_delay_alu instid0(VALU_DEP_1) | instskip(NEXT) | instid1(VALU_DEP_1)
	v_add_nc_u32_e32 v3, v0, v3
	v_lshrrev_b32_e32 v3, s46, v3
	s_delay_alu instid0(VALU_DEP_1) | instskip(SKIP_1) | instid1(VALU_DEP_2)
	v_mul_hi_u32 v10, s48, v3
	v_mul_lo_u32 v18, v3, s44
	v_add_nc_u32_e32 v10, v3, v10
	s_delay_alu instid0(VALU_DEP_2) | instskip(NEXT) | instid1(VALU_DEP_2)
	v_sub_nc_u32_e32 v18, v0, v18
	v_lshrrev_b32_e32 v10, s49, v10
	s_delay_alu instid0(VALU_DEP_2) | instskip(NEXT) | instid1(VALU_DEP_2)
	v_mul_lo_u32 v18, v18, s56
	v_mul_hi_u32 v11, s51, v10
	v_mul_lo_u32 v42, v10, s47
	s_delay_alu instid0(VALU_DEP_2) | instskip(NEXT) | instid1(VALU_DEP_2)
	v_add_nc_u32_e32 v11, v10, v11
	v_sub_nc_u32_e32 v3, v3, v42
	s_delay_alu instid0(VALU_DEP_2) | instskip(NEXT) | instid1(VALU_DEP_2)
	v_lshrrev_b32_e32 v11, s52, v11
	v_mul_lo_u32 v3, v3, s57
	s_delay_alu instid0(VALU_DEP_2) | instskip(NEXT) | instid1(VALU_DEP_2)
	v_mul_hi_u32 v12, s54, v11
	v_add3_u32 v2, v18, v2, v3
	s_delay_alu instid0(VALU_DEP_2) | instskip(NEXT) | instid1(VALU_DEP_1)
	v_add_nc_u32_e32 v12, v11, v12
	v_lshrrev_b32_e32 v0, s55, v12
	v_mul_lo_u32 v12, v11, s50
	s_delay_alu instid0(VALU_DEP_2) | instskip(NEXT) | instid1(VALU_DEP_2)
	v_mul_lo_u32 v43, v0, s53
	v_sub_nc_u32_e32 v10, v10, v12
	s_delay_alu instid0(VALU_DEP_2) | instskip(NEXT) | instid1(VALU_DEP_2)
	v_sub_nc_u32_e32 v11, v11, v43
	v_mul_lo_u32 v10, v10, s58
	s_delay_alu instid0(VALU_DEP_2) | instskip(NEXT) | instid1(VALU_DEP_1)
	v_mul_lo_u32 v11, v11, s59
	v_add3_u32 v2, v10, v2, v11
	s_cbranch_scc0 .LBB15_58
; %bb.59:                               ;   in Loop: Header=BB15_9 Depth=1
	s_mov_b32 s24, s36
	s_and_not1_b32 vcc_lo, exec_lo, s38
	s_cbranch_vccz .LBB15_62
	s_branch .LBB15_64
.LBB15_60:                              ;   in Loop: Header=BB15_9 Depth=1
                                        ; implicit-def: $vgpr2
	s_branch .LBB15_65
.LBB15_61:                              ;   in Loop: Header=BB15_9 Depth=1
	v_mov_b32_e32 v0, v9
	s_and_not1_b32 vcc_lo, exec_lo, s38
	s_cbranch_vccnz .LBB15_64
.LBB15_62:                              ;   in Loop: Header=BB15_9 Depth=1
	s_lshl_b32 s25, s24, 2
	s_mul_i32 s26, s24, 12
	s_add_u32 s24, s0, s25
	s_addc_u32 s25, s1, 0
	s_add_u32 s26, s18, s26
	s_addc_u32 s27, s19, 0
	s_mov_b32 s40, s34
	.p2align	6
.LBB15_63:                              ;   Parent Loop BB15_9 Depth=1
                                        ; =>  This Inner Loop Header: Depth=2
	s_clause 0x1
	s_load_b64 s[42:43], s[26:27], 0x4
	s_load_b32 s41, s[26:27], 0xc
	s_add_u32 s26, s26, 12
	s_addc_u32 s27, s27, 0
	s_waitcnt lgkmcnt(0)
	v_mul_hi_u32 v3, s43, v0
	s_load_b32 s43, s[24:25], 0x0
	s_add_u32 s24, s24, 4
	s_addc_u32 s25, s25, 0
	s_add_i32 s40, s40, -1
	s_delay_alu instid0(SALU_CYCLE_1) | instskip(NEXT) | instid1(VALU_DEP_1)
	s_cmp_lg_u32 s40, 0
	v_add_nc_u32_e32 v3, v0, v3
	s_delay_alu instid0(VALU_DEP_1) | instskip(NEXT) | instid1(VALU_DEP_1)
	v_lshrrev_b32_e32 v3, s41, v3
	v_mul_lo_u32 v10, v3, s42
	s_delay_alu instid0(VALU_DEP_1) | instskip(SKIP_1) | instid1(VALU_DEP_1)
	v_sub_nc_u32_e32 v0, v0, v10
	s_waitcnt lgkmcnt(0)
	v_mad_u64_u32 v[10:11], null, v0, s43, v[2:3]
	v_mov_b32_e32 v0, v3
	s_delay_alu instid0(VALU_DEP_2)
	v_mov_b32_e32 v2, v10
	s_cbranch_scc1 .LBB15_63
.LBB15_64:                              ;   in Loop: Header=BB15_9 Depth=1
	s_cbranch_execnz .LBB15_67
.LBB15_65:                              ;   in Loop: Header=BB15_9 Depth=1
	v_mul_hi_u32 v0, v9, s6
	s_and_not1_b32 vcc_lo, exec_lo, s4
	s_delay_alu instid0(VALU_DEP_1) | instskip(NEXT) | instid1(VALU_DEP_1)
	v_add_nc_u32_e32 v0, v0, v9
	v_lshrrev_b32_e32 v0, s7, v0
	s_delay_alu instid0(VALU_DEP_1) | instskip(NEXT) | instid1(VALU_DEP_1)
	v_mul_lo_u32 v2, v0, s5
	v_sub_nc_u32_e32 v2, v9, v2
	s_delay_alu instid0(VALU_DEP_1)
	v_mul_lo_u32 v2, v2, s22
	s_cbranch_vccnz .LBB15_67
; %bb.66:                               ;   in Loop: Header=BB15_9 Depth=1
	v_mul_hi_u32 v3, s9, v0
	s_delay_alu instid0(VALU_DEP_1) | instskip(NEXT) | instid1(VALU_DEP_1)
	v_add_nc_u32_e32 v3, v0, v3
	v_lshrrev_b32_e32 v3, s10, v3
	s_delay_alu instid0(VALU_DEP_1) | instskip(NEXT) | instid1(VALU_DEP_1)
	v_mul_lo_u32 v3, v3, s8
	v_sub_nc_u32_e32 v0, v0, v3
	s_delay_alu instid0(VALU_DEP_1) | instskip(NEXT) | instid1(VALU_DEP_1)
	v_mad_u64_u32 v[9:10], null, v0, s23, v[2:3]
	v_mov_b32_e32 v2, v9
.LBB15_67:                              ;   in Loop: Header=BB15_9 Depth=1
	v_mov_b32_e32 v0, v4
	s_mov_b32 s24, exec_lo
	s_delay_alu instid0(VALU_DEP_1)
	v_cmpx_le_u64_e64 s[14:15], v[0:1]
	s_cbranch_execz .LBB15_69
; %bb.68:                               ;   in Loop: Header=BB15_9 Depth=1
	v_cvt_f32_u32_e32 v3, s14
	s_sub_i32 s25, 0, s14
	s_delay_alu instid0(VALU_DEP_1) | instskip(SKIP_2) | instid1(VALU_DEP_1)
	v_rcp_iflag_f32_e32 v3, v3
	s_waitcnt_depctr 0xfff
	v_mul_f32_e32 v3, 0x4f7ffffe, v3
	v_cvt_u32_f32_e32 v3, v3
	s_delay_alu instid0(VALU_DEP_1) | instskip(NEXT) | instid1(VALU_DEP_1)
	v_mul_lo_u32 v4, s25, v3
	v_mul_hi_u32 v4, v3, v4
	s_delay_alu instid0(VALU_DEP_1) | instskip(NEXT) | instid1(VALU_DEP_1)
	v_add_nc_u32_e32 v3, v3, v4
	v_mul_hi_u32 v3, v0, v3
	s_delay_alu instid0(VALU_DEP_1) | instskip(NEXT) | instid1(VALU_DEP_1)
	v_mul_lo_u32 v3, v3, s14
	v_sub_nc_u32_e32 v0, v0, v3
	s_delay_alu instid0(VALU_DEP_1) | instskip(SKIP_1) | instid1(VALU_DEP_2)
	v_subrev_nc_u32_e32 v3, s14, v0
	v_cmp_le_u32_e32 vcc_lo, s14, v0
	v_cndmask_b32_e32 v0, v0, v3, vcc_lo
	s_delay_alu instid0(VALU_DEP_1) | instskip(SKIP_1) | instid1(VALU_DEP_2)
	v_subrev_nc_u32_e32 v3, s14, v0
	v_cmp_le_u32_e32 vcc_lo, s14, v0
	v_cndmask_b32_e32 v0, v0, v3, vcc_lo
.LBB15_69:                              ;   in Loop: Header=BB15_9 Depth=1
	s_or_b32 exec_lo, exec_lo, s24
	s_delay_alu instid0(VALU_DEP_1)
	v_add_co_u32 v3, vcc_lo, v0, s20
	v_add_co_ci_u32_e32 v4, vcc_lo, s21, v1, vcc_lo
	global_store_b64 v2, v[3:4], s[12:13]
.LBB15_70:                              ;   in Loop: Header=BB15_9 Depth=1
	s_or_b32 exec_lo, exec_lo, s39
	v_add_co_u32 v3, vcc_lo, v15, s37
	v_add_co_ci_u32_e32 v4, vcc_lo, 0, v16, vcc_lo
	s_mov_b32 s39, exec_lo
	s_delay_alu instid0(VALU_DEP_1)
	v_cmpx_gt_i64_e64 s[16:17], v[3:4]
	s_cbranch_execz .LBB15_8
; %bb.71:                               ;   in Loop: Header=BB15_9 Depth=1
	s_and_not1_b32 vcc_lo, exec_lo, s11
	s_cbranch_vccnz .LBB15_77
; %bb.72:                               ;   in Loop: Header=BB15_9 Depth=1
	v_mov_b32_e32 v2, 0
	s_and_not1_b32 vcc_lo, exec_lo, s31
	s_cbranch_vccnz .LBB15_81
; %bb.73:                               ;   in Loop: Header=BB15_9 Depth=1
	s_and_not1_b32 vcc_lo, exec_lo, s35
	s_mov_b32 s24, 0
	s_cbranch_vccnz .LBB15_78
; %bb.74:                               ;   in Loop: Header=BB15_9 Depth=1
	v_mov_b32_e32 v2, 0
	v_mov_b32_e32 v0, v3
	s_mov_b32 s40, 0
	s_mov_b64 s[24:25], s[18:19]
	s_mov_b64 s[26:27], s[0:1]
.LBB15_75:                              ;   Parent Loop BB15_9 Depth=1
                                        ; =>  This Inner Loop Header: Depth=2
	s_clause 0x1
	s_load_b256 s[44:51], s[24:25], 0x4
	s_load_b128 s[52:55], s[24:25], 0x24
	s_load_b128 s[56:59], s[26:27], 0x0
	s_add_u32 s24, s24, 48
	s_addc_u32 s25, s25, 0
	s_add_i32 s40, s40, 4
	s_add_u32 s26, s26, 16
	s_addc_u32 s27, s27, 0
	s_cmp_eq_u32 s36, s40
	s_waitcnt lgkmcnt(0)
	v_mul_hi_u32 v4, s45, v0
	s_delay_alu instid0(VALU_DEP_1) | instskip(NEXT) | instid1(VALU_DEP_1)
	v_add_nc_u32_e32 v4, v0, v4
	v_lshrrev_b32_e32 v4, s46, v4
	s_delay_alu instid0(VALU_DEP_1) | instskip(SKIP_1) | instid1(VALU_DEP_2)
	v_mul_hi_u32 v9, s48, v4
	v_mul_lo_u32 v12, v4, s44
	v_add_nc_u32_e32 v9, v4, v9
	s_delay_alu instid0(VALU_DEP_2) | instskip(NEXT) | instid1(VALU_DEP_2)
	v_sub_nc_u32_e32 v12, v0, v12
	v_lshrrev_b32_e32 v9, s49, v9
	s_delay_alu instid0(VALU_DEP_2) | instskip(NEXT) | instid1(VALU_DEP_2)
	v_mul_lo_u32 v12, v12, s56
	v_mul_hi_u32 v10, s51, v9
	v_mul_lo_u32 v18, v9, s47
	s_delay_alu instid0(VALU_DEP_2) | instskip(NEXT) | instid1(VALU_DEP_2)
	v_add_nc_u32_e32 v10, v9, v10
	v_sub_nc_u32_e32 v4, v4, v18
	s_delay_alu instid0(VALU_DEP_2) | instskip(NEXT) | instid1(VALU_DEP_2)
	v_lshrrev_b32_e32 v10, s52, v10
	v_mul_lo_u32 v4, v4, s57
	s_delay_alu instid0(VALU_DEP_2) | instskip(NEXT) | instid1(VALU_DEP_2)
	v_mul_hi_u32 v11, s54, v10
	v_add3_u32 v2, v12, v2, v4
	s_delay_alu instid0(VALU_DEP_2) | instskip(NEXT) | instid1(VALU_DEP_1)
	v_add_nc_u32_e32 v11, v10, v11
	v_lshrrev_b32_e32 v0, s55, v11
	v_mul_lo_u32 v11, v10, s50
	s_delay_alu instid0(VALU_DEP_2) | instskip(NEXT) | instid1(VALU_DEP_2)
	v_mul_lo_u32 v42, v0, s53
	v_sub_nc_u32_e32 v9, v9, v11
	s_delay_alu instid0(VALU_DEP_2) | instskip(NEXT) | instid1(VALU_DEP_2)
	v_sub_nc_u32_e32 v10, v10, v42
	v_mul_lo_u32 v9, v9, s58
	s_delay_alu instid0(VALU_DEP_2) | instskip(NEXT) | instid1(VALU_DEP_1)
	v_mul_lo_u32 v10, v10, s59
	v_add3_u32 v2, v9, v2, v10
	s_cbranch_scc0 .LBB15_75
; %bb.76:                               ;   in Loop: Header=BB15_9 Depth=1
	s_mov_b32 s24, s36
	s_and_not1_b32 vcc_lo, exec_lo, s38
	s_cbranch_vccz .LBB15_79
	s_branch .LBB15_81
.LBB15_77:                              ;   in Loop: Header=BB15_9 Depth=1
                                        ; implicit-def: $vgpr2
	s_branch .LBB15_82
.LBB15_78:                              ;   in Loop: Header=BB15_9 Depth=1
	v_mov_b32_e32 v0, v3
	s_and_not1_b32 vcc_lo, exec_lo, s38
	s_cbranch_vccnz .LBB15_81
.LBB15_79:                              ;   in Loop: Header=BB15_9 Depth=1
	s_lshl_b32 s25, s24, 2
	s_mul_i32 s26, s24, 12
	s_add_u32 s24, s0, s25
	s_addc_u32 s25, s1, 0
	s_add_u32 s26, s18, s26
	s_addc_u32 s27, s19, 0
	s_mov_b32 s40, s34
	.p2align	6
.LBB15_80:                              ;   Parent Loop BB15_9 Depth=1
                                        ; =>  This Inner Loop Header: Depth=2
	s_clause 0x1
	s_load_b64 s[42:43], s[26:27], 0x4
	s_load_b32 s41, s[26:27], 0xc
	s_add_u32 s26, s26, 12
	s_addc_u32 s27, s27, 0
	s_waitcnt lgkmcnt(0)
	v_mul_hi_u32 v4, s43, v0
	s_load_b32 s43, s[24:25], 0x0
	s_add_u32 s24, s24, 4
	s_addc_u32 s25, s25, 0
	s_add_i32 s40, s40, -1
	s_delay_alu instid0(SALU_CYCLE_1) | instskip(NEXT) | instid1(VALU_DEP_1)
	s_cmp_lg_u32 s40, 0
	v_add_nc_u32_e32 v4, v0, v4
	s_delay_alu instid0(VALU_DEP_1) | instskip(NEXT) | instid1(VALU_DEP_1)
	v_lshrrev_b32_e32 v4, s41, v4
	v_mul_lo_u32 v9, v4, s42
	s_delay_alu instid0(VALU_DEP_1) | instskip(SKIP_1) | instid1(VALU_DEP_1)
	v_sub_nc_u32_e32 v0, v0, v9
	s_waitcnt lgkmcnt(0)
	v_mad_u64_u32 v[9:10], null, v0, s43, v[2:3]
	v_mov_b32_e32 v0, v4
	s_delay_alu instid0(VALU_DEP_2)
	v_mov_b32_e32 v2, v9
	s_cbranch_scc1 .LBB15_80
.LBB15_81:                              ;   in Loop: Header=BB15_9 Depth=1
	s_cbranch_execnz .LBB15_84
.LBB15_82:                              ;   in Loop: Header=BB15_9 Depth=1
	v_mul_hi_u32 v0, v3, s6
	s_and_not1_b32 vcc_lo, exec_lo, s4
	s_delay_alu instid0(VALU_DEP_1) | instskip(NEXT) | instid1(VALU_DEP_1)
	v_add_nc_u32_e32 v0, v0, v3
	v_lshrrev_b32_e32 v0, s7, v0
	s_delay_alu instid0(VALU_DEP_1) | instskip(NEXT) | instid1(VALU_DEP_1)
	v_mul_lo_u32 v2, v0, s5
	v_sub_nc_u32_e32 v2, v3, v2
	s_delay_alu instid0(VALU_DEP_1)
	v_mul_lo_u32 v2, v2, s22
	s_cbranch_vccnz .LBB15_84
; %bb.83:                               ;   in Loop: Header=BB15_9 Depth=1
	v_mul_hi_u32 v3, s9, v0
	s_delay_alu instid0(VALU_DEP_1) | instskip(NEXT) | instid1(VALU_DEP_1)
	v_add_nc_u32_e32 v3, v0, v3
	v_lshrrev_b32_e32 v3, s10, v3
	s_delay_alu instid0(VALU_DEP_1) | instskip(NEXT) | instid1(VALU_DEP_1)
	v_mul_lo_u32 v3, v3, s8
	v_sub_nc_u32_e32 v0, v0, v3
	s_delay_alu instid0(VALU_DEP_1) | instskip(NEXT) | instid1(VALU_DEP_1)
	v_mad_u64_u32 v[3:4], null, v0, s23, v[2:3]
	v_mov_b32_e32 v2, v3
.LBB15_84:                              ;   in Loop: Header=BB15_9 Depth=1
	v_mov_b32_e32 v0, v5
	s_mov_b32 s24, exec_lo
	s_delay_alu instid0(VALU_DEP_1)
	v_cmpx_le_u64_e64 s[14:15], v[0:1]
	s_cbranch_execz .LBB15_7
; %bb.85:                               ;   in Loop: Header=BB15_9 Depth=1
	v_cvt_f32_u32_e32 v3, s14
	s_sub_i32 s25, 0, s14
	s_delay_alu instid0(VALU_DEP_1) | instskip(SKIP_2) | instid1(VALU_DEP_1)
	v_rcp_iflag_f32_e32 v3, v3
	s_waitcnt_depctr 0xfff
	v_mul_f32_e32 v3, 0x4f7ffffe, v3
	v_cvt_u32_f32_e32 v3, v3
	s_delay_alu instid0(VALU_DEP_1) | instskip(NEXT) | instid1(VALU_DEP_1)
	v_mul_lo_u32 v4, s25, v3
	v_mul_hi_u32 v4, v3, v4
	s_delay_alu instid0(VALU_DEP_1) | instskip(NEXT) | instid1(VALU_DEP_1)
	v_add_nc_u32_e32 v3, v3, v4
	v_mul_hi_u32 v3, v0, v3
	s_delay_alu instid0(VALU_DEP_1) | instskip(NEXT) | instid1(VALU_DEP_1)
	v_mul_lo_u32 v3, v3, s14
	v_sub_nc_u32_e32 v0, v0, v3
	s_delay_alu instid0(VALU_DEP_1) | instskip(SKIP_1) | instid1(VALU_DEP_2)
	v_subrev_nc_u32_e32 v3, s14, v0
	v_cmp_le_u32_e32 vcc_lo, s14, v0
	v_cndmask_b32_e32 v0, v0, v3, vcc_lo
	s_delay_alu instid0(VALU_DEP_1) | instskip(SKIP_1) | instid1(VALU_DEP_2)
	v_subrev_nc_u32_e32 v3, s14, v0
	v_cmp_le_u32_e32 vcc_lo, s14, v0
	v_cndmask_b32_e32 v0, v0, v3, vcc_lo
	s_branch .LBB15_7
.LBB15_86:
	s_endpgm
.LBB15_87:
                                        ; implicit-def: $sgpr2_sgpr3
	s_branch .LBB15_4
	.section	.rodata,"a",@progbits
	.p2align	6, 0x0
	.amdhsa_kernel _ZN2at6native12_GLOBAL__N_143distribution_elementwise_grid_stride_kernelIjLi4EZZZNS0_9templates4cuda21random_from_to_kernelIPNS_17CUDAGeneratorImplEEEvRNS_18TensorIteratorBaseEmlT_ENKUlvE_clEvENKUlvE2_clEvEUlP25hiprandStatePhilox4_32_10E0_ZNS1_27distribution_nullary_kernelIlj15HIP_vector_typeIjLj4EES7_SF_ZZZNS5_IS7_EEvS9_mlSA_ENKSB_clEvENKSC_clEvEUljE_EEvS9_T2_RKT3_T4_EUlijE0_EEvlNS_15PhiloxCudaStateET1_SK_
		.amdhsa_group_segment_fixed_size 0
		.amdhsa_private_segment_fixed_size 0
		.amdhsa_kernarg_size 592
		.amdhsa_user_sgpr_count 15
		.amdhsa_user_sgpr_dispatch_ptr 0
		.amdhsa_user_sgpr_queue_ptr 0
		.amdhsa_user_sgpr_kernarg_segment_ptr 1
		.amdhsa_user_sgpr_dispatch_id 0
		.amdhsa_user_sgpr_private_segment_size 0
		.amdhsa_wavefront_size32 1
		.amdhsa_uses_dynamic_stack 0
		.amdhsa_enable_private_segment 0
		.amdhsa_system_sgpr_workgroup_id_x 1
		.amdhsa_system_sgpr_workgroup_id_y 0
		.amdhsa_system_sgpr_workgroup_id_z 0
		.amdhsa_system_sgpr_workgroup_info 0
		.amdhsa_system_vgpr_workitem_id 0
		.amdhsa_next_free_vgpr 45
		.amdhsa_next_free_sgpr 60
		.amdhsa_reserve_vcc 1
		.amdhsa_float_round_mode_32 0
		.amdhsa_float_round_mode_16_64 0
		.amdhsa_float_denorm_mode_32 3
		.amdhsa_float_denorm_mode_16_64 3
		.amdhsa_dx10_clamp 1
		.amdhsa_ieee_mode 1
		.amdhsa_fp16_overflow 0
		.amdhsa_workgroup_processor_mode 1
		.amdhsa_memory_ordered 1
		.amdhsa_forward_progress 0
		.amdhsa_shared_vgpr_count 0
		.amdhsa_exception_fp_ieee_invalid_op 0
		.amdhsa_exception_fp_denorm_src 0
		.amdhsa_exception_fp_ieee_div_zero 0
		.amdhsa_exception_fp_ieee_overflow 0
		.amdhsa_exception_fp_ieee_underflow 0
		.amdhsa_exception_fp_ieee_inexact 0
		.amdhsa_exception_int_div_zero 0
	.end_amdhsa_kernel
	.section	.text._ZN2at6native12_GLOBAL__N_143distribution_elementwise_grid_stride_kernelIjLi4EZZZNS0_9templates4cuda21random_from_to_kernelIPNS_17CUDAGeneratorImplEEEvRNS_18TensorIteratorBaseEmlT_ENKUlvE_clEvENKUlvE2_clEvEUlP25hiprandStatePhilox4_32_10E0_ZNS1_27distribution_nullary_kernelIlj15HIP_vector_typeIjLj4EES7_SF_ZZZNS5_IS7_EEvS9_mlSA_ENKSB_clEvENKSC_clEvEUljE_EEvS9_T2_RKT3_T4_EUlijE0_EEvlNS_15PhiloxCudaStateET1_SK_,"axG",@progbits,_ZN2at6native12_GLOBAL__N_143distribution_elementwise_grid_stride_kernelIjLi4EZZZNS0_9templates4cuda21random_from_to_kernelIPNS_17CUDAGeneratorImplEEEvRNS_18TensorIteratorBaseEmlT_ENKUlvE_clEvENKUlvE2_clEvEUlP25hiprandStatePhilox4_32_10E0_ZNS1_27distribution_nullary_kernelIlj15HIP_vector_typeIjLj4EES7_SF_ZZZNS5_IS7_EEvS9_mlSA_ENKSB_clEvENKSC_clEvEUljE_EEvS9_T2_RKT3_T4_EUlijE0_EEvlNS_15PhiloxCudaStateET1_SK_,comdat
.Lfunc_end15:
	.size	_ZN2at6native12_GLOBAL__N_143distribution_elementwise_grid_stride_kernelIjLi4EZZZNS0_9templates4cuda21random_from_to_kernelIPNS_17CUDAGeneratorImplEEEvRNS_18TensorIteratorBaseEmlT_ENKUlvE_clEvENKUlvE2_clEvEUlP25hiprandStatePhilox4_32_10E0_ZNS1_27distribution_nullary_kernelIlj15HIP_vector_typeIjLj4EES7_SF_ZZZNS5_IS7_EEvS9_mlSA_ENKSB_clEvENKSC_clEvEUljE_EEvS9_T2_RKT3_T4_EUlijE0_EEvlNS_15PhiloxCudaStateET1_SK_, .Lfunc_end15-_ZN2at6native12_GLOBAL__N_143distribution_elementwise_grid_stride_kernelIjLi4EZZZNS0_9templates4cuda21random_from_to_kernelIPNS_17CUDAGeneratorImplEEEvRNS_18TensorIteratorBaseEmlT_ENKUlvE_clEvENKUlvE2_clEvEUlP25hiprandStatePhilox4_32_10E0_ZNS1_27distribution_nullary_kernelIlj15HIP_vector_typeIjLj4EES7_SF_ZZZNS5_IS7_EEvS9_mlSA_ENKSB_clEvENKSC_clEvEUljE_EEvS9_T2_RKT3_T4_EUlijE0_EEvlNS_15PhiloxCudaStateET1_SK_
                                        ; -- End function
	.section	.AMDGPU.csdata,"",@progbits
; Kernel info:
; codeLenInByte = 5780
; NumSgprs: 62
; NumVgprs: 45
; ScratchSize: 0
; MemoryBound: 0
; FloatMode: 240
; IeeeMode: 1
; LDSByteSize: 0 bytes/workgroup (compile time only)
; SGPRBlocks: 7
; VGPRBlocks: 5
; NumSGPRsForWavesPerEU: 62
; NumVGPRsForWavesPerEU: 45
; Occupancy: 16
; WaveLimiterHint : 1
; COMPUTE_PGM_RSRC2:SCRATCH_EN: 0
; COMPUTE_PGM_RSRC2:USER_SGPR: 15
; COMPUTE_PGM_RSRC2:TRAP_HANDLER: 0
; COMPUTE_PGM_RSRC2:TGID_X_EN: 1
; COMPUTE_PGM_RSRC2:TGID_Y_EN: 0
; COMPUTE_PGM_RSRC2:TGID_Z_EN: 0
; COMPUTE_PGM_RSRC2:TIDIG_COMP_CNT: 0
	.section	.text._ZN2at6native12_GLOBAL__N_143distribution_elementwise_grid_stride_kernelImLi2EZZZNS0_9templates4cuda21random_from_to_kernelIPNS_17CUDAGeneratorImplEEEvRNS_18TensorIteratorBaseEmlT_ENKUlvE_clEvENKUlvE3_clEvEUlP25hiprandStatePhilox4_32_10E_ZNS1_27distribution_nullary_kernelIsm15HIP_vector_typeIyLj2EES7_SF_ZZZNS5_IS7_EEvS9_mlSA_ENKSB_clEvENKSC_clEvEUlmE_EEvS9_T2_RKT3_T4_EUlimE_EEvlNS_15PhiloxCudaStateET1_SK_,"axG",@progbits,_ZN2at6native12_GLOBAL__N_143distribution_elementwise_grid_stride_kernelImLi2EZZZNS0_9templates4cuda21random_from_to_kernelIPNS_17CUDAGeneratorImplEEEvRNS_18TensorIteratorBaseEmlT_ENKUlvE_clEvENKUlvE3_clEvEUlP25hiprandStatePhilox4_32_10E_ZNS1_27distribution_nullary_kernelIsm15HIP_vector_typeIyLj2EES7_SF_ZZZNS5_IS7_EEvS9_mlSA_ENKSB_clEvENKSC_clEvEUlmE_EEvS9_T2_RKT3_T4_EUlimE_EEvlNS_15PhiloxCudaStateET1_SK_,comdat
	.globl	_ZN2at6native12_GLOBAL__N_143distribution_elementwise_grid_stride_kernelImLi2EZZZNS0_9templates4cuda21random_from_to_kernelIPNS_17CUDAGeneratorImplEEEvRNS_18TensorIteratorBaseEmlT_ENKUlvE_clEvENKUlvE3_clEvEUlP25hiprandStatePhilox4_32_10E_ZNS1_27distribution_nullary_kernelIsm15HIP_vector_typeIyLj2EES7_SF_ZZZNS5_IS7_EEvS9_mlSA_ENKSB_clEvENKSC_clEvEUlmE_EEvS9_T2_RKT3_T4_EUlimE_EEvlNS_15PhiloxCudaStateET1_SK_ ; -- Begin function _ZN2at6native12_GLOBAL__N_143distribution_elementwise_grid_stride_kernelImLi2EZZZNS0_9templates4cuda21random_from_to_kernelIPNS_17CUDAGeneratorImplEEEvRNS_18TensorIteratorBaseEmlT_ENKUlvE_clEvENKUlvE3_clEvEUlP25hiprandStatePhilox4_32_10E_ZNS1_27distribution_nullary_kernelIsm15HIP_vector_typeIyLj2EES7_SF_ZZZNS5_IS7_EEvS9_mlSA_ENKSB_clEvENKSC_clEvEUlmE_EEvS9_T2_RKT3_T4_EUlimE_EEvlNS_15PhiloxCudaStateET1_SK_
	.p2align	8
	.type	_ZN2at6native12_GLOBAL__N_143distribution_elementwise_grid_stride_kernelImLi2EZZZNS0_9templates4cuda21random_from_to_kernelIPNS_17CUDAGeneratorImplEEEvRNS_18TensorIteratorBaseEmlT_ENKUlvE_clEvENKUlvE3_clEvEUlP25hiprandStatePhilox4_32_10E_ZNS1_27distribution_nullary_kernelIsm15HIP_vector_typeIyLj2EES7_SF_ZZZNS5_IS7_EEvS9_mlSA_ENKSB_clEvENKSC_clEvEUlmE_EEvS9_T2_RKT3_T4_EUlimE_EEvlNS_15PhiloxCudaStateET1_SK_,@function
_ZN2at6native12_GLOBAL__N_143distribution_elementwise_grid_stride_kernelImLi2EZZZNS0_9templates4cuda21random_from_to_kernelIPNS_17CUDAGeneratorImplEEEvRNS_18TensorIteratorBaseEmlT_ENKUlvE_clEvENKUlvE3_clEvEUlP25hiprandStatePhilox4_32_10E_ZNS1_27distribution_nullary_kernelIsm15HIP_vector_typeIyLj2EES7_SF_ZZZNS5_IS7_EEvS9_mlSA_ENKSB_clEvENKSC_clEvEUlmE_EEvS9_T2_RKT3_T4_EUlimE_EEvlNS_15PhiloxCudaStateET1_SK_: ; @_ZN2at6native12_GLOBAL__N_143distribution_elementwise_grid_stride_kernelImLi2EZZZNS0_9templates4cuda21random_from_to_kernelIPNS_17CUDAGeneratorImplEEEvRNS_18TensorIteratorBaseEmlT_ENKUlvE_clEvENKUlvE3_clEvEUlP25hiprandStatePhilox4_32_10E_ZNS1_27distribution_nullary_kernelIsm15HIP_vector_typeIyLj2EES7_SF_ZZZNS5_IS7_EEvS9_mlSA_ENKSB_clEvENKSC_clEvEUlmE_EEvS9_T2_RKT3_T4_EUlimE_EEvlNS_15PhiloxCudaStateET1_SK_
; %bb.0:
	s_clause 0x2
	s_load_b64 s[8:9], s[0:1], 0x10
	s_load_b128 s[4:7], s[0:1], 0x0
	s_load_b32 s2, s[0:1], 0x20
	s_waitcnt lgkmcnt(0)
	v_dual_mov_b32 v2, s8 :: v_dual_mov_b32 v3, s9
	v_dual_mov_b32 v12, s7 :: v_dual_mov_b32 v11, s6
	s_bitcmp0_b32 s2, 0
	s_mov_b32 s2, 0
	s_cbranch_scc1 .LBB16_2
; %bb.1:
	v_dual_mov_b32 v1, s8 :: v_dual_mov_b32 v2, s9
	v_dual_mov_b32 v4, s6 :: v_dual_mov_b32 v5, s7
	s_load_b64 s[6:7], s[0:1], 0x18
	flat_load_b64 v[2:3], v[1:2]
	flat_load_b64 v[11:12], v[4:5]
	s_waitcnt vmcnt(1) lgkmcnt(0)
	v_add_co_u32 v2, vcc_lo, v2, s6
	v_add_co_ci_u32_e32 v3, vcc_lo, s7, v3, vcc_lo
.LBB16_2:
	s_clause 0x1
	s_load_b32 s3, s[0:1], 0x5c
	s_load_b32 s16, s[0:1], 0x50
	s_waitcnt lgkmcnt(0)
	s_and_b32 s14, s3, 0xffff
	s_add_u32 s6, s4, -1
	s_mul_i32 s12, s16, s14
	s_addc_u32 s3, s5, -1
	s_lshl_b32 s13, s12, 1
	s_cmp_lg_u64 s[2:3], 0
	s_cbranch_scc0 .LBB16_31
; %bb.3:
	v_cvt_f32_ubyte0_e32 v1, 0
	v_cvt_f32_u32_e32 v4, s13
	s_sub_u32 s8, 0, s13
	s_subb_u32 s9, 0, 0
	s_delay_alu instid0(VALU_DEP_1) | instskip(NEXT) | instid1(VALU_DEP_1)
	v_fmamk_f32 v1, v1, 0x4f800000, v4
	v_rcp_f32_e32 v1, v1
	s_waitcnt_depctr 0xfff
	v_mul_f32_e32 v1, 0x5f7ffffc, v1
	s_delay_alu instid0(VALU_DEP_1) | instskip(NEXT) | instid1(VALU_DEP_1)
	v_mul_f32_e32 v4, 0x2f800000, v1
	v_trunc_f32_e32 v4, v4
	s_delay_alu instid0(VALU_DEP_1) | instskip(SKIP_1) | instid1(VALU_DEP_2)
	v_fmamk_f32 v1, v4, 0xcf800000, v1
	v_cvt_u32_f32_e32 v4, v4
	v_cvt_u32_f32_e32 v1, v1
	s_delay_alu instid0(VALU_DEP_2) | instskip(NEXT) | instid1(VALU_DEP_2)
	v_readfirstlane_b32 s2, v4
	v_readfirstlane_b32 s7, v1
	s_delay_alu instid0(VALU_DEP_2) | instskip(NEXT) | instid1(VALU_DEP_1)
	s_mul_i32 s10, s8, s2
	s_mul_hi_u32 s17, s8, s7
	s_mul_i32 s11, s9, s7
	s_add_i32 s10, s17, s10
	s_mul_i32 s18, s8, s7
	s_add_i32 s10, s10, s11
	s_mul_hi_u32 s17, s7, s18
	s_mul_hi_u32 s19, s2, s18
	s_mul_i32 s11, s2, s18
	s_mul_hi_u32 s18, s7, s10
	s_mul_i32 s7, s7, s10
	s_mul_hi_u32 s20, s2, s10
	s_add_u32 s7, s17, s7
	s_addc_u32 s17, 0, s18
	s_add_u32 s7, s7, s11
	s_mul_i32 s10, s2, s10
	s_addc_u32 s7, s17, s19
	s_addc_u32 s11, s20, 0
	s_add_u32 s7, s7, s10
	s_addc_u32 s10, 0, s11
	v_add_co_u32 v1, s7, v1, s7
	s_delay_alu instid0(VALU_DEP_1) | instskip(SKIP_1) | instid1(VALU_DEP_1)
	s_cmp_lg_u32 s7, 0
	s_addc_u32 s2, s2, s10
	v_readfirstlane_b32 s7, v1
	s_mul_i32 s10, s8, s2
	s_delay_alu instid0(VALU_DEP_1)
	s_mul_hi_u32 s11, s8, s7
	s_mul_i32 s9, s9, s7
	s_add_i32 s10, s11, s10
	s_mul_i32 s8, s8, s7
	s_add_i32 s10, s10, s9
	s_mul_hi_u32 s11, s2, s8
	s_mul_i32 s17, s2, s8
	s_mul_hi_u32 s8, s7, s8
	s_mul_hi_u32 s18, s7, s10
	s_mul_i32 s7, s7, s10
	s_mul_hi_u32 s9, s2, s10
	s_add_u32 s7, s8, s7
	s_addc_u32 s8, 0, s18
	s_add_u32 s7, s7, s17
	s_mul_i32 s10, s2, s10
	s_addc_u32 s7, s8, s11
	s_addc_u32 s8, s9, 0
	s_add_u32 s7, s7, s10
	s_addc_u32 s8, 0, s8
	v_add_co_u32 v1, s7, v1, s7
	s_delay_alu instid0(VALU_DEP_1) | instskip(SKIP_2) | instid1(VALU_DEP_1)
	s_cmp_lg_u32 s7, 0
	s_addc_u32 s7, s2, s8
	s_ashr_i32 s8, s3, 31
	v_readfirstlane_b32 s10, v1
	s_add_u32 s2, s6, s8
	s_mov_b32 s9, s8
	s_addc_u32 s3, s3, s8
	s_delay_alu instid0(SALU_CYCLE_1) | instskip(NEXT) | instid1(SALU_CYCLE_1)
	s_xor_b64 s[2:3], s[2:3], s[8:9]
	s_mul_i32 s17, s2, s7
	s_mul_hi_u32 s18, s2, s10
	s_mul_hi_u32 s11, s2, s7
	;; [unrolled: 1-line block ×3, first 2 shown]
	s_mul_i32 s10, s3, s10
	s_add_u32 s17, s18, s17
	s_addc_u32 s11, 0, s11
	s_mul_hi_u32 s19, s3, s7
	s_add_u32 s10, s17, s10
	s_mul_i32 s7, s3, s7
	s_addc_u32 s10, s11, s20
	s_addc_u32 s11, s19, 0
	s_add_u32 s7, s10, s7
	s_addc_u32 s10, 0, s11
	s_mul_i32 s17, s13, s7
	s_add_u32 s11, s7, 1
	v_sub_co_u32 v1, s2, s2, s17
	s_mul_hi_u32 s17, s13, s7
	s_addc_u32 s18, s10, 0
	s_mul_i32 s19, s13, s10
	s_delay_alu instid0(VALU_DEP_1)
	v_sub_co_u32 v4, s20, v1, s13
	s_add_u32 s21, s7, 2
	s_addc_u32 s22, s10, 0
	s_add_i32 s17, s17, s19
	s_cmp_lg_u32 s2, 0
	v_readfirstlane_b32 s2, v4
	s_subb_u32 s3, s3, s17
	s_cmp_lg_u32 s20, 0
	s_subb_u32 s17, s3, 0
	s_delay_alu instid0(VALU_DEP_1) | instskip(SKIP_4) | instid1(SALU_CYCLE_1)
	s_cmp_ge_u32 s2, s13
	s_cselect_b32 s2, -1, 0
	s_cmp_eq_u32 s17, 0
	v_readfirstlane_b32 s17, v1
	s_cselect_b32 s2, s2, -1
	s_cmp_lg_u32 s2, 0
	s_cselect_b32 s2, s21, s11
	s_cselect_b32 s11, s22, s18
	s_cmp_ge_u32 s17, s13
	s_cselect_b32 s17, -1, 0
	s_cmp_eq_u32 s3, 0
	s_cselect_b32 s3, s17, -1
	s_delay_alu instid0(SALU_CYCLE_1) | instskip(SKIP_2) | instid1(SALU_CYCLE_1)
	s_cmp_lg_u32 s3, 0
	s_cselect_b32 s3, s11, s10
	s_cselect_b32 s2, s2, s7
	s_xor_b64 s[2:3], s[2:3], s[8:9]
	s_delay_alu instid0(SALU_CYCLE_1)
	s_sub_u32 s2, s2, s8
	s_subb_u32 s3, s3, s8
	s_cbranch_execnz .LBB16_5
.LBB16_4:
	v_cvt_f32_u32_e32 v1, s13
	s_sub_i32 s3, 0, s13
	s_delay_alu instid0(VALU_DEP_1) | instskip(SKIP_2) | instid1(VALU_DEP_1)
	v_rcp_iflag_f32_e32 v1, v1
	s_waitcnt_depctr 0xfff
	v_mul_f32_e32 v1, 0x4f7ffffe, v1
	v_cvt_u32_f32_e32 v1, v1
	s_delay_alu instid0(VALU_DEP_1) | instskip(NEXT) | instid1(VALU_DEP_1)
	v_readfirstlane_b32 s2, v1
	s_mul_i32 s3, s3, s2
	s_delay_alu instid0(SALU_CYCLE_1) | instskip(NEXT) | instid1(SALU_CYCLE_1)
	s_mul_hi_u32 s3, s2, s3
	s_add_i32 s2, s2, s3
	s_delay_alu instid0(SALU_CYCLE_1) | instskip(NEXT) | instid1(SALU_CYCLE_1)
	s_mul_hi_u32 s2, s6, s2
	s_mul_i32 s3, s2, s13
	s_delay_alu instid0(SALU_CYCLE_1)
	s_sub_i32 s3, s6, s3
	s_add_i32 s6, s2, 1
	s_sub_i32 s7, s3, s13
	s_cmp_ge_u32 s3, s13
	s_cselect_b32 s2, s6, s2
	s_cselect_b32 s3, s7, s3
	s_add_i32 s6, s2, 1
	s_cmp_ge_u32 s3, s13
	s_mov_b32 s3, 0
	s_cselect_b32 s2, s6, s2
.LBB16_5:
	v_mov_b32_e32 v13, 0
	s_add_u32 s2, s2, 1
	s_addc_u32 s3, s3, 0
	s_mul_hi_u32 s6, s16, s14
	s_mul_hi_u32 s7, s12, s2
	v_mov_b32_e32 v1, v13
	s_mul_i32 s3, s12, s3
	s_mul_i32 s6, s6, s2
	s_add_i32 s3, s7, s3
	s_mul_i32 s2, s12, s2
	v_mad_u64_u32 v[15:16], null, s14, s15, v[0:1]
	s_add_i32 s3, s3, s6
	s_mov_b32 s6, exec_lo
	s_lshl_b64 s[2:3], s[2:3], 1
	s_delay_alu instid0(VALU_DEP_1) | instid1(SALU_CYCLE_1)
	v_cmpx_gt_i64_e64 s[2:3], v[15:16]
	s_cbranch_execz .LBB16_30
; %bb.6:
	v_alignbit_b32 v19, v3, v2, 2
	v_mad_u64_u32 v[6:7], null, 0xcd9e8d57, v15, 0
	v_lshrrev_b32_e32 v20, 2, v3
	s_waitcnt vmcnt(0)
	v_dual_mov_b32 v14, v12 :: v_dual_and_b32 v35, 3, v2
	v_mad_u64_u32 v[4:5], null, 0xd2511f53, v19, 0
	v_add_co_u32 v22, null, 0x9e3779b9, v11
	v_xor3_b32 v3, v11, v7, v20
	s_delay_alu instid0(VALU_DEP_4) | instskip(SKIP_2) | instid1(VALU_DEP_4)
	v_add_co_u32 v21, null, 0xbb67ae85, v14
	v_add_co_u32 v23, null, 0x3c6ef372, v11
	v_xor_b32_e32 v1, v5, v12
	v_mad_u64_u32 v[7:8], null, 0xd2511f53, v3, 0
	v_add_co_u32 v24, null, 0x76cf5d0a, v14
	s_delay_alu instid0(VALU_DEP_3) | instskip(SKIP_2) | instid1(VALU_DEP_3)
	v_xor_b32_e32 v1, v1, v16
	v_add_co_u32 v25, null, 0x32370b8f, v14
	v_add_co_u32 v26, null, 0xdaa66d2b, v11
	v_mad_u64_u32 v[9:10], null, 0xcd9e8d57, v1, 0
	v_xor3_b32 v1, v21, v8, v4
	v_add_co_u32 v27, null, 0x78dde6e4, v11
	v_add_co_u32 v28, null, 0xed9eba14, v14
	s_delay_alu instid0(VALU_DEP_3) | instskip(SKIP_3) | instid1(VALU_DEP_3)
	v_mad_u64_u32 v[3:4], null, 0xcd9e8d57, v1, 0
	v_xor3_b32 v8, v22, v10, v6
	v_add_co_u32 v29, null, 0xa9066899, v14
	v_add_co_u32 v30, null, 0x1715609d, v11
	v_mad_u64_u32 v[5:6], null, 0xd2511f53, v8, 0
	v_xor3_b32 v1, v23, v4, v9
	v_add_co_u32 v31, null, 0xb54cda56, v11
	v_add_co_u32 v32, null, 0x646e171e, v14
	;; [unrolled: 1-line block ×3, first 2 shown]
	v_xor3_b32 v4, v24, v6, v7
	v_mad_u64_u32 v[6:7], null, 0xd2511f53, v1, 0
	v_add_co_u32 v34, null, 0x5384540f, v11
	s_delay_alu instid0(VALU_DEP_3)
	v_mad_u64_u32 v[8:9], null, 0xcd9e8d57, v4, 0
	s_clause 0x2
	s_load_b64 s[6:7], s[0:1], 0x30
	s_load_b32 s17, s[0:1], 0x38
	s_load_b128 s[8:11], s[0:1], 0x40
	v_add_co_u32 v37, null, 0xf1bbcdc8, v11
	v_xor3_b32 v1, v25, v7, v5
	v_add_co_u32 v38, null, 0xdb3d7428, v14
	v_xor3_b32 v5, v26, v9, v3
	v_dual_mov_b32 v40, v15 :: v_dual_add_nc_u32 v39, 0x96a522ad, v12
	s_delay_alu instid0(VALU_DEP_4) | instskip(NEXT) | instid1(VALU_DEP_3)
	v_mad_u64_u32 v[3:4], null, 0xcd9e8d57, v1, 0
	v_mad_u64_u32 v[9:10], null, 0xd2511f53, v5, 0
	v_mov_b32_e32 v43, v16
	s_mov_b32 s1, 0
	s_delay_alu instid0(VALU_DEP_3) | instskip(NEXT) | instid1(VALU_DEP_3)
	v_xor3_b32 v1, v27, v4, v8
	v_xor3_b32 v8, v28, v10, v6
	s_waitcnt lgkmcnt(0)
	s_mul_i32 s0, s16, s17
	s_delay_alu instid0(VALU_DEP_2) | instskip(NEXT) | instid1(VALU_DEP_2)
	v_mad_u64_u32 v[4:5], null, 0xd2511f53, v1, 0
	v_mad_u64_u32 v[6:7], null, 0xcd9e8d57, v8, 0
	s_mul_i32 s0, s0, s14
	s_delay_alu instid0(SALU_CYCLE_1) | instskip(NEXT) | instid1(VALU_DEP_2)
	s_lshl_b32 s11, s0, 1
	v_xor3_b32 v1, v29, v5, v9
	s_delay_alu instid0(VALU_DEP_2) | instskip(NEXT) | instid1(VALU_DEP_2)
	v_xor3_b32 v3, v30, v7, v3
	v_mad_u64_u32 v[7:8], null, 0xcd9e8d57, v1, 0
	s_delay_alu instid0(VALU_DEP_2) | instskip(NEXT) | instid1(VALU_DEP_2)
	v_mad_u64_u32 v[9:10], null, 0xd2511f53, v3, 0
	v_xor3_b32 v1, v31, v8, v6
	s_delay_alu instid0(VALU_DEP_2) | instskip(NEXT) | instid1(VALU_DEP_2)
	v_xor3_b32 v8, v32, v10, v4
	v_mad_u64_u32 v[3:4], null, 0xd2511f53, v1, 0
	s_delay_alu instid0(VALU_DEP_2) | instskip(NEXT) | instid1(VALU_DEP_2)
	v_mad_u64_u32 v[5:6], null, 0xcd9e8d57, v8, 0
	v_xor3_b32 v1, v33, v4, v9
	s_delay_alu instid0(VALU_DEP_2) | instskip(NEXT) | instid1(VALU_DEP_2)
	v_xor3_b32 v2, v34, v6, v7
	v_mad_u64_u32 v[6:7], null, 0xcd9e8d57, v1, 0
	s_delay_alu instid0(VALU_DEP_2) | instskip(SKIP_2) | instid1(VALU_DEP_3)
	v_mad_u64_u32 v[8:9], null, 0xd2511f53, v2, 0
	v_mad_u64_u32 v[17:18], null, s15, s14, v[0:1]
	s_add_i32 s15, s15, s16
	v_xor3_b32 v1, v37, v7, v5
	s_delay_alu instid0(VALU_DEP_3) | instskip(NEXT) | instid1(VALU_DEP_3)
	v_xor3_b32 v7, v38, v9, v3
	v_mul_lo_u32 v41, s17, v17
	s_delay_alu instid0(VALU_DEP_3) | instskip(SKIP_1) | instid1(VALU_DEP_4)
	v_mad_u64_u32 v[3:4], null, s15, s14, v[0:1]
	v_mad_u64_u32 v[4:5], null, 0xd2511f53, v1, 0
	;; [unrolled: 1-line block ×3, first 2 shown]
	v_add_nc_u32_e32 v36, 0x8ff34781, v11
	s_mov_b32 s14, 0
	s_delay_alu instid0(VALU_DEP_4) | instskip(NEXT) | instid1(VALU_DEP_4)
	v_mul_lo_u32 v42, s17, v3
	v_mov_b32_e32 v3, v4
	s_delay_alu instid0(VALU_DEP_3)
	v_xor3_b32 v0, v2, v6, v36
	v_xor3_b32 v2, v5, v8, v39
	s_branch .LBB16_9
.LBB16_7:                               ;   in Loop: Header=BB16_9 Depth=1
	s_or_b32 exec_lo, exec_lo, s0
	v_add_nc_u32_e32 v0, s14, v42
	s_delay_alu instid0(VALU_DEP_2) | instskip(NEXT) | instid1(VALU_DEP_2)
	v_add_nc_u32_e32 v2, s10, v7
	v_ashrrev_i32_e32 v1, 31, v0
	v_add_co_u32 v0, vcc_lo, s6, v0
	s_delay_alu instid0(VALU_DEP_2)
	v_add_co_ci_u32_e32 v1, vcc_lo, s7, v1, vcc_lo
	global_store_b16 v[0:1], v2, off
.LBB16_8:                               ;   in Loop: Header=BB16_9 Depth=1
	s_or_b32 exec_lo, exec_lo, s15
	v_add_co_u32 v15, vcc_lo, v15, s13
	v_add_co_ci_u32_e32 v16, vcc_lo, 0, v16, vcc_lo
	v_mov_b32_e32 v7, v17
	v_dual_mov_b32 v0, v4 :: v_dual_mov_b32 v1, v5
	s_delay_alu instid0(VALU_DEP_3) | instskip(NEXT) | instid1(VALU_DEP_3)
	v_cmp_le_i64_e32 vcc_lo, s[2:3], v[15:16]
	v_dual_mov_b32 v2, v6 :: v_dual_mov_b32 v3, v7
	s_add_i32 s14, s14, s11
	s_waitcnt_vscnt null, 0x0
	s_barrier
	s_or_b32 s1, vcc_lo, s1
	buffer_gl0_inv
	s_and_not1_b32 exec_lo, exec_lo, s1
	s_cbranch_execz .LBB16_30
.LBB16_9:                               ; =>This Inner Loop Header: Depth=1
	v_add_co_u32 v19, vcc_lo, v19, 1
	s_delay_alu instid0(VALU_DEP_1) | instskip(SKIP_2) | instid1(VALU_DEP_1)
	v_cndmask_b32_e64 v4, 0, 1, vcc_lo
	v_add_co_ci_u32_e32 v20, vcc_lo, 0, v20, vcc_lo
	s_mov_b32 s0, exec_lo
	v_cmp_eq_u32_e32 vcc_lo, 0, v20
	s_delay_alu instid0(VALU_DEP_3) | instskip(NEXT) | instid1(VALU_DEP_1)
	v_cndmask_b32_e32 v4, 0, v4, vcc_lo
	v_add_nc_u32_e32 v40, v4, v40
	s_delay_alu instid0(VALU_DEP_1) | instskip(SKIP_2) | instid1(VALU_DEP_2)
	v_cmp_eq_u32_e32 vcc_lo, 0, v40
	v_mad_u64_u32 v[6:7], null, 0xcd9e8d57, v40, 0
	v_cndmask_b32_e32 v4, 0, v4, vcc_lo
	v_xor3_b32 v9, v7, v11, v20
	s_delay_alu instid0(VALU_DEP_2) | instskip(SKIP_1) | instid1(VALU_DEP_3)
	v_add_nc_u32_e32 v43, v4, v43
	v_mad_u64_u32 v[4:5], null, 0xd2511f53, v19, 0
	v_mad_u64_u32 v[7:8], null, 0xd2511f53, v9, 0
	s_delay_alu instid0(VALU_DEP_2) | instskip(NEXT) | instid1(VALU_DEP_2)
	v_xor_b32_e32 v5, v5, v12
	v_xor3_b32 v8, v21, v8, v4
	s_delay_alu instid0(VALU_DEP_2) | instskip(NEXT) | instid1(VALU_DEP_1)
	v_xor_b32_e32 v5, v43, v5
	v_mad_u64_u32 v[9:10], null, 0xcd9e8d57, v5, 0
	s_delay_alu instid0(VALU_DEP_3) | instskip(NEXT) | instid1(VALU_DEP_2)
	v_mad_u64_u32 v[4:5], null, 0xcd9e8d57, v8, 0
	v_xor3_b32 v6, v22, v10, v6
	s_delay_alu instid0(VALU_DEP_2) | instskip(NEXT) | instid1(VALU_DEP_2)
	v_xor3_b32 v8, v23, v5, v9
	v_mad_u64_u32 v[17:18], null, 0xd2511f53, v6, 0
	s_delay_alu instid0(VALU_DEP_2) | instskip(NEXT) | instid1(VALU_DEP_2)
	v_mad_u64_u32 v[5:6], null, 0xd2511f53, v8, 0
	v_xor3_b32 v9, v24, v18, v7
	s_delay_alu instid0(VALU_DEP_2) | instskip(NEXT) | instid1(VALU_DEP_2)
	v_xor3_b32 v6, v25, v6, v17
	v_mad_u64_u32 v[7:8], null, 0xcd9e8d57, v9, 0
	s_delay_alu instid0(VALU_DEP_1) | instskip(NEXT) | instid1(VALU_DEP_3)
	v_xor3_b32 v4, v26, v8, v4
	v_mad_u64_u32 v[8:9], null, 0xcd9e8d57, v6, 0
	s_delay_alu instid0(VALU_DEP_2) | instskip(NEXT) | instid1(VALU_DEP_2)
	v_mad_u64_u32 v[17:18], null, 0xd2511f53, v4, 0
	v_xor3_b32 v6, v27, v9, v7
	s_delay_alu instid0(VALU_DEP_2) | instskip(NEXT) | instid1(VALU_DEP_2)
	v_xor3_b32 v9, v28, v18, v5
	v_mad_u64_u32 v[4:5], null, 0xd2511f53, v6, 0
	s_delay_alu instid0(VALU_DEP_2) | instskip(NEXT) | instid1(VALU_DEP_2)
	v_mad_u64_u32 v[6:7], null, 0xcd9e8d57, v9, 0
	v_xor3_b32 v5, v29, v5, v17
	s_delay_alu instid0(VALU_DEP_2) | instskip(NEXT) | instid1(VALU_DEP_2)
	;; [unrolled: 6-line block ×6, first 2 shown]
	v_xor3_b32 v4, v6, v7, v36
	v_mov_b32_e32 v6, v10
	v_cmpx_lt_i32_e32 1, v35
	s_xor_b32 s0, exec_lo, s0
	s_cbranch_execnz .LBB16_12
; %bb.10:                               ;   in Loop: Header=BB16_9 Depth=1
	s_and_not1_saveexec_b32 s0, s0
	s_cbranch_execnz .LBB16_17
.LBB16_11:                              ;   in Loop: Header=BB16_9 Depth=1
	s_or_b32 exec_lo, exec_lo, s0
	s_delay_alu instid0(SALU_CYCLE_1)
	s_mov_b32 s15, exec_lo
	v_cmpx_gt_i64_e64 s[4:5], v[15:16]
	s_cbranch_execnz .LBB16_20
	s_branch .LBB16_25
.LBB16_12:                              ;   in Loop: Header=BB16_9 Depth=1
	s_mov_b32 s15, exec_lo
	v_cmpx_lt_i32_e32 2, v35
	s_xor_b32 s15, exec_lo, s15
; %bb.13:                               ;   in Loop: Header=BB16_9 Depth=1
	v_dual_mov_b32 v7, v3 :: v_dual_mov_b32 v8, v4
	v_mov_b32_e32 v9, v5
	s_delay_alu instid0(VALU_DEP_2) | instskip(NEXT) | instid1(VALU_DEP_2)
	v_dual_mov_b32 v0, v7 :: v_dual_mov_b32 v1, v8
	v_dual_mov_b32 v2, v9 :: v_dual_mov_b32 v3, v10
; %bb.14:                               ;   in Loop: Header=BB16_9 Depth=1
	s_and_not1_saveexec_b32 s15, s15
; %bb.15:                               ;   in Loop: Header=BB16_9 Depth=1
	s_delay_alu instid0(VALU_DEP_1)
	v_dual_mov_b32 v0, v2 :: v_dual_mov_b32 v1, v3
	v_dual_mov_b32 v2, v4 :: v_dual_mov_b32 v3, v5
; %bb.16:                               ;   in Loop: Header=BB16_9 Depth=1
	s_or_b32 exec_lo, exec_lo, s15
	s_and_not1_saveexec_b32 s0, s0
	s_cbranch_execz .LBB16_11
.LBB16_17:                              ;   in Loop: Header=BB16_9 Depth=1
	s_mov_b32 s15, exec_lo
	v_cmpx_eq_u32_e32 1, v35
; %bb.18:                               ;   in Loop: Header=BB16_9 Depth=1
	v_dual_mov_b32 v0, v1 :: v_dual_mov_b32 v1, v2
	v_dual_mov_b32 v2, v3 :: v_dual_mov_b32 v3, v4
; %bb.19:                               ;   in Loop: Header=BB16_9 Depth=1
	s_or_b32 exec_lo, exec_lo, s15
	s_delay_alu instid0(SALU_CYCLE_1) | instskip(NEXT) | instid1(SALU_CYCLE_1)
	s_or_b32 exec_lo, exec_lo, s0
	s_mov_b32 s15, exec_lo
	v_cmpx_gt_i64_e64 s[4:5], v[15:16]
	s_cbranch_execz .LBB16_25
.LBB16_20:                              ;   in Loop: Header=BB16_9 Depth=1
	v_or_b32_e32 v14, s9, v0
                                        ; implicit-def: $vgpr7_vgpr8
	s_mov_b32 s0, exec_lo
	s_delay_alu instid0(VALU_DEP_1)
	v_cmpx_ne_u64_e32 0, v[13:14]
	s_xor_b32 s16, exec_lo, s0
	s_cbranch_execz .LBB16_22
; %bb.21:                               ;   in Loop: Header=BB16_9 Depth=1
	v_cvt_f32_u32_e32 v7, s8
	v_cvt_f32_u32_e32 v8, s9
	s_sub_u32 s0, 0, s8
	s_subb_u32 s17, 0, s9
	s_delay_alu instid0(VALU_DEP_1) | instskip(NEXT) | instid1(VALU_DEP_1)
	v_fmac_f32_e32 v7, 0x4f800000, v8
	v_rcp_f32_e32 v7, v7
	s_waitcnt_depctr 0xfff
	v_mul_f32_e32 v7, 0x5f7ffffc, v7
	s_delay_alu instid0(VALU_DEP_1) | instskip(NEXT) | instid1(VALU_DEP_1)
	v_mul_f32_e32 v8, 0x2f800000, v7
	v_trunc_f32_e32 v8, v8
	s_delay_alu instid0(VALU_DEP_1) | instskip(SKIP_1) | instid1(VALU_DEP_2)
	v_fmac_f32_e32 v7, 0xcf800000, v8
	v_cvt_u32_f32_e32 v8, v8
	v_cvt_u32_f32_e32 v7, v7
	s_delay_alu instid0(VALU_DEP_2) | instskip(NEXT) | instid1(VALU_DEP_2)
	v_mul_lo_u32 v9, s0, v8
	v_mul_hi_u32 v10, s0, v7
	v_mul_lo_u32 v14, s17, v7
	s_delay_alu instid0(VALU_DEP_2) | instskip(SKIP_1) | instid1(VALU_DEP_2)
	v_add_nc_u32_e32 v9, v10, v9
	v_mul_lo_u32 v10, s0, v7
	v_add_nc_u32_e32 v9, v9, v14
	s_delay_alu instid0(VALU_DEP_2) | instskip(NEXT) | instid1(VALU_DEP_2)
	v_mul_hi_u32 v14, v7, v10
	v_mul_lo_u32 v18, v7, v9
	v_mul_hi_u32 v44, v7, v9
	v_mul_hi_u32 v45, v8, v10
	v_mul_lo_u32 v10, v8, v10
	v_mul_hi_u32 v46, v8, v9
	v_mul_lo_u32 v9, v8, v9
	v_add_co_u32 v14, vcc_lo, v14, v18
	v_add_co_ci_u32_e32 v18, vcc_lo, 0, v44, vcc_lo
	s_delay_alu instid0(VALU_DEP_2) | instskip(NEXT) | instid1(VALU_DEP_2)
	v_add_co_u32 v10, vcc_lo, v14, v10
	v_add_co_ci_u32_e32 v10, vcc_lo, v18, v45, vcc_lo
	v_add_co_ci_u32_e32 v14, vcc_lo, 0, v46, vcc_lo
	s_delay_alu instid0(VALU_DEP_2) | instskip(NEXT) | instid1(VALU_DEP_2)
	v_add_co_u32 v9, vcc_lo, v10, v9
	v_add_co_ci_u32_e32 v10, vcc_lo, 0, v14, vcc_lo
	s_delay_alu instid0(VALU_DEP_2) | instskip(NEXT) | instid1(VALU_DEP_2)
	v_add_co_u32 v7, vcc_lo, v7, v9
	v_add_co_ci_u32_e32 v8, vcc_lo, v8, v10, vcc_lo
	s_delay_alu instid0(VALU_DEP_2) | instskip(SKIP_1) | instid1(VALU_DEP_3)
	v_mul_hi_u32 v9, s0, v7
	v_mul_lo_u32 v14, s17, v7
	v_mul_lo_u32 v10, s0, v8
	s_delay_alu instid0(VALU_DEP_1) | instskip(SKIP_1) | instid1(VALU_DEP_2)
	v_add_nc_u32_e32 v9, v9, v10
	v_mul_lo_u32 v10, s0, v7
	v_add_nc_u32_e32 v9, v9, v14
	s_delay_alu instid0(VALU_DEP_2) | instskip(NEXT) | instid1(VALU_DEP_2)
	v_mul_hi_u32 v14, v7, v10
	v_mul_lo_u32 v18, v7, v9
	v_mul_hi_u32 v44, v7, v9
	v_mul_hi_u32 v45, v8, v10
	v_mul_lo_u32 v10, v8, v10
	v_mul_hi_u32 v46, v8, v9
	v_mul_lo_u32 v9, v8, v9
	v_add_co_u32 v14, vcc_lo, v14, v18
	v_add_co_ci_u32_e32 v18, vcc_lo, 0, v44, vcc_lo
	s_delay_alu instid0(VALU_DEP_2) | instskip(NEXT) | instid1(VALU_DEP_2)
	v_add_co_u32 v10, vcc_lo, v14, v10
	v_add_co_ci_u32_e32 v10, vcc_lo, v18, v45, vcc_lo
	v_add_co_ci_u32_e32 v14, vcc_lo, 0, v46, vcc_lo
	s_delay_alu instid0(VALU_DEP_2) | instskip(NEXT) | instid1(VALU_DEP_2)
	v_add_co_u32 v9, vcc_lo, v10, v9
	v_add_co_ci_u32_e32 v10, vcc_lo, 0, v14, vcc_lo
	s_delay_alu instid0(VALU_DEP_2) | instskip(NEXT) | instid1(VALU_DEP_2)
	v_add_co_u32 v14, vcc_lo, v7, v9
	v_add_co_ci_u32_e32 v18, vcc_lo, v8, v10, vcc_lo
	s_delay_alu instid0(VALU_DEP_2) | instskip(SKIP_1) | instid1(VALU_DEP_3)
	v_mul_hi_u32 v46, v1, v14
	v_mad_u64_u32 v[9:10], null, v0, v14, 0
	v_mad_u64_u32 v[7:8], null, v1, v18, 0
	;; [unrolled: 1-line block ×3, first 2 shown]
	s_delay_alu instid0(VALU_DEP_2) | instskip(NEXT) | instid1(VALU_DEP_3)
	v_add_co_u32 v7, vcc_lo, v46, v7
	v_add_co_ci_u32_e32 v8, vcc_lo, 0, v8, vcc_lo
	s_delay_alu instid0(VALU_DEP_2) | instskip(NEXT) | instid1(VALU_DEP_2)
	v_add_co_u32 v7, vcc_lo, v7, v9
	v_add_co_ci_u32_e32 v7, vcc_lo, v8, v10, vcc_lo
	v_add_co_ci_u32_e32 v8, vcc_lo, 0, v45, vcc_lo
	s_delay_alu instid0(VALU_DEP_2) | instskip(NEXT) | instid1(VALU_DEP_2)
	v_add_co_u32 v9, vcc_lo, v7, v44
	v_add_co_ci_u32_e32 v10, vcc_lo, 0, v8, vcc_lo
	s_delay_alu instid0(VALU_DEP_2) | instskip(SKIP_1) | instid1(VALU_DEP_3)
	v_mul_lo_u32 v14, s9, v9
	v_mad_u64_u32 v[7:8], null, s8, v9, 0
	v_mul_lo_u32 v9, s8, v10
	s_delay_alu instid0(VALU_DEP_2) | instskip(NEXT) | instid1(VALU_DEP_2)
	v_sub_co_u32 v7, vcc_lo, v1, v7
	v_add3_u32 v8, v8, v9, v14
	s_delay_alu instid0(VALU_DEP_1) | instskip(NEXT) | instid1(VALU_DEP_1)
	v_sub_nc_u32_e32 v9, v0, v8
	v_subrev_co_ci_u32_e64 v9, s0, s9, v9, vcc_lo
	s_delay_alu instid0(VALU_DEP_4) | instskip(SKIP_1) | instid1(VALU_DEP_3)
	v_sub_co_u32 v10, s0, v7, s8
	v_sub_co_ci_u32_e32 v0, vcc_lo, v0, v8, vcc_lo
	v_subrev_co_ci_u32_e64 v9, s0, 0, v9, s0
	s_delay_alu instid0(VALU_DEP_3) | instskip(SKIP_1) | instid1(VALU_DEP_3)
	v_cmp_le_u32_e32 vcc_lo, s8, v10
	v_cndmask_b32_e64 v8, 0, -1, vcc_lo
	v_cmp_le_u32_e32 vcc_lo, s9, v9
	v_cndmask_b32_e64 v14, 0, -1, vcc_lo
	;; [unrolled: 2-line block ×4, first 2 shown]
	v_cmp_eq_u32_e32 vcc_lo, s9, v9
	v_cndmask_b32_e32 v8, v14, v8, vcc_lo
	v_sub_co_u32 v9, vcc_lo, v10, s8
	v_cmp_eq_u32_e32 vcc_lo, s9, v0
	v_cndmask_b32_e32 v0, v44, v18, vcc_lo
	s_delay_alu instid0(VALU_DEP_4) | instskip(NEXT) | instid1(VALU_DEP_4)
	v_cmp_ne_u32_e32 vcc_lo, 0, v8
	v_cndmask_b32_e32 v8, v10, v9, vcc_lo
	s_delay_alu instid0(VALU_DEP_3) | instskip(NEXT) | instid1(VALU_DEP_2)
	v_cmp_ne_u32_e32 vcc_lo, 0, v0
	v_cndmask_b32_e32 v7, v7, v8, vcc_lo
.LBB16_22:                              ;   in Loop: Header=BB16_9 Depth=1
	s_and_not1_saveexec_b32 s0, s16
	s_cbranch_execz .LBB16_24
; %bb.23:                               ;   in Loop: Header=BB16_9 Depth=1
	v_cvt_f32_u32_e32 v0, s8
	s_sub_i32 s16, 0, s8
	s_delay_alu instid0(VALU_DEP_1) | instskip(SKIP_2) | instid1(VALU_DEP_1)
	v_rcp_iflag_f32_e32 v0, v0
	s_waitcnt_depctr 0xfff
	v_mul_f32_e32 v0, 0x4f7ffffe, v0
	v_cvt_u32_f32_e32 v0, v0
	s_delay_alu instid0(VALU_DEP_1) | instskip(NEXT) | instid1(VALU_DEP_1)
	v_mul_lo_u32 v7, s16, v0
	v_mul_hi_u32 v7, v0, v7
	s_delay_alu instid0(VALU_DEP_1) | instskip(NEXT) | instid1(VALU_DEP_1)
	v_add_nc_u32_e32 v0, v0, v7
	v_mul_hi_u32 v0, v1, v0
	s_delay_alu instid0(VALU_DEP_1) | instskip(NEXT) | instid1(VALU_DEP_1)
	v_mul_lo_u32 v0, v0, s8
	v_sub_nc_u32_e32 v0, v1, v0
	s_delay_alu instid0(VALU_DEP_1) | instskip(SKIP_1) | instid1(VALU_DEP_2)
	v_subrev_nc_u32_e32 v1, s8, v0
	v_cmp_le_u32_e32 vcc_lo, s8, v0
	v_cndmask_b32_e32 v0, v0, v1, vcc_lo
	s_delay_alu instid0(VALU_DEP_1) | instskip(SKIP_1) | instid1(VALU_DEP_2)
	v_subrev_nc_u32_e32 v1, s8, v0
	v_cmp_le_u32_e32 vcc_lo, s8, v0
	v_cndmask_b32_e32 v7, v0, v1, vcc_lo
.LBB16_24:                              ;   in Loop: Header=BB16_9 Depth=1
	s_or_b32 exec_lo, exec_lo, s0
	v_add_nc_u32_e32 v0, s14, v41
	s_delay_alu instid0(VALU_DEP_2) | instskip(NEXT) | instid1(VALU_DEP_2)
	v_add_nc_u32_e32 v7, s10, v7
	v_ashrrev_i32_e32 v1, 31, v0
	v_add_co_u32 v0, vcc_lo, s6, v0
	s_delay_alu instid0(VALU_DEP_2)
	v_add_co_ci_u32_e32 v1, vcc_lo, s7, v1, vcc_lo
	global_store_b16 v[0:1], v7, off
.LBB16_25:                              ;   in Loop: Header=BB16_9 Depth=1
	s_or_b32 exec_lo, exec_lo, s15
	v_add_co_u32 v0, vcc_lo, s12, v15
	v_add_co_ci_u32_e32 v1, vcc_lo, 0, v16, vcc_lo
	s_mov_b32 s15, exec_lo
	s_delay_alu instid0(VALU_DEP_1)
	v_cmpx_gt_i64_e64 s[4:5], v[0:1]
	s_cbranch_execz .LBB16_8
; %bb.26:                               ;   in Loop: Header=BB16_9 Depth=1
	v_or_b32_e32 v14, s9, v2
                                        ; implicit-def: $vgpr7_vgpr8
	s_mov_b32 s0, exec_lo
	s_delay_alu instid0(VALU_DEP_1)
	v_cmpx_ne_u64_e32 0, v[13:14]
	s_xor_b32 s16, exec_lo, s0
	s_cbranch_execz .LBB16_28
; %bb.27:                               ;   in Loop: Header=BB16_9 Depth=1
	v_cvt_f32_u32_e32 v0, s8
	v_cvt_f32_u32_e32 v1, s9
	s_sub_u32 s0, 0, s8
	s_subb_u32 s17, 0, s9
	s_delay_alu instid0(VALU_DEP_1) | instskip(NEXT) | instid1(VALU_DEP_1)
	v_fmac_f32_e32 v0, 0x4f800000, v1
	v_rcp_f32_e32 v0, v0
	s_waitcnt_depctr 0xfff
	v_mul_f32_e32 v0, 0x5f7ffffc, v0
	s_delay_alu instid0(VALU_DEP_1) | instskip(NEXT) | instid1(VALU_DEP_1)
	v_mul_f32_e32 v1, 0x2f800000, v0
	v_trunc_f32_e32 v1, v1
	s_delay_alu instid0(VALU_DEP_1) | instskip(SKIP_1) | instid1(VALU_DEP_2)
	v_fmac_f32_e32 v0, 0xcf800000, v1
	v_cvt_u32_f32_e32 v1, v1
	v_cvt_u32_f32_e32 v0, v0
	s_delay_alu instid0(VALU_DEP_2) | instskip(NEXT) | instid1(VALU_DEP_2)
	v_mul_lo_u32 v7, s0, v1
	v_mul_hi_u32 v8, s0, v0
	v_mul_lo_u32 v9, s17, v0
	s_delay_alu instid0(VALU_DEP_2) | instskip(SKIP_1) | instid1(VALU_DEP_2)
	v_add_nc_u32_e32 v7, v8, v7
	v_mul_lo_u32 v8, s0, v0
	v_add_nc_u32_e32 v7, v7, v9
	s_delay_alu instid0(VALU_DEP_2) | instskip(NEXT) | instid1(VALU_DEP_2)
	v_mul_hi_u32 v9, v0, v8
	v_mul_lo_u32 v10, v0, v7
	v_mul_hi_u32 v14, v0, v7
	v_mul_hi_u32 v18, v1, v8
	v_mul_lo_u32 v8, v1, v8
	v_mul_hi_u32 v44, v1, v7
	v_mul_lo_u32 v7, v1, v7
	v_add_co_u32 v9, vcc_lo, v9, v10
	v_add_co_ci_u32_e32 v10, vcc_lo, 0, v14, vcc_lo
	s_delay_alu instid0(VALU_DEP_2) | instskip(NEXT) | instid1(VALU_DEP_2)
	v_add_co_u32 v8, vcc_lo, v9, v8
	v_add_co_ci_u32_e32 v8, vcc_lo, v10, v18, vcc_lo
	v_add_co_ci_u32_e32 v9, vcc_lo, 0, v44, vcc_lo
	s_delay_alu instid0(VALU_DEP_2) | instskip(NEXT) | instid1(VALU_DEP_2)
	v_add_co_u32 v7, vcc_lo, v8, v7
	v_add_co_ci_u32_e32 v8, vcc_lo, 0, v9, vcc_lo
	s_delay_alu instid0(VALU_DEP_2) | instskip(NEXT) | instid1(VALU_DEP_2)
	v_add_co_u32 v0, vcc_lo, v0, v7
	v_add_co_ci_u32_e32 v1, vcc_lo, v1, v8, vcc_lo
	s_delay_alu instid0(VALU_DEP_2) | instskip(SKIP_1) | instid1(VALU_DEP_3)
	v_mul_hi_u32 v7, s0, v0
	v_mul_lo_u32 v9, s17, v0
	v_mul_lo_u32 v8, s0, v1
	s_delay_alu instid0(VALU_DEP_1) | instskip(SKIP_1) | instid1(VALU_DEP_2)
	v_add_nc_u32_e32 v7, v7, v8
	v_mul_lo_u32 v8, s0, v0
	v_add_nc_u32_e32 v7, v7, v9
	s_delay_alu instid0(VALU_DEP_2) | instskip(NEXT) | instid1(VALU_DEP_2)
	v_mul_hi_u32 v9, v0, v8
	v_mul_lo_u32 v10, v0, v7
	v_mul_hi_u32 v14, v0, v7
	v_mul_hi_u32 v18, v1, v8
	v_mul_lo_u32 v8, v1, v8
	v_mul_hi_u32 v44, v1, v7
	v_mul_lo_u32 v7, v1, v7
	v_add_co_u32 v9, vcc_lo, v9, v10
	v_add_co_ci_u32_e32 v10, vcc_lo, 0, v14, vcc_lo
	s_delay_alu instid0(VALU_DEP_2) | instskip(NEXT) | instid1(VALU_DEP_2)
	v_add_co_u32 v8, vcc_lo, v9, v8
	v_add_co_ci_u32_e32 v8, vcc_lo, v10, v18, vcc_lo
	v_add_co_ci_u32_e32 v9, vcc_lo, 0, v44, vcc_lo
	s_delay_alu instid0(VALU_DEP_2) | instskip(NEXT) | instid1(VALU_DEP_2)
	v_add_co_u32 v7, vcc_lo, v8, v7
	v_add_co_ci_u32_e32 v8, vcc_lo, 0, v9, vcc_lo
	s_delay_alu instid0(VALU_DEP_2) | instskip(NEXT) | instid1(VALU_DEP_2)
	v_add_co_u32 v9, vcc_lo, v0, v7
	v_add_co_ci_u32_e32 v14, vcc_lo, v1, v8, vcc_lo
	s_delay_alu instid0(VALU_DEP_2) | instskip(SKIP_1) | instid1(VALU_DEP_3)
	v_mul_hi_u32 v18, v3, v9
	v_mad_u64_u32 v[7:8], null, v2, v9, 0
	v_mad_u64_u32 v[0:1], null, v3, v14, 0
	;; [unrolled: 1-line block ×3, first 2 shown]
	s_delay_alu instid0(VALU_DEP_2) | instskip(NEXT) | instid1(VALU_DEP_3)
	v_add_co_u32 v0, vcc_lo, v18, v0
	v_add_co_ci_u32_e32 v1, vcc_lo, 0, v1, vcc_lo
	s_delay_alu instid0(VALU_DEP_2) | instskip(NEXT) | instid1(VALU_DEP_2)
	v_add_co_u32 v0, vcc_lo, v0, v7
	v_add_co_ci_u32_e32 v0, vcc_lo, v1, v8, vcc_lo
	v_add_co_ci_u32_e32 v1, vcc_lo, 0, v10, vcc_lo
	s_delay_alu instid0(VALU_DEP_2) | instskip(NEXT) | instid1(VALU_DEP_2)
	v_add_co_u32 v7, vcc_lo, v0, v9
	v_add_co_ci_u32_e32 v8, vcc_lo, 0, v1, vcc_lo
	s_delay_alu instid0(VALU_DEP_2) | instskip(SKIP_1) | instid1(VALU_DEP_3)
	v_mul_lo_u32 v9, s9, v7
	v_mad_u64_u32 v[0:1], null, s8, v7, 0
	v_mul_lo_u32 v7, s8, v8
	s_delay_alu instid0(VALU_DEP_2) | instskip(NEXT) | instid1(VALU_DEP_2)
	v_sub_co_u32 v0, vcc_lo, v3, v0
	v_add3_u32 v1, v1, v7, v9
	s_delay_alu instid0(VALU_DEP_1) | instskip(NEXT) | instid1(VALU_DEP_1)
	v_sub_nc_u32_e32 v7, v2, v1
	v_subrev_co_ci_u32_e64 v3, s0, s9, v7, vcc_lo
	s_delay_alu instid0(VALU_DEP_4) | instskip(SKIP_1) | instid1(VALU_DEP_3)
	v_sub_co_u32 v7, s0, v0, s8
	v_sub_co_ci_u32_e32 v1, vcc_lo, v2, v1, vcc_lo
	v_subrev_co_ci_u32_e64 v3, s0, 0, v3, s0
	s_delay_alu instid0(VALU_DEP_3) | instskip(SKIP_1) | instid1(VALU_DEP_3)
	v_cmp_le_u32_e32 vcc_lo, s8, v7
	v_cndmask_b32_e64 v2, 0, -1, vcc_lo
	v_cmp_le_u32_e32 vcc_lo, s9, v3
	v_cndmask_b32_e64 v8, 0, -1, vcc_lo
	v_cmp_le_u32_e32 vcc_lo, s8, v0
	v_cndmask_b32_e64 v9, 0, -1, vcc_lo
	v_cmp_le_u32_e32 vcc_lo, s9, v1
	v_cndmask_b32_e64 v10, 0, -1, vcc_lo
	v_cmp_eq_u32_e32 vcc_lo, s9, v3
	v_cndmask_b32_e32 v2, v8, v2, vcc_lo
	v_sub_co_u32 v3, vcc_lo, v7, s8
	v_cmp_eq_u32_e32 vcc_lo, s9, v1
	v_cndmask_b32_e32 v1, v10, v9, vcc_lo
	s_delay_alu instid0(VALU_DEP_4) | instskip(NEXT) | instid1(VALU_DEP_4)
	v_cmp_ne_u32_e32 vcc_lo, 0, v2
	v_cndmask_b32_e32 v2, v7, v3, vcc_lo
	s_delay_alu instid0(VALU_DEP_3) | instskip(NEXT) | instid1(VALU_DEP_2)
	v_cmp_ne_u32_e32 vcc_lo, 0, v1
	v_cndmask_b32_e32 v7, v0, v2, vcc_lo
                                        ; implicit-def: $vgpr0_vgpr1_vgpr2_vgpr3
.LBB16_28:                              ;   in Loop: Header=BB16_9 Depth=1
	s_and_not1_saveexec_b32 s0, s16
	s_cbranch_execz .LBB16_7
; %bb.29:                               ;   in Loop: Header=BB16_9 Depth=1
	v_cvt_f32_u32_e32 v0, s8
	s_sub_i32 s16, 0, s8
	s_delay_alu instid0(VALU_DEP_1) | instskip(SKIP_2) | instid1(VALU_DEP_1)
	v_rcp_iflag_f32_e32 v0, v0
	s_waitcnt_depctr 0xfff
	v_mul_f32_e32 v0, 0x4f7ffffe, v0
	v_cvt_u32_f32_e32 v0, v0
	s_delay_alu instid0(VALU_DEP_1) | instskip(NEXT) | instid1(VALU_DEP_1)
	v_mul_lo_u32 v1, s16, v0
	v_mul_hi_u32 v1, v0, v1
	s_delay_alu instid0(VALU_DEP_1) | instskip(NEXT) | instid1(VALU_DEP_1)
	v_add_nc_u32_e32 v0, v0, v1
	v_mul_hi_u32 v0, v3, v0
	s_delay_alu instid0(VALU_DEP_1) | instskip(NEXT) | instid1(VALU_DEP_1)
	v_mul_lo_u32 v0, v0, s8
	v_sub_nc_u32_e32 v0, v3, v0
	s_delay_alu instid0(VALU_DEP_1) | instskip(SKIP_1) | instid1(VALU_DEP_2)
	v_subrev_nc_u32_e32 v1, s8, v0
	v_cmp_le_u32_e32 vcc_lo, s8, v0
	v_cndmask_b32_e32 v0, v0, v1, vcc_lo
	s_delay_alu instid0(VALU_DEP_1) | instskip(SKIP_1) | instid1(VALU_DEP_2)
	v_subrev_nc_u32_e32 v1, s8, v0
	v_cmp_le_u32_e32 vcc_lo, s8, v0
	v_cndmask_b32_e32 v7, v0, v1, vcc_lo
	s_branch .LBB16_7
.LBB16_30:
	s_endpgm
.LBB16_31:
                                        ; implicit-def: $sgpr2_sgpr3
	s_branch .LBB16_4
	.section	.rodata,"a",@progbits
	.p2align	6, 0x0
	.amdhsa_kernel _ZN2at6native12_GLOBAL__N_143distribution_elementwise_grid_stride_kernelImLi2EZZZNS0_9templates4cuda21random_from_to_kernelIPNS_17CUDAGeneratorImplEEEvRNS_18TensorIteratorBaseEmlT_ENKUlvE_clEvENKUlvE3_clEvEUlP25hiprandStatePhilox4_32_10E_ZNS1_27distribution_nullary_kernelIsm15HIP_vector_typeIyLj2EES7_SF_ZZZNS5_IS7_EEvS9_mlSA_ENKSB_clEvENKSC_clEvEUlmE_EEvS9_T2_RKT3_T4_EUlimE_EEvlNS_15PhiloxCudaStateET1_SK_
		.amdhsa_group_segment_fixed_size 0
		.amdhsa_private_segment_fixed_size 0
		.amdhsa_kernarg_size 336
		.amdhsa_user_sgpr_count 15
		.amdhsa_user_sgpr_dispatch_ptr 0
		.amdhsa_user_sgpr_queue_ptr 0
		.amdhsa_user_sgpr_kernarg_segment_ptr 1
		.amdhsa_user_sgpr_dispatch_id 0
		.amdhsa_user_sgpr_private_segment_size 0
		.amdhsa_wavefront_size32 1
		.amdhsa_uses_dynamic_stack 0
		.amdhsa_enable_private_segment 0
		.amdhsa_system_sgpr_workgroup_id_x 1
		.amdhsa_system_sgpr_workgroup_id_y 0
		.amdhsa_system_sgpr_workgroup_id_z 0
		.amdhsa_system_sgpr_workgroup_info 0
		.amdhsa_system_vgpr_workitem_id 0
		.amdhsa_next_free_vgpr 47
		.amdhsa_next_free_sgpr 23
		.amdhsa_reserve_vcc 1
		.amdhsa_float_round_mode_32 0
		.amdhsa_float_round_mode_16_64 0
		.amdhsa_float_denorm_mode_32 3
		.amdhsa_float_denorm_mode_16_64 3
		.amdhsa_dx10_clamp 1
		.amdhsa_ieee_mode 1
		.amdhsa_fp16_overflow 0
		.amdhsa_workgroup_processor_mode 1
		.amdhsa_memory_ordered 1
		.amdhsa_forward_progress 0
		.amdhsa_shared_vgpr_count 0
		.amdhsa_exception_fp_ieee_invalid_op 0
		.amdhsa_exception_fp_denorm_src 0
		.amdhsa_exception_fp_ieee_div_zero 0
		.amdhsa_exception_fp_ieee_overflow 0
		.amdhsa_exception_fp_ieee_underflow 0
		.amdhsa_exception_fp_ieee_inexact 0
		.amdhsa_exception_int_div_zero 0
	.end_amdhsa_kernel
	.section	.text._ZN2at6native12_GLOBAL__N_143distribution_elementwise_grid_stride_kernelImLi2EZZZNS0_9templates4cuda21random_from_to_kernelIPNS_17CUDAGeneratorImplEEEvRNS_18TensorIteratorBaseEmlT_ENKUlvE_clEvENKUlvE3_clEvEUlP25hiprandStatePhilox4_32_10E_ZNS1_27distribution_nullary_kernelIsm15HIP_vector_typeIyLj2EES7_SF_ZZZNS5_IS7_EEvS9_mlSA_ENKSB_clEvENKSC_clEvEUlmE_EEvS9_T2_RKT3_T4_EUlimE_EEvlNS_15PhiloxCudaStateET1_SK_,"axG",@progbits,_ZN2at6native12_GLOBAL__N_143distribution_elementwise_grid_stride_kernelImLi2EZZZNS0_9templates4cuda21random_from_to_kernelIPNS_17CUDAGeneratorImplEEEvRNS_18TensorIteratorBaseEmlT_ENKUlvE_clEvENKUlvE3_clEvEUlP25hiprandStatePhilox4_32_10E_ZNS1_27distribution_nullary_kernelIsm15HIP_vector_typeIyLj2EES7_SF_ZZZNS5_IS7_EEvS9_mlSA_ENKSB_clEvENKSC_clEvEUlmE_EEvS9_T2_RKT3_T4_EUlimE_EEvlNS_15PhiloxCudaStateET1_SK_,comdat
.Lfunc_end16:
	.size	_ZN2at6native12_GLOBAL__N_143distribution_elementwise_grid_stride_kernelImLi2EZZZNS0_9templates4cuda21random_from_to_kernelIPNS_17CUDAGeneratorImplEEEvRNS_18TensorIteratorBaseEmlT_ENKUlvE_clEvENKUlvE3_clEvEUlP25hiprandStatePhilox4_32_10E_ZNS1_27distribution_nullary_kernelIsm15HIP_vector_typeIyLj2EES7_SF_ZZZNS5_IS7_EEvS9_mlSA_ENKSB_clEvENKSC_clEvEUlmE_EEvS9_T2_RKT3_T4_EUlimE_EEvlNS_15PhiloxCudaStateET1_SK_, .Lfunc_end16-_ZN2at6native12_GLOBAL__N_143distribution_elementwise_grid_stride_kernelImLi2EZZZNS0_9templates4cuda21random_from_to_kernelIPNS_17CUDAGeneratorImplEEEvRNS_18TensorIteratorBaseEmlT_ENKUlvE_clEvENKUlvE3_clEvEUlP25hiprandStatePhilox4_32_10E_ZNS1_27distribution_nullary_kernelIsm15HIP_vector_typeIyLj2EES7_SF_ZZZNS5_IS7_EEvS9_mlSA_ENKSB_clEvENKSC_clEvEUlmE_EEvS9_T2_RKT3_T4_EUlimE_EEvlNS_15PhiloxCudaStateET1_SK_
                                        ; -- End function
	.section	.AMDGPU.csdata,"",@progbits
; Kernel info:
; codeLenInByte = 4348
; NumSgprs: 25
; NumVgprs: 47
; ScratchSize: 0
; MemoryBound: 0
; FloatMode: 240
; IeeeMode: 1
; LDSByteSize: 0 bytes/workgroup (compile time only)
; SGPRBlocks: 3
; VGPRBlocks: 5
; NumSGPRsForWavesPerEU: 25
; NumVGPRsForWavesPerEU: 47
; Occupancy: 16
; WaveLimiterHint : 0
; COMPUTE_PGM_RSRC2:SCRATCH_EN: 0
; COMPUTE_PGM_RSRC2:USER_SGPR: 15
; COMPUTE_PGM_RSRC2:TRAP_HANDLER: 0
; COMPUTE_PGM_RSRC2:TGID_X_EN: 1
; COMPUTE_PGM_RSRC2:TGID_Y_EN: 0
; COMPUTE_PGM_RSRC2:TGID_Z_EN: 0
; COMPUTE_PGM_RSRC2:TIDIG_COMP_CNT: 0
	.section	.text._ZN2at6native12_GLOBAL__N_143distribution_elementwise_grid_stride_kernelImLi2EZZZNS0_9templates4cuda21random_from_to_kernelIPNS_17CUDAGeneratorImplEEEvRNS_18TensorIteratorBaseEmlT_ENKUlvE_clEvENKUlvE3_clEvEUlP25hiprandStatePhilox4_32_10E_ZNS1_27distribution_nullary_kernelIsm15HIP_vector_typeIyLj2EES7_SF_ZZZNS5_IS7_EEvS9_mlSA_ENKSB_clEvENKSC_clEvEUlmE_EEvS9_T2_RKT3_T4_EUlimE0_EEvlNS_15PhiloxCudaStateET1_SK_,"axG",@progbits,_ZN2at6native12_GLOBAL__N_143distribution_elementwise_grid_stride_kernelImLi2EZZZNS0_9templates4cuda21random_from_to_kernelIPNS_17CUDAGeneratorImplEEEvRNS_18TensorIteratorBaseEmlT_ENKUlvE_clEvENKUlvE3_clEvEUlP25hiprandStatePhilox4_32_10E_ZNS1_27distribution_nullary_kernelIsm15HIP_vector_typeIyLj2EES7_SF_ZZZNS5_IS7_EEvS9_mlSA_ENKSB_clEvENKSC_clEvEUlmE_EEvS9_T2_RKT3_T4_EUlimE0_EEvlNS_15PhiloxCudaStateET1_SK_,comdat
	.globl	_ZN2at6native12_GLOBAL__N_143distribution_elementwise_grid_stride_kernelImLi2EZZZNS0_9templates4cuda21random_from_to_kernelIPNS_17CUDAGeneratorImplEEEvRNS_18TensorIteratorBaseEmlT_ENKUlvE_clEvENKUlvE3_clEvEUlP25hiprandStatePhilox4_32_10E_ZNS1_27distribution_nullary_kernelIsm15HIP_vector_typeIyLj2EES7_SF_ZZZNS5_IS7_EEvS9_mlSA_ENKSB_clEvENKSC_clEvEUlmE_EEvS9_T2_RKT3_T4_EUlimE0_EEvlNS_15PhiloxCudaStateET1_SK_ ; -- Begin function _ZN2at6native12_GLOBAL__N_143distribution_elementwise_grid_stride_kernelImLi2EZZZNS0_9templates4cuda21random_from_to_kernelIPNS_17CUDAGeneratorImplEEEvRNS_18TensorIteratorBaseEmlT_ENKUlvE_clEvENKUlvE3_clEvEUlP25hiprandStatePhilox4_32_10E_ZNS1_27distribution_nullary_kernelIsm15HIP_vector_typeIyLj2EES7_SF_ZZZNS5_IS7_EEvS9_mlSA_ENKSB_clEvENKSC_clEvEUlmE_EEvS9_T2_RKT3_T4_EUlimE0_EEvlNS_15PhiloxCudaStateET1_SK_
	.p2align	8
	.type	_ZN2at6native12_GLOBAL__N_143distribution_elementwise_grid_stride_kernelImLi2EZZZNS0_9templates4cuda21random_from_to_kernelIPNS_17CUDAGeneratorImplEEEvRNS_18TensorIteratorBaseEmlT_ENKUlvE_clEvENKUlvE3_clEvEUlP25hiprandStatePhilox4_32_10E_ZNS1_27distribution_nullary_kernelIsm15HIP_vector_typeIyLj2EES7_SF_ZZZNS5_IS7_EEvS9_mlSA_ENKSB_clEvENKSC_clEvEUlmE_EEvS9_T2_RKT3_T4_EUlimE0_EEvlNS_15PhiloxCudaStateET1_SK_,@function
_ZN2at6native12_GLOBAL__N_143distribution_elementwise_grid_stride_kernelImLi2EZZZNS0_9templates4cuda21random_from_to_kernelIPNS_17CUDAGeneratorImplEEEvRNS_18TensorIteratorBaseEmlT_ENKUlvE_clEvENKUlvE3_clEvEUlP25hiprandStatePhilox4_32_10E_ZNS1_27distribution_nullary_kernelIsm15HIP_vector_typeIyLj2EES7_SF_ZZZNS5_IS7_EEvS9_mlSA_ENKSB_clEvENKSC_clEvEUlmE_EEvS9_T2_RKT3_T4_EUlimE0_EEvlNS_15PhiloxCudaStateET1_SK_: ; @_ZN2at6native12_GLOBAL__N_143distribution_elementwise_grid_stride_kernelImLi2EZZZNS0_9templates4cuda21random_from_to_kernelIPNS_17CUDAGeneratorImplEEEvRNS_18TensorIteratorBaseEmlT_ENKUlvE_clEvENKUlvE3_clEvEUlP25hiprandStatePhilox4_32_10E_ZNS1_27distribution_nullary_kernelIsm15HIP_vector_typeIyLj2EES7_SF_ZZZNS5_IS7_EEvS9_mlSA_ENKSB_clEvENKSC_clEvEUlmE_EEvS9_T2_RKT3_T4_EUlimE0_EEvlNS_15PhiloxCudaStateET1_SK_
; %bb.0:
	s_clause 0x2
	s_load_b64 s[4:5], s[0:1], 0x10
	s_load_b128 s[16:19], s[0:1], 0x0
	s_load_b32 s2, s[0:1], 0x20
	s_waitcnt lgkmcnt(0)
	v_dual_mov_b32 v2, s4 :: v_dual_mov_b32 v3, s5
	v_dual_mov_b32 v11, s18 :: v_dual_mov_b32 v12, s19
	s_bitcmp0_b32 s2, 0
	s_mov_b32 s2, 0
	s_cbranch_scc1 .LBB17_2
; %bb.1:
	v_dual_mov_b32 v1, s4 :: v_dual_mov_b32 v2, s5
	v_dual_mov_b32 v4, s18 :: v_dual_mov_b32 v5, s19
	s_load_b64 s[4:5], s[0:1], 0x18
	flat_load_b64 v[2:3], v[1:2]
	flat_load_b64 v[11:12], v[4:5]
	s_waitcnt vmcnt(1) lgkmcnt(0)
	v_add_co_u32 v2, vcc_lo, v2, s4
	v_add_co_ci_u32_e32 v3, vcc_lo, s5, v3, vcc_lo
.LBB17_2:
	s_clause 0x1
	s_load_b32 s3, s[0:1], 0x15c
	s_load_b32 s5, s[0:1], 0x150
	s_waitcnt lgkmcnt(0)
	s_and_b32 s4, s3, 0xffff
	s_add_u32 s6, s16, -1
	s_mul_i32 s28, s5, s4
	s_addc_u32 s3, s17, -1
	s_lshl_b32 s29, s28, 1
	s_cmp_lg_u64 s[2:3], 0
	s_cbranch_scc0 .LBB17_57
; %bb.3:
	v_cvt_f32_ubyte0_e32 v1, 0
	v_cvt_f32_u32_e32 v4, s29
	s_sub_u32 s8, 0, s29
	s_subb_u32 s9, 0, 0
	s_delay_alu instid0(VALU_DEP_1) | instskip(NEXT) | instid1(VALU_DEP_1)
	v_fmamk_f32 v1, v1, 0x4f800000, v4
	v_rcp_f32_e32 v1, v1
	s_waitcnt_depctr 0xfff
	v_mul_f32_e32 v1, 0x5f7ffffc, v1
	s_delay_alu instid0(VALU_DEP_1) | instskip(NEXT) | instid1(VALU_DEP_1)
	v_mul_f32_e32 v4, 0x2f800000, v1
	v_trunc_f32_e32 v4, v4
	s_delay_alu instid0(VALU_DEP_1) | instskip(SKIP_1) | instid1(VALU_DEP_2)
	v_fmamk_f32 v1, v4, 0xcf800000, v1
	v_cvt_u32_f32_e32 v4, v4
	v_cvt_u32_f32_e32 v1, v1
	s_delay_alu instid0(VALU_DEP_2) | instskip(NEXT) | instid1(VALU_DEP_2)
	v_readfirstlane_b32 s2, v4
	v_readfirstlane_b32 s7, v1
	s_delay_alu instid0(VALU_DEP_2) | instskip(NEXT) | instid1(VALU_DEP_1)
	s_mul_i32 s10, s8, s2
	s_mul_hi_u32 s12, s8, s7
	s_mul_i32 s11, s9, s7
	s_add_i32 s10, s12, s10
	s_mul_i32 s13, s8, s7
	s_add_i32 s10, s10, s11
	s_mul_hi_u32 s12, s7, s13
	s_mul_hi_u32 s14, s2, s13
	s_mul_i32 s11, s2, s13
	s_mul_hi_u32 s13, s7, s10
	s_mul_i32 s7, s7, s10
	s_mul_hi_u32 s18, s2, s10
	s_add_u32 s7, s12, s7
	s_addc_u32 s12, 0, s13
	s_add_u32 s7, s7, s11
	s_mul_i32 s10, s2, s10
	s_addc_u32 s7, s12, s14
	s_addc_u32 s11, s18, 0
	s_add_u32 s7, s7, s10
	s_addc_u32 s10, 0, s11
	v_add_co_u32 v1, s7, v1, s7
	s_delay_alu instid0(VALU_DEP_1) | instskip(SKIP_1) | instid1(VALU_DEP_1)
	s_cmp_lg_u32 s7, 0
	s_addc_u32 s2, s2, s10
	v_readfirstlane_b32 s7, v1
	s_mul_i32 s10, s8, s2
	s_delay_alu instid0(VALU_DEP_1)
	s_mul_hi_u32 s11, s8, s7
	s_mul_i32 s9, s9, s7
	s_add_i32 s10, s11, s10
	s_mul_i32 s8, s8, s7
	s_add_i32 s10, s10, s9
	s_mul_hi_u32 s11, s2, s8
	s_mul_i32 s12, s2, s8
	s_mul_hi_u32 s8, s7, s8
	s_mul_hi_u32 s13, s7, s10
	s_mul_i32 s7, s7, s10
	s_mul_hi_u32 s9, s2, s10
	s_add_u32 s7, s8, s7
	s_addc_u32 s8, 0, s13
	s_add_u32 s7, s7, s12
	s_mul_i32 s10, s2, s10
	s_addc_u32 s7, s8, s11
	s_addc_u32 s8, s9, 0
	s_add_u32 s7, s7, s10
	s_addc_u32 s8, 0, s8
	v_add_co_u32 v1, s7, v1, s7
	s_delay_alu instid0(VALU_DEP_1) | instskip(SKIP_2) | instid1(VALU_DEP_1)
	s_cmp_lg_u32 s7, 0
	s_addc_u32 s7, s2, s8
	s_ashr_i32 s8, s3, 31
	v_readfirstlane_b32 s10, v1
	s_add_u32 s2, s6, s8
	s_mov_b32 s9, s8
	s_addc_u32 s3, s3, s8
	s_delay_alu instid0(SALU_CYCLE_1) | instskip(NEXT) | instid1(SALU_CYCLE_1)
	s_xor_b64 s[2:3], s[2:3], s[8:9]
	s_mul_i32 s12, s2, s7
	s_mul_hi_u32 s13, s2, s10
	s_mul_hi_u32 s11, s2, s7
	;; [unrolled: 1-line block ×3, first 2 shown]
	s_mul_i32 s10, s3, s10
	s_add_u32 s12, s13, s12
	s_addc_u32 s11, 0, s11
	s_mul_hi_u32 s14, s3, s7
	s_add_u32 s10, s12, s10
	s_mul_i32 s7, s3, s7
	s_addc_u32 s10, s11, s18
	s_addc_u32 s11, s14, 0
	s_add_u32 s7, s10, s7
	s_addc_u32 s10, 0, s11
	s_mul_i32 s12, s29, s7
	s_add_u32 s11, s7, 1
	v_sub_co_u32 v1, s2, s2, s12
	s_mul_hi_u32 s12, s29, s7
	s_addc_u32 s13, s10, 0
	s_mul_i32 s14, s29, s10
	s_delay_alu instid0(VALU_DEP_1)
	v_sub_co_u32 v4, s18, v1, s29
	s_add_u32 s19, s7, 2
	s_addc_u32 s20, s10, 0
	s_add_i32 s12, s12, s14
	s_cmp_lg_u32 s2, 0
	v_readfirstlane_b32 s2, v4
	s_subb_u32 s3, s3, s12
	s_cmp_lg_u32 s18, 0
	s_subb_u32 s12, s3, 0
	s_delay_alu instid0(VALU_DEP_1) | instskip(SKIP_4) | instid1(SALU_CYCLE_1)
	s_cmp_ge_u32 s2, s29
	s_cselect_b32 s2, -1, 0
	s_cmp_eq_u32 s12, 0
	v_readfirstlane_b32 s12, v1
	s_cselect_b32 s2, s2, -1
	s_cmp_lg_u32 s2, 0
	s_cselect_b32 s2, s19, s11
	s_cselect_b32 s11, s20, s13
	s_cmp_ge_u32 s12, s29
	s_cselect_b32 s12, -1, 0
	s_cmp_eq_u32 s3, 0
	s_cselect_b32 s3, s12, -1
	s_delay_alu instid0(SALU_CYCLE_1) | instskip(SKIP_2) | instid1(SALU_CYCLE_1)
	s_cmp_lg_u32 s3, 0
	s_cselect_b32 s3, s11, s10
	s_cselect_b32 s2, s2, s7
	s_xor_b64 s[2:3], s[2:3], s[8:9]
	s_delay_alu instid0(SALU_CYCLE_1)
	s_sub_u32 s2, s2, s8
	s_subb_u32 s3, s3, s8
	s_cbranch_execnz .LBB17_5
.LBB17_4:
	v_cvt_f32_u32_e32 v1, s29
	s_sub_i32 s3, 0, s29
	s_delay_alu instid0(VALU_DEP_1) | instskip(SKIP_2) | instid1(VALU_DEP_1)
	v_rcp_iflag_f32_e32 v1, v1
	s_waitcnt_depctr 0xfff
	v_mul_f32_e32 v1, 0x4f7ffffe, v1
	v_cvt_u32_f32_e32 v1, v1
	s_delay_alu instid0(VALU_DEP_1) | instskip(NEXT) | instid1(VALU_DEP_1)
	v_readfirstlane_b32 s2, v1
	s_mul_i32 s3, s3, s2
	s_delay_alu instid0(SALU_CYCLE_1) | instskip(NEXT) | instid1(SALU_CYCLE_1)
	s_mul_hi_u32 s3, s2, s3
	s_add_i32 s2, s2, s3
	s_delay_alu instid0(SALU_CYCLE_1) | instskip(NEXT) | instid1(SALU_CYCLE_1)
	s_mul_hi_u32 s2, s6, s2
	s_mul_i32 s3, s2, s29
	s_delay_alu instid0(SALU_CYCLE_1)
	s_sub_i32 s3, s6, s3
	s_add_i32 s6, s2, 1
	s_sub_i32 s7, s3, s29
	s_cmp_ge_u32 s3, s29
	s_cselect_b32 s2, s6, s2
	s_cselect_b32 s3, s7, s3
	s_add_i32 s6, s2, 1
	s_cmp_ge_u32 s3, s29
	s_mov_b32 s3, 0
	s_cselect_b32 s2, s6, s2
.LBB17_5:
	v_mov_b32_e32 v13, 0
	s_add_u32 s2, s2, 1
	s_addc_u32 s3, s3, 0
	s_mul_hi_u32 s5, s5, s4
	s_mul_hi_u32 s6, s28, s2
	v_mov_b32_e32 v1, v13
	s_mul_i32 s3, s28, s3
	s_mul_i32 s5, s5, s2
	s_add_i32 s3, s6, s3
	s_mul_i32 s2, s28, s2
	v_mad_u64_u32 v[15:16], null, s4, s15, v[0:1]
	s_add_i32 s3, s3, s5
	s_mov_b32 s4, exec_lo
	s_lshl_b64 s[2:3], s[2:3], 1
	s_delay_alu instid0(VALU_DEP_1) | instid1(SALU_CYCLE_1)
	v_cmpx_gt_i64_e64 s[2:3], v[15:16]
	s_cbranch_execz .LBB17_56
; %bb.6:
	v_alignbit_b32 v19, v3, v2, 2
	v_mad_u64_u32 v[4:5], null, 0xcd9e8d57, v15, 0
	v_lshrrev_b32_e32 v20, 2, v3
	s_waitcnt vmcnt(0)
	v_dual_mov_b32 v9, v12 :: v_dual_add_nc_u32 v30, 0x8ff34781, v11
	v_mad_u64_u32 v[0:1], null, 0xd2511f53, v19, 0
	v_add_co_u32 v22, null, 0x9e3779b9, v11
	v_xor3_b32 v3, v11, v5, v20
	s_delay_alu instid0(VALU_DEP_4) | instskip(SKIP_2) | instid1(VALU_DEP_4)
	v_add_co_u32 v21, null, 0xbb67ae85, v9
	v_add_co_u32 v23, null, 0x3c6ef372, v11
	v_xor_b32_e32 v1, v1, v12
	v_mad_u64_u32 v[5:6], null, 0xd2511f53, v3, 0
	v_add_co_u32 v24, null, 0x76cf5d0a, v9
	s_delay_alu instid0(VALU_DEP_3) | instskip(SKIP_2) | instid1(VALU_DEP_3)
	v_xor_b32_e32 v1, v1, v16
	v_add_co_u32 v25, null, 0x32370b8f, v9
	v_add_co_u32 v26, null, 0xdaa66d2b, v11
	v_mad_u64_u32 v[7:8], null, 0xcd9e8d57, v1, 0
	v_xor3_b32 v3, v21, v6, v0
	v_add_co_u32 v27, null, 0x78dde6e4, v11
	v_add_co_u32 v28, null, 0xed9eba14, v9
	s_delay_alu instid0(VALU_DEP_3) | instskip(SKIP_3) | instid1(VALU_DEP_3)
	v_mad_u64_u32 v[0:1], null, 0xcd9e8d57, v3, 0
	v_xor3_b32 v6, v22, v8, v4
	v_dual_mov_b32 v40, v15 :: v_dual_and_b32 v29, 3, v2
	v_add_co_u32 v31, null, 0xa9066899, v9
	v_mad_u64_u32 v[3:4], null, 0xd2511f53, v6, 0
	v_xor3_b32 v1, v23, v1, v7
	v_add_co_u32 v32, null, 0x1715609d, v11
	v_add_co_u32 v34, null, 0xb54cda56, v11
	;; [unrolled: 1-line block ×3, first 2 shown]
	v_xor3_b32 v8, v24, v4, v5
	v_mad_u64_u32 v[4:5], null, 0xd2511f53, v1, 0
	s_load_b256 s[4:11], s[0:1], 0x30
	v_add_co_u32 v33, null, 0x5384540f, v11
	s_delay_alu instid0(VALU_DEP_3) | instskip(SKIP_1) | instid1(VALU_DEP_4)
	v_mad_u64_u32 v[6:7], null, 0xcd9e8d57, v8, 0
	v_add_co_u32 v37, null, 0x1fd5c5a3, v9
	v_xor3_b32 v3, v25, v5, v3
	v_add_co_u32 v35, null, 0xf1bbcdc8, v11
	v_add_co_u32 v38, null, 0xdb3d7428, v9
	v_xor3_b32 v5, v26, v7, v0
	s_delay_alu instid0(VALU_DEP_4) | instskip(SKIP_2) | instid1(VALU_DEP_2)
	v_mad_u64_u32 v[0:1], null, 0xcd9e8d57, v3, 0
	s_add_u32 s18, s0, 48
	s_load_b64 s[20:21], s[0:1], 0x148
	v_mad_u64_u32 v[7:8], null, 0xd2511f53, v5, 0
	s_clause 0x1
	s_load_b64 s[22:23], s[0:1], 0xf4
	s_load_b128 s[12:15], s[0:1], 0x138
	s_addc_u32 s19, s1, 0
	v_xor3_b32 v3, v27, v1, v6
	s_waitcnt lgkmcnt(0)
	s_add_i32 s26, s4, -1
	v_add_nc_u32_e32 v39, 0x96a522ad, v12
	s_cmp_gt_u32 s26, 1
	v_xor3_b32 v5, v28, v8, v4
	v_mad_u64_u32 v[1:2], null, 0xd2511f53, v3, 0
	s_cselect_b32 s11, -1, 0
	s_cmp_lg_u32 s4, 0
	s_delay_alu instid0(VALU_DEP_2) | instskip(SKIP_2) | instid1(VALU_DEP_2)
	v_mad_u64_u32 v[3:4], null, 0xcd9e8d57, v5, 0
	s_cselect_b32 s21, -1, 0
	s_add_u32 s24, s0, 0xf4
	v_xor3_b32 v2, v31, v2, v7
	s_addc_u32 s25, s1, 0
	s_min_u32 s0, s26, 15
	s_cmp_gt_u32 s4, 1
	s_delay_alu instid0(VALU_DEP_2) | instskip(SKIP_3) | instid1(VALU_DEP_2)
	v_xor3_b32 v0, v32, v4, v0
	v_mad_u64_u32 v[4:5], null, 0xcd9e8d57, v2, 0
	s_cselect_b32 s4, -1, 0
	s_add_i32 s0, s0, 1
	v_mad_u64_u32 v[6:7], null, 0xd2511f53, v0, 0
	s_and_b32 s31, s0, 3
	s_cmp_lg_u32 s26, 2
	s_delay_alu instid0(VALU_DEP_2) | instskip(SKIP_3) | instid1(VALU_DEP_3)
	v_xor3_b32 v2, v34, v5, v3
	s_cselect_b32 s33, -1, 0
	s_and_b32 s34, s0, 28
	v_mov_b32_e32 v41, v16
	v_xor3_b32 v5, v36, v7, v1
	v_mad_u64_u32 v[0:1], null, 0xd2511f53, v2, 0
	s_cmp_lg_u32 s31, 0
	s_mov_b32 s30, 0
	s_delay_alu instid0(VALU_DEP_2) | instskip(SKIP_1) | instid1(VALU_DEP_2)
	v_mad_u64_u32 v[2:3], null, 0xcd9e8d57, v5, 0
	s_cselect_b32 s35, -1, 0
	v_xor3_b32 v1, v37, v1, v6
	s_delay_alu instid0(VALU_DEP_2) | instskip(NEXT) | instid1(VALU_DEP_2)
	v_xor3_b32 v3, v33, v3, v4
	v_mad_u64_u32 v[4:5], null, 0xcd9e8d57, v1, 0
	s_delay_alu instid0(VALU_DEP_2) | instskip(NEXT) | instid1(VALU_DEP_2)
	v_mad_u64_u32 v[6:7], null, 0xd2511f53, v3, 0
	v_xor3_b32 v1, v35, v5, v2
	s_delay_alu instid0(VALU_DEP_2) | instskip(NEXT) | instid1(VALU_DEP_2)
	v_xor3_b32 v0, v38, v7, v0
	v_mad_u64_u32 v[7:8], null, 0xd2511f53, v1, 0
	s_delay_alu instid0(VALU_DEP_2) | instskip(NEXT) | instid1(VALU_DEP_2)
	v_mad_u64_u32 v[1:2], null, 0xcd9e8d57, v0, 0
	v_mov_b32_e32 v3, v7
	s_delay_alu instid0(VALU_DEP_2) | instskip(NEXT) | instid1(VALU_DEP_4)
	v_xor3_b32 v0, v2, v4, v30
	v_xor3_b32 v2, v8, v6, v39
	s_branch .LBB17_9
.LBB17_7:                               ;   in Loop: Header=BB17_9 Depth=1
	s_or_b32 exec_lo, exec_lo, s0
	s_delay_alu instid0(VALU_DEP_1)
	v_add_nc_u32_e32 v0, s20, v8
	global_store_b16 v7, v0, s[12:13]
.LBB17_8:                               ;   in Loop: Header=BB17_9 Depth=1
	s_or_b32 exec_lo, exec_lo, s36
	v_add_co_u32 v15, vcc_lo, v15, s29
	v_add_co_ci_u32_e32 v16, vcc_lo, 0, v16, vcc_lo
	v_mov_b32_e32 v7, v17
	v_dual_mov_b32 v0, v4 :: v_dual_mov_b32 v1, v5
	s_delay_alu instid0(VALU_DEP_3) | instskip(NEXT) | instid1(VALU_DEP_3)
	v_cmp_le_i64_e32 vcc_lo, s[2:3], v[15:16]
	v_dual_mov_b32 v2, v6 :: v_dual_mov_b32 v3, v7
	s_waitcnt_vscnt null, 0x0
	s_barrier
	buffer_gl0_inv
	s_or_b32 s30, vcc_lo, s30
	s_delay_alu instid0(SALU_CYCLE_1)
	s_and_not1_b32 exec_lo, exec_lo, s30
	s_cbranch_execz .LBB17_56
.LBB17_9:                               ; =>This Loop Header: Depth=1
                                        ;     Child Loop BB17_24 Depth 2
                                        ;     Child Loop BB17_29 Depth 2
	;; [unrolled: 1-line block ×4, first 2 shown]
	v_add_co_u32 v19, vcc_lo, v19, 1
	s_delay_alu instid0(VALU_DEP_1) | instskip(SKIP_2) | instid1(VALU_DEP_1)
	v_cndmask_b32_e64 v4, 0, 1, vcc_lo
	v_add_co_ci_u32_e32 v20, vcc_lo, 0, v20, vcc_lo
	s_mov_b32 s0, exec_lo
	v_cmp_eq_u32_e32 vcc_lo, 0, v20
	s_delay_alu instid0(VALU_DEP_3) | instskip(NEXT) | instid1(VALU_DEP_1)
	v_cndmask_b32_e32 v4, 0, v4, vcc_lo
	v_add_nc_u32_e32 v40, v4, v40
	s_delay_alu instid0(VALU_DEP_1) | instskip(SKIP_2) | instid1(VALU_DEP_2)
	v_cmp_eq_u32_e32 vcc_lo, 0, v40
	v_mad_u64_u32 v[6:7], null, 0xcd9e8d57, v40, 0
	v_cndmask_b32_e32 v4, 0, v4, vcc_lo
	v_xor3_b32 v9, v7, v11, v20
	s_delay_alu instid0(VALU_DEP_2) | instskip(SKIP_1) | instid1(VALU_DEP_3)
	v_add_nc_u32_e32 v41, v4, v41
	v_mad_u64_u32 v[4:5], null, 0xd2511f53, v19, 0
	v_mad_u64_u32 v[7:8], null, 0xd2511f53, v9, 0
	s_delay_alu instid0(VALU_DEP_2) | instskip(NEXT) | instid1(VALU_DEP_2)
	v_xor_b32_e32 v5, v5, v12
	v_xor3_b32 v8, v21, v8, v4
	s_delay_alu instid0(VALU_DEP_2) | instskip(NEXT) | instid1(VALU_DEP_1)
	v_xor_b32_e32 v5, v41, v5
	v_mad_u64_u32 v[9:10], null, 0xcd9e8d57, v5, 0
	s_delay_alu instid0(VALU_DEP_3) | instskip(NEXT) | instid1(VALU_DEP_2)
	v_mad_u64_u32 v[4:5], null, 0xcd9e8d57, v8, 0
	v_xor3_b32 v6, v22, v10, v6
	s_delay_alu instid0(VALU_DEP_2) | instskip(NEXT) | instid1(VALU_DEP_2)
	v_xor3_b32 v8, v23, v5, v9
	v_mad_u64_u32 v[17:18], null, 0xd2511f53, v6, 0
	s_delay_alu instid0(VALU_DEP_2) | instskip(NEXT) | instid1(VALU_DEP_2)
	v_mad_u64_u32 v[5:6], null, 0xd2511f53, v8, 0
	v_xor3_b32 v9, v24, v18, v7
	s_delay_alu instid0(VALU_DEP_2) | instskip(NEXT) | instid1(VALU_DEP_2)
	v_xor3_b32 v6, v25, v6, v17
	v_mad_u64_u32 v[7:8], null, 0xcd9e8d57, v9, 0
	s_delay_alu instid0(VALU_DEP_1) | instskip(NEXT) | instid1(VALU_DEP_3)
	v_xor3_b32 v4, v26, v8, v4
	v_mad_u64_u32 v[8:9], null, 0xcd9e8d57, v6, 0
	s_delay_alu instid0(VALU_DEP_2) | instskip(NEXT) | instid1(VALU_DEP_2)
	v_mad_u64_u32 v[17:18], null, 0xd2511f53, v4, 0
	v_xor3_b32 v6, v27, v9, v7
	s_delay_alu instid0(VALU_DEP_2) | instskip(NEXT) | instid1(VALU_DEP_2)
	v_xor3_b32 v9, v28, v18, v5
	v_mad_u64_u32 v[4:5], null, 0xd2511f53, v6, 0
	s_delay_alu instid0(VALU_DEP_2) | instskip(NEXT) | instid1(VALU_DEP_2)
	v_mad_u64_u32 v[6:7], null, 0xcd9e8d57, v9, 0
	v_xor3_b32 v5, v31, v5, v17
	s_delay_alu instid0(VALU_DEP_2) | instskip(NEXT) | instid1(VALU_DEP_2)
	;; [unrolled: 6-line block ×6, first 2 shown]
	v_xor3_b32 v4, v6, v7, v30
	v_mov_b32_e32 v6, v10
	v_cmpx_lt_i32_e32 1, v29
	s_xor_b32 s0, exec_lo, s0
	s_cbranch_execnz .LBB17_12
; %bb.10:                               ;   in Loop: Header=BB17_9 Depth=1
	s_and_not1_saveexec_b32 s0, s0
	s_cbranch_execnz .LBB17_17
.LBB17_11:                              ;   in Loop: Header=BB17_9 Depth=1
	s_or_b32 exec_lo, exec_lo, s0
	s_delay_alu instid0(SALU_CYCLE_1)
	s_mov_b32 s36, exec_lo
	v_cmpx_gt_i64_e64 s[16:17], v[15:16]
	s_cbranch_execnz .LBB17_20
	s_branch .LBB17_38
.LBB17_12:                              ;   in Loop: Header=BB17_9 Depth=1
	s_mov_b32 s1, exec_lo
	v_cmpx_lt_i32_e32 2, v29
	s_xor_b32 s1, exec_lo, s1
; %bb.13:                               ;   in Loop: Header=BB17_9 Depth=1
	v_dual_mov_b32 v7, v3 :: v_dual_mov_b32 v8, v4
	v_mov_b32_e32 v9, v5
	s_delay_alu instid0(VALU_DEP_2) | instskip(NEXT) | instid1(VALU_DEP_2)
	v_dual_mov_b32 v0, v7 :: v_dual_mov_b32 v1, v8
	v_dual_mov_b32 v2, v9 :: v_dual_mov_b32 v3, v10
; %bb.14:                               ;   in Loop: Header=BB17_9 Depth=1
	s_and_not1_saveexec_b32 s1, s1
; %bb.15:                               ;   in Loop: Header=BB17_9 Depth=1
	s_delay_alu instid0(VALU_DEP_1)
	v_dual_mov_b32 v0, v2 :: v_dual_mov_b32 v1, v3
	v_dual_mov_b32 v2, v4 :: v_dual_mov_b32 v3, v5
; %bb.16:                               ;   in Loop: Header=BB17_9 Depth=1
	s_or_b32 exec_lo, exec_lo, s1
	s_and_not1_saveexec_b32 s0, s0
	s_cbranch_execz .LBB17_11
.LBB17_17:                              ;   in Loop: Header=BB17_9 Depth=1
	s_mov_b32 s1, exec_lo
	v_cmpx_eq_u32_e32 1, v29
; %bb.18:                               ;   in Loop: Header=BB17_9 Depth=1
	v_dual_mov_b32 v0, v1 :: v_dual_mov_b32 v1, v2
	v_dual_mov_b32 v2, v3 :: v_dual_mov_b32 v3, v4
; %bb.19:                               ;   in Loop: Header=BB17_9 Depth=1
	s_or_b32 exec_lo, exec_lo, s1
	s_delay_alu instid0(SALU_CYCLE_1) | instskip(NEXT) | instid1(SALU_CYCLE_1)
	s_or_b32 exec_lo, exec_lo, s0
	s_mov_b32 s36, exec_lo
	v_cmpx_gt_i64_e64 s[16:17], v[15:16]
	s_cbranch_execz .LBB17_38
.LBB17_20:                              ;   in Loop: Header=BB17_9 Depth=1
	s_and_not1_b32 vcc_lo, exec_lo, s11
	s_cbranch_vccnz .LBB17_26
; %bb.21:                               ;   in Loop: Header=BB17_9 Depth=1
	v_mov_b32_e32 v7, 0
	s_and_not1_b32 vcc_lo, exec_lo, s21
	s_cbranch_vccnz .LBB17_30
; %bb.22:                               ;   in Loop: Header=BB17_9 Depth=1
	s_and_not1_b32 vcc_lo, exec_lo, s33
	s_mov_b32 s0, 0
	s_cbranch_vccnz .LBB17_27
; %bb.23:                               ;   in Loop: Header=BB17_9 Depth=1
	v_dual_mov_b32 v7, 0 :: v_dual_mov_b32 v8, v15
	s_mov_b32 s37, 0
	s_mov_b64 s[0:1], s[18:19]
	s_mov_b64 s[26:27], s[24:25]
.LBB17_24:                              ;   Parent Loop BB17_9 Depth=1
                                        ; =>  This Inner Loop Header: Depth=2
	s_clause 0x1
	s_load_b256 s[40:47], s[0:1], 0x4
	s_load_b128 s[48:51], s[0:1], 0x24
	s_load_b128 s[52:55], s[26:27], 0x0
	s_add_u32 s0, s0, 48
	s_addc_u32 s1, s1, 0
	s_add_i32 s37, s37, 4
	s_add_u32 s26, s26, 16
	s_addc_u32 s27, s27, 0
	s_cmp_lg_u32 s34, s37
	s_waitcnt lgkmcnt(0)
	v_mul_hi_u32 v9, s41, v8
	s_delay_alu instid0(VALU_DEP_1) | instskip(NEXT) | instid1(VALU_DEP_1)
	v_add_nc_u32_e32 v9, v8, v9
	v_lshrrev_b32_e32 v9, s42, v9
	s_delay_alu instid0(VALU_DEP_1) | instskip(SKIP_1) | instid1(VALU_DEP_2)
	v_mul_hi_u32 v10, s44, v9
	v_mul_lo_u32 v42, v9, s40
	v_add_nc_u32_e32 v10, v9, v10
	s_delay_alu instid0(VALU_DEP_2) | instskip(NEXT) | instid1(VALU_DEP_2)
	v_sub_nc_u32_e32 v42, v8, v42
	v_lshrrev_b32_e32 v10, s45, v10
	s_delay_alu instid0(VALU_DEP_2) | instskip(NEXT) | instid1(VALU_DEP_2)
	v_mul_lo_u32 v42, v42, s52
	v_mul_hi_u32 v14, s47, v10
	v_mul_lo_u32 v43, v10, s43
	s_delay_alu instid0(VALU_DEP_2) | instskip(NEXT) | instid1(VALU_DEP_2)
	v_add_nc_u32_e32 v14, v10, v14
	v_sub_nc_u32_e32 v9, v9, v43
	s_delay_alu instid0(VALU_DEP_2) | instskip(NEXT) | instid1(VALU_DEP_2)
	v_lshrrev_b32_e32 v14, s48, v14
	v_mul_lo_u32 v9, v9, s53
	s_delay_alu instid0(VALU_DEP_2) | instskip(NEXT) | instid1(VALU_DEP_2)
	v_mul_hi_u32 v18, s50, v14
	v_add3_u32 v7, v42, v7, v9
	s_delay_alu instid0(VALU_DEP_2) | instskip(NEXT) | instid1(VALU_DEP_1)
	v_add_nc_u32_e32 v18, v14, v18
	v_lshrrev_b32_e32 v8, s51, v18
	v_mul_lo_u32 v18, v14, s46
	s_delay_alu instid0(VALU_DEP_2) | instskip(NEXT) | instid1(VALU_DEP_2)
	v_mul_lo_u32 v44, v8, s49
	v_sub_nc_u32_e32 v10, v10, v18
	s_delay_alu instid0(VALU_DEP_2) | instskip(NEXT) | instid1(VALU_DEP_2)
	v_sub_nc_u32_e32 v14, v14, v44
	v_mul_lo_u32 v10, v10, s54
	s_delay_alu instid0(VALU_DEP_2) | instskip(NEXT) | instid1(VALU_DEP_1)
	v_mul_lo_u32 v14, v14, s55
	v_add3_u32 v7, v10, v7, v14
	s_cbranch_scc1 .LBB17_24
; %bb.25:                               ;   in Loop: Header=BB17_9 Depth=1
	s_mov_b32 s0, s34
	s_and_not1_b32 vcc_lo, exec_lo, s35
	s_cbranch_vccz .LBB17_28
	s_branch .LBB17_30
.LBB17_26:                              ;   in Loop: Header=BB17_9 Depth=1
                                        ; implicit-def: $vgpr7
	s_branch .LBB17_31
.LBB17_27:                              ;   in Loop: Header=BB17_9 Depth=1
	v_mov_b32_e32 v8, v15
	s_and_not1_b32 vcc_lo, exec_lo, s35
	s_cbranch_vccnz .LBB17_30
.LBB17_28:                              ;   in Loop: Header=BB17_9 Depth=1
	s_lshl_b32 s1, s0, 2
	s_mul_i32 s26, s0, 12
	s_add_u32 s0, s24, s1
	s_addc_u32 s1, s25, 0
	s_add_u32 s26, s18, s26
	s_addc_u32 s27, s19, 0
	s_mov_b32 s37, s31
	.p2align	6
.LBB17_29:                              ;   Parent Loop BB17_9 Depth=1
                                        ; =>  This Inner Loop Header: Depth=2
	s_clause 0x1
	s_load_b64 s[38:39], s[26:27], 0x4
	s_load_b32 s40, s[26:27], 0xc
	s_add_u32 s26, s26, 12
	s_addc_u32 s27, s27, 0
	s_waitcnt lgkmcnt(0)
	v_mul_hi_u32 v9, s39, v8
	s_load_b32 s39, s[0:1], 0x0
	s_add_u32 s0, s0, 4
	s_addc_u32 s1, s1, 0
	s_add_i32 s37, s37, -1
	s_delay_alu instid0(SALU_CYCLE_1) | instskip(NEXT) | instid1(VALU_DEP_1)
	s_cmp_lg_u32 s37, 0
	v_add_nc_u32_e32 v9, v8, v9
	s_delay_alu instid0(VALU_DEP_1) | instskip(NEXT) | instid1(VALU_DEP_1)
	v_lshrrev_b32_e32 v14, s40, v9
	v_mul_lo_u32 v9, v14, s38
	s_delay_alu instid0(VALU_DEP_1) | instskip(SKIP_1) | instid1(VALU_DEP_1)
	v_sub_nc_u32_e32 v8, v8, v9
	s_waitcnt lgkmcnt(0)
	v_mad_u64_u32 v[9:10], null, v8, s39, v[7:8]
	s_delay_alu instid0(VALU_DEP_1)
	v_dual_mov_b32 v8, v14 :: v_dual_mov_b32 v7, v9
	s_cbranch_scc1 .LBB17_29
.LBB17_30:                              ;   in Loop: Header=BB17_9 Depth=1
	s_cbranch_execnz .LBB17_33
.LBB17_31:                              ;   in Loop: Header=BB17_9 Depth=1
	v_mul_hi_u32 v7, v15, s6
	s_and_not1_b32 vcc_lo, exec_lo, s4
	s_delay_alu instid0(VALU_DEP_1) | instskip(NEXT) | instid1(VALU_DEP_1)
	v_add_nc_u32_e32 v7, v7, v15
	v_lshrrev_b32_e32 v8, s7, v7
	s_delay_alu instid0(VALU_DEP_1) | instskip(NEXT) | instid1(VALU_DEP_1)
	v_mul_lo_u32 v7, v8, s5
	v_sub_nc_u32_e32 v7, v15, v7
	s_delay_alu instid0(VALU_DEP_1)
	v_mul_lo_u32 v7, v7, s22
	s_cbranch_vccnz .LBB17_33
; %bb.32:                               ;   in Loop: Header=BB17_9 Depth=1
	v_mul_hi_u32 v9, s9, v8
	s_delay_alu instid0(VALU_DEP_1) | instskip(NEXT) | instid1(VALU_DEP_1)
	v_add_nc_u32_e32 v9, v8, v9
	v_lshrrev_b32_e32 v9, s10, v9
	s_delay_alu instid0(VALU_DEP_1) | instskip(NEXT) | instid1(VALU_DEP_1)
	v_mul_lo_u32 v9, v9, s8
	v_sub_nc_u32_e32 v10, v8, v9
	s_delay_alu instid0(VALU_DEP_1) | instskip(NEXT) | instid1(VALU_DEP_1)
	v_mad_u64_u32 v[8:9], null, v10, s23, v[7:8]
	v_mov_b32_e32 v7, v8
.LBB17_33:                              ;   in Loop: Header=BB17_9 Depth=1
	v_or_b32_e32 v14, s15, v0
                                        ; implicit-def: $vgpr8_vgpr9
	s_mov_b32 s0, exec_lo
	s_delay_alu instid0(VALU_DEP_1)
	v_cmpx_ne_u64_e32 0, v[13:14]
	s_xor_b32 s1, exec_lo, s0
	s_cbranch_execz .LBB17_35
; %bb.34:                               ;   in Loop: Header=BB17_9 Depth=1
	v_cvt_f32_u32_e32 v8, s14
	v_cvt_f32_u32_e32 v9, s15
	s_sub_u32 s0, 0, s14
	s_subb_u32 s26, 0, s15
	s_delay_alu instid0(VALU_DEP_1) | instskip(NEXT) | instid1(VALU_DEP_1)
	v_fmac_f32_e32 v8, 0x4f800000, v9
	v_rcp_f32_e32 v8, v8
	s_waitcnt_depctr 0xfff
	v_mul_f32_e32 v8, 0x5f7ffffc, v8
	s_delay_alu instid0(VALU_DEP_1) | instskip(NEXT) | instid1(VALU_DEP_1)
	v_mul_f32_e32 v9, 0x2f800000, v8
	v_trunc_f32_e32 v9, v9
	s_delay_alu instid0(VALU_DEP_1) | instskip(SKIP_1) | instid1(VALU_DEP_2)
	v_fmac_f32_e32 v8, 0xcf800000, v9
	v_cvt_u32_f32_e32 v9, v9
	v_cvt_u32_f32_e32 v8, v8
	s_delay_alu instid0(VALU_DEP_2) | instskip(NEXT) | instid1(VALU_DEP_2)
	v_mul_lo_u32 v10, s0, v9
	v_mul_hi_u32 v14, s0, v8
	v_mul_lo_u32 v18, s26, v8
	s_delay_alu instid0(VALU_DEP_2) | instskip(SKIP_1) | instid1(VALU_DEP_2)
	v_add_nc_u32_e32 v10, v14, v10
	v_mul_lo_u32 v14, s0, v8
	v_add_nc_u32_e32 v10, v10, v18
	s_delay_alu instid0(VALU_DEP_2) | instskip(NEXT) | instid1(VALU_DEP_2)
	v_mul_hi_u32 v18, v8, v14
	v_mul_lo_u32 v42, v8, v10
	v_mul_hi_u32 v43, v8, v10
	v_mul_hi_u32 v44, v9, v14
	v_mul_lo_u32 v14, v9, v14
	v_mul_hi_u32 v45, v9, v10
	v_mul_lo_u32 v10, v9, v10
	v_add_co_u32 v18, vcc_lo, v18, v42
	v_add_co_ci_u32_e32 v42, vcc_lo, 0, v43, vcc_lo
	s_delay_alu instid0(VALU_DEP_2) | instskip(NEXT) | instid1(VALU_DEP_2)
	v_add_co_u32 v14, vcc_lo, v18, v14
	v_add_co_ci_u32_e32 v14, vcc_lo, v42, v44, vcc_lo
	v_add_co_ci_u32_e32 v18, vcc_lo, 0, v45, vcc_lo
	s_delay_alu instid0(VALU_DEP_2) | instskip(NEXT) | instid1(VALU_DEP_2)
	v_add_co_u32 v10, vcc_lo, v14, v10
	v_add_co_ci_u32_e32 v14, vcc_lo, 0, v18, vcc_lo
	s_delay_alu instid0(VALU_DEP_2) | instskip(NEXT) | instid1(VALU_DEP_2)
	v_add_co_u32 v8, vcc_lo, v8, v10
	v_add_co_ci_u32_e32 v9, vcc_lo, v9, v14, vcc_lo
	s_delay_alu instid0(VALU_DEP_2) | instskip(SKIP_1) | instid1(VALU_DEP_3)
	v_mul_hi_u32 v10, s0, v8
	v_mul_lo_u32 v18, s26, v8
	v_mul_lo_u32 v14, s0, v9
	s_delay_alu instid0(VALU_DEP_1) | instskip(SKIP_1) | instid1(VALU_DEP_2)
	v_add_nc_u32_e32 v10, v10, v14
	v_mul_lo_u32 v14, s0, v8
	v_add_nc_u32_e32 v10, v10, v18
	s_delay_alu instid0(VALU_DEP_2) | instskip(NEXT) | instid1(VALU_DEP_2)
	v_mul_hi_u32 v18, v8, v14
	v_mul_lo_u32 v42, v8, v10
	v_mul_hi_u32 v43, v8, v10
	v_mul_hi_u32 v44, v9, v14
	v_mul_lo_u32 v14, v9, v14
	v_mul_hi_u32 v45, v9, v10
	v_mul_lo_u32 v10, v9, v10
	v_add_co_u32 v18, vcc_lo, v18, v42
	v_add_co_ci_u32_e32 v42, vcc_lo, 0, v43, vcc_lo
	s_delay_alu instid0(VALU_DEP_2) | instskip(NEXT) | instid1(VALU_DEP_2)
	v_add_co_u32 v14, vcc_lo, v18, v14
	v_add_co_ci_u32_e32 v14, vcc_lo, v42, v44, vcc_lo
	v_add_co_ci_u32_e32 v18, vcc_lo, 0, v45, vcc_lo
	s_delay_alu instid0(VALU_DEP_2) | instskip(NEXT) | instid1(VALU_DEP_2)
	v_add_co_u32 v10, vcc_lo, v14, v10
	v_add_co_ci_u32_e32 v14, vcc_lo, 0, v18, vcc_lo
	s_delay_alu instid0(VALU_DEP_2) | instskip(NEXT) | instid1(VALU_DEP_2)
	v_add_co_u32 v10, vcc_lo, v8, v10
	v_add_co_ci_u32_e32 v14, vcc_lo, v9, v14, vcc_lo
	s_delay_alu instid0(VALU_DEP_2) | instskip(SKIP_1) | instid1(VALU_DEP_3)
	v_mul_hi_u32 v18, v1, v10
	v_mad_u64_u32 v[42:43], null, v0, v10, 0
	v_mad_u64_u32 v[8:9], null, v1, v14, 0
	;; [unrolled: 1-line block ×3, first 2 shown]
	s_delay_alu instid0(VALU_DEP_2) | instskip(NEXT) | instid1(VALU_DEP_3)
	v_add_co_u32 v8, vcc_lo, v18, v8
	v_add_co_ci_u32_e32 v9, vcc_lo, 0, v9, vcc_lo
	s_delay_alu instid0(VALU_DEP_2) | instskip(NEXT) | instid1(VALU_DEP_2)
	v_add_co_u32 v8, vcc_lo, v8, v42
	v_add_co_ci_u32_e32 v8, vcc_lo, v9, v43, vcc_lo
	v_add_co_ci_u32_e32 v9, vcc_lo, 0, v45, vcc_lo
	s_delay_alu instid0(VALU_DEP_2) | instskip(NEXT) | instid1(VALU_DEP_2)
	v_add_co_u32 v10, vcc_lo, v8, v44
	v_add_co_ci_u32_e32 v14, vcc_lo, 0, v9, vcc_lo
	s_delay_alu instid0(VALU_DEP_2) | instskip(SKIP_1) | instid1(VALU_DEP_3)
	v_mul_lo_u32 v18, s15, v10
	v_mad_u64_u32 v[8:9], null, s14, v10, 0
	v_mul_lo_u32 v10, s14, v14
	s_delay_alu instid0(VALU_DEP_2) | instskip(NEXT) | instid1(VALU_DEP_2)
	v_sub_co_u32 v8, vcc_lo, v1, v8
	v_add3_u32 v9, v9, v10, v18
	s_delay_alu instid0(VALU_DEP_1) | instskip(NEXT) | instid1(VALU_DEP_1)
	v_sub_nc_u32_e32 v10, v0, v9
	v_subrev_co_ci_u32_e64 v10, s0, s15, v10, vcc_lo
	s_delay_alu instid0(VALU_DEP_4) | instskip(SKIP_1) | instid1(VALU_DEP_3)
	v_sub_co_u32 v14, s0, v8, s14
	v_sub_co_ci_u32_e32 v0, vcc_lo, v0, v9, vcc_lo
	v_subrev_co_ci_u32_e64 v10, s0, 0, v10, s0
	s_delay_alu instid0(VALU_DEP_3) | instskip(SKIP_1) | instid1(VALU_DEP_3)
	v_cmp_le_u32_e32 vcc_lo, s14, v14
	v_cndmask_b32_e64 v9, 0, -1, vcc_lo
	v_cmp_le_u32_e32 vcc_lo, s15, v10
	v_cndmask_b32_e64 v18, 0, -1, vcc_lo
	;; [unrolled: 2-line block ×4, first 2 shown]
	v_cmp_eq_u32_e32 vcc_lo, s15, v10
	v_cndmask_b32_e32 v9, v18, v9, vcc_lo
	v_sub_co_u32 v10, vcc_lo, v14, s14
	v_cmp_eq_u32_e32 vcc_lo, s15, v0
	v_cndmask_b32_e32 v0, v43, v42, vcc_lo
	s_delay_alu instid0(VALU_DEP_4) | instskip(NEXT) | instid1(VALU_DEP_4)
	v_cmp_ne_u32_e32 vcc_lo, 0, v9
	v_cndmask_b32_e32 v9, v14, v10, vcc_lo
	s_delay_alu instid0(VALU_DEP_3) | instskip(NEXT) | instid1(VALU_DEP_2)
	v_cmp_ne_u32_e32 vcc_lo, 0, v0
	v_cndmask_b32_e32 v8, v8, v9, vcc_lo
.LBB17_35:                              ;   in Loop: Header=BB17_9 Depth=1
	s_and_not1_saveexec_b32 s0, s1
	s_cbranch_execz .LBB17_37
; %bb.36:                               ;   in Loop: Header=BB17_9 Depth=1
	v_cvt_f32_u32_e32 v0, s14
	s_sub_i32 s1, 0, s14
	s_delay_alu instid0(VALU_DEP_1) | instskip(SKIP_2) | instid1(VALU_DEP_1)
	v_rcp_iflag_f32_e32 v0, v0
	s_waitcnt_depctr 0xfff
	v_mul_f32_e32 v0, 0x4f7ffffe, v0
	v_cvt_u32_f32_e32 v0, v0
	s_delay_alu instid0(VALU_DEP_1) | instskip(NEXT) | instid1(VALU_DEP_1)
	v_mul_lo_u32 v8, s1, v0
	v_mul_hi_u32 v8, v0, v8
	s_delay_alu instid0(VALU_DEP_1) | instskip(NEXT) | instid1(VALU_DEP_1)
	v_add_nc_u32_e32 v0, v0, v8
	v_mul_hi_u32 v0, v1, v0
	s_delay_alu instid0(VALU_DEP_1) | instskip(NEXT) | instid1(VALU_DEP_1)
	v_mul_lo_u32 v0, v0, s14
	v_sub_nc_u32_e32 v0, v1, v0
	s_delay_alu instid0(VALU_DEP_1) | instskip(SKIP_1) | instid1(VALU_DEP_2)
	v_subrev_nc_u32_e32 v1, s14, v0
	v_cmp_le_u32_e32 vcc_lo, s14, v0
	v_cndmask_b32_e32 v0, v0, v1, vcc_lo
	s_delay_alu instid0(VALU_DEP_1) | instskip(SKIP_1) | instid1(VALU_DEP_2)
	v_subrev_nc_u32_e32 v1, s14, v0
	v_cmp_le_u32_e32 vcc_lo, s14, v0
	v_cndmask_b32_e32 v8, v0, v1, vcc_lo
.LBB17_37:                              ;   in Loop: Header=BB17_9 Depth=1
	s_or_b32 exec_lo, exec_lo, s0
	s_delay_alu instid0(VALU_DEP_1)
	v_add_nc_u32_e32 v0, s20, v8
	global_store_b16 v7, v0, s[12:13]
.LBB17_38:                              ;   in Loop: Header=BB17_9 Depth=1
	s_or_b32 exec_lo, exec_lo, s36
	v_add_co_u32 v0, vcc_lo, v15, s28
	v_add_co_ci_u32_e32 v1, vcc_lo, 0, v16, vcc_lo
	s_mov_b32 s36, exec_lo
	s_delay_alu instid0(VALU_DEP_1)
	v_cmpx_gt_i64_e64 s[16:17], v[0:1]
	s_cbranch_execz .LBB17_8
; %bb.39:                               ;   in Loop: Header=BB17_9 Depth=1
	s_and_not1_b32 vcc_lo, exec_lo, s11
	s_cbranch_vccnz .LBB17_45
; %bb.40:                               ;   in Loop: Header=BB17_9 Depth=1
	v_mov_b32_e32 v7, 0
	s_and_not1_b32 vcc_lo, exec_lo, s21
	s_cbranch_vccnz .LBB17_49
; %bb.41:                               ;   in Loop: Header=BB17_9 Depth=1
	s_and_not1_b32 vcc_lo, exec_lo, s33
	s_mov_b32 s0, 0
	s_cbranch_vccnz .LBB17_46
; %bb.42:                               ;   in Loop: Header=BB17_9 Depth=1
	v_mov_b32_e32 v7, 0
	v_mov_b32_e32 v1, v0
	s_mov_b32 s37, 0
	s_mov_b64 s[0:1], s[18:19]
	s_mov_b64 s[26:27], s[24:25]
.LBB17_43:                              ;   Parent Loop BB17_9 Depth=1
                                        ; =>  This Inner Loop Header: Depth=2
	s_clause 0x1
	s_load_b256 s[40:47], s[0:1], 0x4
	s_load_b128 s[48:51], s[0:1], 0x24
	s_load_b128 s[52:55], s[26:27], 0x0
	s_add_u32 s0, s0, 48
	s_addc_u32 s1, s1, 0
	s_add_i32 s37, s37, 4
	s_add_u32 s26, s26, 16
	s_addc_u32 s27, s27, 0
	s_cmp_eq_u32 s34, s37
	s_waitcnt lgkmcnt(0)
	v_mul_hi_u32 v8, s41, v1
	s_delay_alu instid0(VALU_DEP_1) | instskip(NEXT) | instid1(VALU_DEP_1)
	v_add_nc_u32_e32 v8, v1, v8
	v_lshrrev_b32_e32 v8, s42, v8
	s_delay_alu instid0(VALU_DEP_1) | instskip(SKIP_1) | instid1(VALU_DEP_2)
	v_mul_hi_u32 v9, s44, v8
	v_mul_lo_u32 v18, v8, s40
	v_add_nc_u32_e32 v9, v8, v9
	s_delay_alu instid0(VALU_DEP_2) | instskip(NEXT) | instid1(VALU_DEP_2)
	v_sub_nc_u32_e32 v18, v1, v18
	v_lshrrev_b32_e32 v9, s45, v9
	s_delay_alu instid0(VALU_DEP_2) | instskip(NEXT) | instid1(VALU_DEP_2)
	v_mul_lo_u32 v18, v18, s52
	v_mul_hi_u32 v10, s47, v9
	v_mul_lo_u32 v42, v9, s43
	s_delay_alu instid0(VALU_DEP_2) | instskip(NEXT) | instid1(VALU_DEP_2)
	v_add_nc_u32_e32 v10, v9, v10
	v_sub_nc_u32_e32 v8, v8, v42
	s_delay_alu instid0(VALU_DEP_2) | instskip(NEXT) | instid1(VALU_DEP_2)
	v_lshrrev_b32_e32 v10, s48, v10
	v_mul_lo_u32 v8, v8, s53
	s_delay_alu instid0(VALU_DEP_2) | instskip(NEXT) | instid1(VALU_DEP_2)
	v_mul_hi_u32 v14, s50, v10
	v_add3_u32 v7, v18, v7, v8
	s_delay_alu instid0(VALU_DEP_2) | instskip(NEXT) | instid1(VALU_DEP_1)
	v_add_nc_u32_e32 v14, v10, v14
	v_lshrrev_b32_e32 v1, s51, v14
	v_mul_lo_u32 v14, v10, s46
	s_delay_alu instid0(VALU_DEP_2) | instskip(NEXT) | instid1(VALU_DEP_2)
	v_mul_lo_u32 v43, v1, s49
	v_sub_nc_u32_e32 v9, v9, v14
	s_delay_alu instid0(VALU_DEP_2) | instskip(NEXT) | instid1(VALU_DEP_2)
	v_sub_nc_u32_e32 v10, v10, v43
	v_mul_lo_u32 v9, v9, s54
	s_delay_alu instid0(VALU_DEP_2) | instskip(NEXT) | instid1(VALU_DEP_1)
	v_mul_lo_u32 v10, v10, s55
	v_add3_u32 v7, v9, v7, v10
	s_cbranch_scc0 .LBB17_43
; %bb.44:                               ;   in Loop: Header=BB17_9 Depth=1
	s_mov_b32 s0, s34
	s_and_not1_b32 vcc_lo, exec_lo, s35
	s_cbranch_vccz .LBB17_47
	s_branch .LBB17_49
.LBB17_45:                              ;   in Loop: Header=BB17_9 Depth=1
                                        ; implicit-def: $vgpr7
	s_branch .LBB17_50
.LBB17_46:                              ;   in Loop: Header=BB17_9 Depth=1
	v_mov_b32_e32 v1, v0
	s_and_not1_b32 vcc_lo, exec_lo, s35
	s_cbranch_vccnz .LBB17_49
.LBB17_47:                              ;   in Loop: Header=BB17_9 Depth=1
	s_lshl_b32 s1, s0, 2
	s_mul_i32 s26, s0, 12
	s_add_u32 s0, s24, s1
	s_addc_u32 s1, s25, 0
	s_add_u32 s26, s18, s26
	s_addc_u32 s27, s19, 0
	s_mov_b32 s37, s31
	.p2align	6
.LBB17_48:                              ;   Parent Loop BB17_9 Depth=1
                                        ; =>  This Inner Loop Header: Depth=2
	s_clause 0x1
	s_load_b64 s[38:39], s[26:27], 0x4
	s_load_b32 s40, s[26:27], 0xc
	s_add_u32 s26, s26, 12
	s_addc_u32 s27, s27, 0
	s_waitcnt lgkmcnt(0)
	v_mul_hi_u32 v8, s39, v1
	s_load_b32 s39, s[0:1], 0x0
	s_add_u32 s0, s0, 4
	s_addc_u32 s1, s1, 0
	s_add_i32 s37, s37, -1
	s_delay_alu instid0(SALU_CYCLE_1) | instskip(NEXT) | instid1(VALU_DEP_1)
	s_cmp_lg_u32 s37, 0
	v_add_nc_u32_e32 v8, v1, v8
	s_delay_alu instid0(VALU_DEP_1) | instskip(NEXT) | instid1(VALU_DEP_1)
	v_lshrrev_b32_e32 v10, s40, v8
	v_mul_lo_u32 v8, v10, s38
	s_delay_alu instid0(VALU_DEP_1) | instskip(SKIP_1) | instid1(VALU_DEP_1)
	v_sub_nc_u32_e32 v1, v1, v8
	s_waitcnt lgkmcnt(0)
	v_mad_u64_u32 v[8:9], null, v1, s39, v[7:8]
	v_mov_b32_e32 v1, v10
	s_delay_alu instid0(VALU_DEP_2)
	v_mov_b32_e32 v7, v8
	s_cbranch_scc1 .LBB17_48
.LBB17_49:                              ;   in Loop: Header=BB17_9 Depth=1
	s_cbranch_execnz .LBB17_52
.LBB17_50:                              ;   in Loop: Header=BB17_9 Depth=1
	v_mul_hi_u32 v1, v0, s6
	s_and_not1_b32 vcc_lo, exec_lo, s4
	s_delay_alu instid0(VALU_DEP_1) | instskip(NEXT) | instid1(VALU_DEP_1)
	v_add_nc_u32_e32 v1, v1, v0
	v_lshrrev_b32_e32 v1, s7, v1
	s_delay_alu instid0(VALU_DEP_1) | instskip(NEXT) | instid1(VALU_DEP_1)
	v_mul_lo_u32 v7, v1, s5
	v_sub_nc_u32_e32 v0, v0, v7
	s_delay_alu instid0(VALU_DEP_1)
	v_mul_lo_u32 v7, v0, s22
	s_cbranch_vccnz .LBB17_52
; %bb.51:                               ;   in Loop: Header=BB17_9 Depth=1
	v_mul_hi_u32 v0, s9, v1
	s_delay_alu instid0(VALU_DEP_1) | instskip(NEXT) | instid1(VALU_DEP_1)
	v_add_nc_u32_e32 v0, v1, v0
	v_lshrrev_b32_e32 v0, s10, v0
	s_delay_alu instid0(VALU_DEP_1) | instskip(NEXT) | instid1(VALU_DEP_1)
	v_mul_lo_u32 v0, v0, s8
	v_sub_nc_u32_e32 v8, v1, v0
	s_delay_alu instid0(VALU_DEP_1) | instskip(NEXT) | instid1(VALU_DEP_1)
	v_mad_u64_u32 v[0:1], null, v8, s23, v[7:8]
	v_mov_b32_e32 v7, v0
.LBB17_52:                              ;   in Loop: Header=BB17_9 Depth=1
	v_or_b32_e32 v14, s15, v2
                                        ; implicit-def: $vgpr8_vgpr9
	s_mov_b32 s0, exec_lo
	s_delay_alu instid0(VALU_DEP_1)
	v_cmpx_ne_u64_e32 0, v[13:14]
	s_xor_b32 s1, exec_lo, s0
	s_cbranch_execz .LBB17_54
; %bb.53:                               ;   in Loop: Header=BB17_9 Depth=1
	v_cvt_f32_u32_e32 v0, s14
	v_cvt_f32_u32_e32 v1, s15
	s_sub_u32 s0, 0, s14
	s_subb_u32 s26, 0, s15
	s_delay_alu instid0(VALU_DEP_1) | instskip(NEXT) | instid1(VALU_DEP_1)
	v_fmac_f32_e32 v0, 0x4f800000, v1
	v_rcp_f32_e32 v0, v0
	s_waitcnt_depctr 0xfff
	v_mul_f32_e32 v0, 0x5f7ffffc, v0
	s_delay_alu instid0(VALU_DEP_1) | instskip(NEXT) | instid1(VALU_DEP_1)
	v_mul_f32_e32 v1, 0x2f800000, v0
	v_trunc_f32_e32 v1, v1
	s_delay_alu instid0(VALU_DEP_1) | instskip(SKIP_1) | instid1(VALU_DEP_2)
	v_fmac_f32_e32 v0, 0xcf800000, v1
	v_cvt_u32_f32_e32 v1, v1
	v_cvt_u32_f32_e32 v0, v0
	s_delay_alu instid0(VALU_DEP_2) | instskip(NEXT) | instid1(VALU_DEP_2)
	v_mul_lo_u32 v8, s0, v1
	v_mul_hi_u32 v9, s0, v0
	v_mul_lo_u32 v10, s26, v0
	s_delay_alu instid0(VALU_DEP_2) | instskip(SKIP_1) | instid1(VALU_DEP_2)
	v_add_nc_u32_e32 v8, v9, v8
	v_mul_lo_u32 v9, s0, v0
	v_add_nc_u32_e32 v8, v8, v10
	s_delay_alu instid0(VALU_DEP_2) | instskip(NEXT) | instid1(VALU_DEP_2)
	v_mul_hi_u32 v10, v0, v9
	v_mul_lo_u32 v14, v0, v8
	v_mul_hi_u32 v18, v0, v8
	v_mul_hi_u32 v42, v1, v9
	v_mul_lo_u32 v9, v1, v9
	v_mul_hi_u32 v43, v1, v8
	v_mul_lo_u32 v8, v1, v8
	v_add_co_u32 v10, vcc_lo, v10, v14
	v_add_co_ci_u32_e32 v14, vcc_lo, 0, v18, vcc_lo
	s_delay_alu instid0(VALU_DEP_2) | instskip(NEXT) | instid1(VALU_DEP_2)
	v_add_co_u32 v9, vcc_lo, v10, v9
	v_add_co_ci_u32_e32 v9, vcc_lo, v14, v42, vcc_lo
	v_add_co_ci_u32_e32 v10, vcc_lo, 0, v43, vcc_lo
	s_delay_alu instid0(VALU_DEP_2) | instskip(NEXT) | instid1(VALU_DEP_2)
	v_add_co_u32 v8, vcc_lo, v9, v8
	v_add_co_ci_u32_e32 v9, vcc_lo, 0, v10, vcc_lo
	s_delay_alu instid0(VALU_DEP_2) | instskip(NEXT) | instid1(VALU_DEP_2)
	v_add_co_u32 v0, vcc_lo, v0, v8
	v_add_co_ci_u32_e32 v1, vcc_lo, v1, v9, vcc_lo
	s_delay_alu instid0(VALU_DEP_2) | instskip(SKIP_1) | instid1(VALU_DEP_3)
	v_mul_hi_u32 v8, s0, v0
	v_mul_lo_u32 v10, s26, v0
	v_mul_lo_u32 v9, s0, v1
	s_delay_alu instid0(VALU_DEP_1) | instskip(SKIP_1) | instid1(VALU_DEP_2)
	v_add_nc_u32_e32 v8, v8, v9
	v_mul_lo_u32 v9, s0, v0
	v_add_nc_u32_e32 v8, v8, v10
	s_delay_alu instid0(VALU_DEP_2) | instskip(NEXT) | instid1(VALU_DEP_2)
	v_mul_hi_u32 v10, v0, v9
	v_mul_lo_u32 v14, v0, v8
	v_mul_hi_u32 v18, v0, v8
	v_mul_hi_u32 v42, v1, v9
	v_mul_lo_u32 v9, v1, v9
	v_mul_hi_u32 v43, v1, v8
	v_mul_lo_u32 v8, v1, v8
	v_add_co_u32 v10, vcc_lo, v10, v14
	v_add_co_ci_u32_e32 v14, vcc_lo, 0, v18, vcc_lo
	s_delay_alu instid0(VALU_DEP_2) | instskip(NEXT) | instid1(VALU_DEP_2)
	v_add_co_u32 v9, vcc_lo, v10, v9
	v_add_co_ci_u32_e32 v9, vcc_lo, v14, v42, vcc_lo
	v_add_co_ci_u32_e32 v10, vcc_lo, 0, v43, vcc_lo
	s_delay_alu instid0(VALU_DEP_2) | instskip(NEXT) | instid1(VALU_DEP_2)
	v_add_co_u32 v8, vcc_lo, v9, v8
	v_add_co_ci_u32_e32 v9, vcc_lo, 0, v10, vcc_lo
	s_delay_alu instid0(VALU_DEP_2) | instskip(NEXT) | instid1(VALU_DEP_2)
	v_add_co_u32 v10, vcc_lo, v0, v8
	v_add_co_ci_u32_e32 v14, vcc_lo, v1, v9, vcc_lo
	s_delay_alu instid0(VALU_DEP_2) | instskip(SKIP_1) | instid1(VALU_DEP_3)
	v_mul_hi_u32 v18, v3, v10
	v_mad_u64_u32 v[8:9], null, v2, v10, 0
	v_mad_u64_u32 v[0:1], null, v3, v14, 0
	v_mad_u64_u32 v[42:43], null, v2, v14, 0
	s_delay_alu instid0(VALU_DEP_2) | instskip(NEXT) | instid1(VALU_DEP_3)
	v_add_co_u32 v0, vcc_lo, v18, v0
	v_add_co_ci_u32_e32 v1, vcc_lo, 0, v1, vcc_lo
	s_delay_alu instid0(VALU_DEP_2) | instskip(NEXT) | instid1(VALU_DEP_2)
	v_add_co_u32 v0, vcc_lo, v0, v8
	v_add_co_ci_u32_e32 v0, vcc_lo, v1, v9, vcc_lo
	v_add_co_ci_u32_e32 v1, vcc_lo, 0, v43, vcc_lo
	s_delay_alu instid0(VALU_DEP_2) | instskip(NEXT) | instid1(VALU_DEP_2)
	v_add_co_u32 v8, vcc_lo, v0, v42
	v_add_co_ci_u32_e32 v9, vcc_lo, 0, v1, vcc_lo
	s_delay_alu instid0(VALU_DEP_2) | instskip(SKIP_1) | instid1(VALU_DEP_3)
	v_mul_lo_u32 v10, s15, v8
	v_mad_u64_u32 v[0:1], null, s14, v8, 0
	v_mul_lo_u32 v8, s14, v9
	s_delay_alu instid0(VALU_DEP_2) | instskip(NEXT) | instid1(VALU_DEP_2)
	v_sub_co_u32 v0, vcc_lo, v3, v0
	v_add3_u32 v1, v1, v8, v10
	s_delay_alu instid0(VALU_DEP_1) | instskip(NEXT) | instid1(VALU_DEP_1)
	v_sub_nc_u32_e32 v8, v2, v1
	v_subrev_co_ci_u32_e64 v3, s0, s15, v8, vcc_lo
	s_delay_alu instid0(VALU_DEP_4) | instskip(SKIP_1) | instid1(VALU_DEP_3)
	v_sub_co_u32 v8, s0, v0, s14
	v_sub_co_ci_u32_e32 v1, vcc_lo, v2, v1, vcc_lo
	v_subrev_co_ci_u32_e64 v3, s0, 0, v3, s0
	s_delay_alu instid0(VALU_DEP_3) | instskip(SKIP_1) | instid1(VALU_DEP_3)
	v_cmp_le_u32_e32 vcc_lo, s14, v8
	v_cndmask_b32_e64 v2, 0, -1, vcc_lo
	v_cmp_le_u32_e32 vcc_lo, s15, v3
	v_cndmask_b32_e64 v9, 0, -1, vcc_lo
	;; [unrolled: 2-line block ×4, first 2 shown]
	v_cmp_eq_u32_e32 vcc_lo, s15, v3
	v_cndmask_b32_e32 v2, v9, v2, vcc_lo
	v_sub_co_u32 v3, vcc_lo, v8, s14
	v_cmp_eq_u32_e32 vcc_lo, s15, v1
	v_cndmask_b32_e32 v1, v14, v10, vcc_lo
	s_delay_alu instid0(VALU_DEP_4) | instskip(NEXT) | instid1(VALU_DEP_4)
	v_cmp_ne_u32_e32 vcc_lo, 0, v2
	v_cndmask_b32_e32 v2, v8, v3, vcc_lo
	s_delay_alu instid0(VALU_DEP_3) | instskip(NEXT) | instid1(VALU_DEP_2)
	v_cmp_ne_u32_e32 vcc_lo, 0, v1
	v_cndmask_b32_e32 v8, v0, v2, vcc_lo
                                        ; implicit-def: $vgpr0_vgpr1_vgpr2_vgpr3
.LBB17_54:                              ;   in Loop: Header=BB17_9 Depth=1
	s_and_not1_saveexec_b32 s0, s1
	s_cbranch_execz .LBB17_7
; %bb.55:                               ;   in Loop: Header=BB17_9 Depth=1
	v_cvt_f32_u32_e32 v0, s14
	s_sub_i32 s1, 0, s14
	s_delay_alu instid0(VALU_DEP_1) | instskip(SKIP_2) | instid1(VALU_DEP_1)
	v_rcp_iflag_f32_e32 v0, v0
	s_waitcnt_depctr 0xfff
	v_mul_f32_e32 v0, 0x4f7ffffe, v0
	v_cvt_u32_f32_e32 v0, v0
	s_delay_alu instid0(VALU_DEP_1) | instskip(NEXT) | instid1(VALU_DEP_1)
	v_mul_lo_u32 v1, s1, v0
	v_mul_hi_u32 v1, v0, v1
	s_delay_alu instid0(VALU_DEP_1) | instskip(NEXT) | instid1(VALU_DEP_1)
	v_add_nc_u32_e32 v0, v0, v1
	v_mul_hi_u32 v0, v3, v0
	s_delay_alu instid0(VALU_DEP_1) | instskip(NEXT) | instid1(VALU_DEP_1)
	v_mul_lo_u32 v0, v0, s14
	v_sub_nc_u32_e32 v0, v3, v0
	s_delay_alu instid0(VALU_DEP_1) | instskip(SKIP_1) | instid1(VALU_DEP_2)
	v_subrev_nc_u32_e32 v1, s14, v0
	v_cmp_le_u32_e32 vcc_lo, s14, v0
	v_cndmask_b32_e32 v0, v0, v1, vcc_lo
	s_delay_alu instid0(VALU_DEP_1) | instskip(SKIP_1) | instid1(VALU_DEP_2)
	v_subrev_nc_u32_e32 v1, s14, v0
	v_cmp_le_u32_e32 vcc_lo, s14, v0
	v_cndmask_b32_e32 v8, v0, v1, vcc_lo
	s_branch .LBB17_7
.LBB17_56:
	s_endpgm
.LBB17_57:
                                        ; implicit-def: $sgpr2_sgpr3
	s_branch .LBB17_4
	.section	.rodata,"a",@progbits
	.p2align	6, 0x0
	.amdhsa_kernel _ZN2at6native12_GLOBAL__N_143distribution_elementwise_grid_stride_kernelImLi2EZZZNS0_9templates4cuda21random_from_to_kernelIPNS_17CUDAGeneratorImplEEEvRNS_18TensorIteratorBaseEmlT_ENKUlvE_clEvENKUlvE3_clEvEUlP25hiprandStatePhilox4_32_10E_ZNS1_27distribution_nullary_kernelIsm15HIP_vector_typeIyLj2EES7_SF_ZZZNS5_IS7_EEvS9_mlSA_ENKSB_clEvENKSC_clEvEUlmE_EEvS9_T2_RKT3_T4_EUlimE0_EEvlNS_15PhiloxCudaStateET1_SK_
		.amdhsa_group_segment_fixed_size 0
		.amdhsa_private_segment_fixed_size 0
		.amdhsa_kernarg_size 592
		.amdhsa_user_sgpr_count 15
		.amdhsa_user_sgpr_dispatch_ptr 0
		.amdhsa_user_sgpr_queue_ptr 0
		.amdhsa_user_sgpr_kernarg_segment_ptr 1
		.amdhsa_user_sgpr_dispatch_id 0
		.amdhsa_user_sgpr_private_segment_size 0
		.amdhsa_wavefront_size32 1
		.amdhsa_uses_dynamic_stack 0
		.amdhsa_enable_private_segment 0
		.amdhsa_system_sgpr_workgroup_id_x 1
		.amdhsa_system_sgpr_workgroup_id_y 0
		.amdhsa_system_sgpr_workgroup_id_z 0
		.amdhsa_system_sgpr_workgroup_info 0
		.amdhsa_system_vgpr_workitem_id 0
		.amdhsa_next_free_vgpr 46
		.amdhsa_next_free_sgpr 56
		.amdhsa_reserve_vcc 1
		.amdhsa_float_round_mode_32 0
		.amdhsa_float_round_mode_16_64 0
		.amdhsa_float_denorm_mode_32 3
		.amdhsa_float_denorm_mode_16_64 3
		.amdhsa_dx10_clamp 1
		.amdhsa_ieee_mode 1
		.amdhsa_fp16_overflow 0
		.amdhsa_workgroup_processor_mode 1
		.amdhsa_memory_ordered 1
		.amdhsa_forward_progress 0
		.amdhsa_shared_vgpr_count 0
		.amdhsa_exception_fp_ieee_invalid_op 0
		.amdhsa_exception_fp_denorm_src 0
		.amdhsa_exception_fp_ieee_div_zero 0
		.amdhsa_exception_fp_ieee_overflow 0
		.amdhsa_exception_fp_ieee_underflow 0
		.amdhsa_exception_fp_ieee_inexact 0
		.amdhsa_exception_int_div_zero 0
	.end_amdhsa_kernel
	.section	.text._ZN2at6native12_GLOBAL__N_143distribution_elementwise_grid_stride_kernelImLi2EZZZNS0_9templates4cuda21random_from_to_kernelIPNS_17CUDAGeneratorImplEEEvRNS_18TensorIteratorBaseEmlT_ENKUlvE_clEvENKUlvE3_clEvEUlP25hiprandStatePhilox4_32_10E_ZNS1_27distribution_nullary_kernelIsm15HIP_vector_typeIyLj2EES7_SF_ZZZNS5_IS7_EEvS9_mlSA_ENKSB_clEvENKSC_clEvEUlmE_EEvS9_T2_RKT3_T4_EUlimE0_EEvlNS_15PhiloxCudaStateET1_SK_,"axG",@progbits,_ZN2at6native12_GLOBAL__N_143distribution_elementwise_grid_stride_kernelImLi2EZZZNS0_9templates4cuda21random_from_to_kernelIPNS_17CUDAGeneratorImplEEEvRNS_18TensorIteratorBaseEmlT_ENKUlvE_clEvENKUlvE3_clEvEUlP25hiprandStatePhilox4_32_10E_ZNS1_27distribution_nullary_kernelIsm15HIP_vector_typeIyLj2EES7_SF_ZZZNS5_IS7_EEvS9_mlSA_ENKSB_clEvENKSC_clEvEUlmE_EEvS9_T2_RKT3_T4_EUlimE0_EEvlNS_15PhiloxCudaStateET1_SK_,comdat
.Lfunc_end17:
	.size	_ZN2at6native12_GLOBAL__N_143distribution_elementwise_grid_stride_kernelImLi2EZZZNS0_9templates4cuda21random_from_to_kernelIPNS_17CUDAGeneratorImplEEEvRNS_18TensorIteratorBaseEmlT_ENKUlvE_clEvENKUlvE3_clEvEUlP25hiprandStatePhilox4_32_10E_ZNS1_27distribution_nullary_kernelIsm15HIP_vector_typeIyLj2EES7_SF_ZZZNS5_IS7_EEvS9_mlSA_ENKSB_clEvENKSC_clEvEUlmE_EEvS9_T2_RKT3_T4_EUlimE0_EEvlNS_15PhiloxCudaStateET1_SK_, .Lfunc_end17-_ZN2at6native12_GLOBAL__N_143distribution_elementwise_grid_stride_kernelImLi2EZZZNS0_9templates4cuda21random_from_to_kernelIPNS_17CUDAGeneratorImplEEEvRNS_18TensorIteratorBaseEmlT_ENKUlvE_clEvENKUlvE3_clEvEUlP25hiprandStatePhilox4_32_10E_ZNS1_27distribution_nullary_kernelIsm15HIP_vector_typeIyLj2EES7_SF_ZZZNS5_IS7_EEvS9_mlSA_ENKSB_clEvENKSC_clEvEUlmE_EEvS9_T2_RKT3_T4_EUlimE0_EEvlNS_15PhiloxCudaStateET1_SK_
                                        ; -- End function
	.section	.AMDGPU.csdata,"",@progbits
; Kernel info:
; codeLenInByte = 5544
; NumSgprs: 58
; NumVgprs: 46
; ScratchSize: 0
; MemoryBound: 0
; FloatMode: 240
; IeeeMode: 1
; LDSByteSize: 0 bytes/workgroup (compile time only)
; SGPRBlocks: 7
; VGPRBlocks: 5
; NumSGPRsForWavesPerEU: 58
; NumVGPRsForWavesPerEU: 46
; Occupancy: 16
; WaveLimiterHint : 1
; COMPUTE_PGM_RSRC2:SCRATCH_EN: 0
; COMPUTE_PGM_RSRC2:USER_SGPR: 15
; COMPUTE_PGM_RSRC2:TRAP_HANDLER: 0
; COMPUTE_PGM_RSRC2:TGID_X_EN: 1
; COMPUTE_PGM_RSRC2:TGID_Y_EN: 0
; COMPUTE_PGM_RSRC2:TGID_Z_EN: 0
; COMPUTE_PGM_RSRC2:TIDIG_COMP_CNT: 0
	.section	.text._ZN2at6native12_GLOBAL__N_143distribution_elementwise_grid_stride_kernelIjLi4EZZZNS0_9templates4cuda21random_from_to_kernelIPNS_17CUDAGeneratorImplEEEvRNS_18TensorIteratorBaseEmlT_ENKUlvE_clEvENKUlvE3_clEvEUlP25hiprandStatePhilox4_32_10E0_ZNS1_27distribution_nullary_kernelIsj15HIP_vector_typeIjLj4EES7_SF_ZZZNS5_IS7_EEvS9_mlSA_ENKSB_clEvENKSC_clEvEUljE_EEvS9_T2_RKT3_T4_EUlijE_EEvlNS_15PhiloxCudaStateET1_SK_,"axG",@progbits,_ZN2at6native12_GLOBAL__N_143distribution_elementwise_grid_stride_kernelIjLi4EZZZNS0_9templates4cuda21random_from_to_kernelIPNS_17CUDAGeneratorImplEEEvRNS_18TensorIteratorBaseEmlT_ENKUlvE_clEvENKUlvE3_clEvEUlP25hiprandStatePhilox4_32_10E0_ZNS1_27distribution_nullary_kernelIsj15HIP_vector_typeIjLj4EES7_SF_ZZZNS5_IS7_EEvS9_mlSA_ENKSB_clEvENKSC_clEvEUljE_EEvS9_T2_RKT3_T4_EUlijE_EEvlNS_15PhiloxCudaStateET1_SK_,comdat
	.globl	_ZN2at6native12_GLOBAL__N_143distribution_elementwise_grid_stride_kernelIjLi4EZZZNS0_9templates4cuda21random_from_to_kernelIPNS_17CUDAGeneratorImplEEEvRNS_18TensorIteratorBaseEmlT_ENKUlvE_clEvENKUlvE3_clEvEUlP25hiprandStatePhilox4_32_10E0_ZNS1_27distribution_nullary_kernelIsj15HIP_vector_typeIjLj4EES7_SF_ZZZNS5_IS7_EEvS9_mlSA_ENKSB_clEvENKSC_clEvEUljE_EEvS9_T2_RKT3_T4_EUlijE_EEvlNS_15PhiloxCudaStateET1_SK_ ; -- Begin function _ZN2at6native12_GLOBAL__N_143distribution_elementwise_grid_stride_kernelIjLi4EZZZNS0_9templates4cuda21random_from_to_kernelIPNS_17CUDAGeneratorImplEEEvRNS_18TensorIteratorBaseEmlT_ENKUlvE_clEvENKUlvE3_clEvEUlP25hiprandStatePhilox4_32_10E0_ZNS1_27distribution_nullary_kernelIsj15HIP_vector_typeIjLj4EES7_SF_ZZZNS5_IS7_EEvS9_mlSA_ENKSB_clEvENKSC_clEvEUljE_EEvS9_T2_RKT3_T4_EUlijE_EEvlNS_15PhiloxCudaStateET1_SK_
	.p2align	8
	.type	_ZN2at6native12_GLOBAL__N_143distribution_elementwise_grid_stride_kernelIjLi4EZZZNS0_9templates4cuda21random_from_to_kernelIPNS_17CUDAGeneratorImplEEEvRNS_18TensorIteratorBaseEmlT_ENKUlvE_clEvENKUlvE3_clEvEUlP25hiprandStatePhilox4_32_10E0_ZNS1_27distribution_nullary_kernelIsj15HIP_vector_typeIjLj4EES7_SF_ZZZNS5_IS7_EEvS9_mlSA_ENKSB_clEvENKSC_clEvEUljE_EEvS9_T2_RKT3_T4_EUlijE_EEvlNS_15PhiloxCudaStateET1_SK_,@function
_ZN2at6native12_GLOBAL__N_143distribution_elementwise_grid_stride_kernelIjLi4EZZZNS0_9templates4cuda21random_from_to_kernelIPNS_17CUDAGeneratorImplEEEvRNS_18TensorIteratorBaseEmlT_ENKUlvE_clEvENKUlvE3_clEvEUlP25hiprandStatePhilox4_32_10E0_ZNS1_27distribution_nullary_kernelIsj15HIP_vector_typeIjLj4EES7_SF_ZZZNS5_IS7_EEvS9_mlSA_ENKSB_clEvENKSC_clEvEUljE_EEvS9_T2_RKT3_T4_EUlijE_EEvlNS_15PhiloxCudaStateET1_SK_: ; @_ZN2at6native12_GLOBAL__N_143distribution_elementwise_grid_stride_kernelIjLi4EZZZNS0_9templates4cuda21random_from_to_kernelIPNS_17CUDAGeneratorImplEEEvRNS_18TensorIteratorBaseEmlT_ENKUlvE_clEvENKUlvE3_clEvEUlP25hiprandStatePhilox4_32_10E0_ZNS1_27distribution_nullary_kernelIsj15HIP_vector_typeIjLj4EES7_SF_ZZZNS5_IS7_EEvS9_mlSA_ENKSB_clEvENKSC_clEvEUljE_EEvS9_T2_RKT3_T4_EUlijE_EEvlNS_15PhiloxCudaStateET1_SK_
; %bb.0:
	s_clause 0x2
	s_load_b64 s[8:9], s[0:1], 0x10
	s_load_b128 s[4:7], s[0:1], 0x0
	s_load_b32 s2, s[0:1], 0x20
	s_waitcnt lgkmcnt(0)
	v_dual_mov_b32 v2, s8 :: v_dual_mov_b32 v3, s9
	v_dual_mov_b32 v14, s7 :: v_dual_mov_b32 v13, s6
	s_bitcmp0_b32 s2, 0
	s_mov_b32 s2, 0
	s_cbranch_scc1 .LBB18_2
; %bb.1:
	v_dual_mov_b32 v1, s8 :: v_dual_mov_b32 v2, s9
	v_dual_mov_b32 v4, s6 :: v_dual_mov_b32 v5, s7
	s_load_b64 s[6:7], s[0:1], 0x18
	flat_load_b64 v[2:3], v[1:2]
	flat_load_b64 v[13:14], v[4:5]
	s_waitcnt vmcnt(1) lgkmcnt(0)
	v_add_co_u32 v2, vcc_lo, v2, s6
	v_add_co_ci_u32_e32 v3, vcc_lo, s7, v3, vcc_lo
.LBB18_2:
	s_clause 0x1
	s_load_b32 s3, s[0:1], 0x5c
	s_load_b32 s14, s[0:1], 0x50
	s_waitcnt lgkmcnt(0)
	s_and_b32 s13, s3, 0xffff
	s_add_u32 s6, s4, -1
	s_mul_i32 s10, s14, s13
	s_addc_u32 s3, s5, -1
	s_lshl_b32 s11, s10, 2
	s_cmp_lg_u64 s[2:3], 0
	s_cbranch_scc0 .LBB18_35
; %bb.3:
	v_cvt_f32_ubyte0_e32 v1, 0
	v_cvt_f32_u32_e32 v4, s11
	s_sub_u32 s8, 0, s11
	s_subb_u32 s9, 0, 0
	s_delay_alu instid0(VALU_DEP_1) | instskip(NEXT) | instid1(VALU_DEP_1)
	v_fmamk_f32 v1, v1, 0x4f800000, v4
	v_rcp_f32_e32 v1, v1
	s_waitcnt_depctr 0xfff
	v_mul_f32_e32 v1, 0x5f7ffffc, v1
	s_delay_alu instid0(VALU_DEP_1) | instskip(NEXT) | instid1(VALU_DEP_1)
	v_mul_f32_e32 v4, 0x2f800000, v1
	v_trunc_f32_e32 v4, v4
	s_delay_alu instid0(VALU_DEP_1) | instskip(SKIP_1) | instid1(VALU_DEP_2)
	v_fmamk_f32 v1, v4, 0xcf800000, v1
	v_cvt_u32_f32_e32 v4, v4
	v_cvt_u32_f32_e32 v1, v1
	s_delay_alu instid0(VALU_DEP_2) | instskip(NEXT) | instid1(VALU_DEP_2)
	v_readfirstlane_b32 s2, v4
	v_readfirstlane_b32 s7, v1
	s_delay_alu instid0(VALU_DEP_2) | instskip(NEXT) | instid1(VALU_DEP_1)
	s_mul_i32 s12, s8, s2
	s_mul_hi_u32 s17, s8, s7
	s_mul_i32 s16, s9, s7
	s_add_i32 s12, s17, s12
	s_mul_i32 s18, s8, s7
	s_add_i32 s12, s12, s16
	s_mul_hi_u32 s17, s7, s18
	s_mul_hi_u32 s19, s2, s18
	s_mul_i32 s16, s2, s18
	s_mul_hi_u32 s18, s7, s12
	s_mul_i32 s7, s7, s12
	s_mul_hi_u32 s20, s2, s12
	s_add_u32 s7, s17, s7
	s_addc_u32 s17, 0, s18
	s_add_u32 s7, s7, s16
	s_mul_i32 s12, s2, s12
	s_addc_u32 s7, s17, s19
	s_addc_u32 s16, s20, 0
	s_add_u32 s7, s7, s12
	s_addc_u32 s12, 0, s16
	v_add_co_u32 v1, s7, v1, s7
	s_delay_alu instid0(VALU_DEP_1) | instskip(SKIP_1) | instid1(VALU_DEP_1)
	s_cmp_lg_u32 s7, 0
	s_addc_u32 s2, s2, s12
	v_readfirstlane_b32 s7, v1
	s_mul_i32 s12, s8, s2
	s_delay_alu instid0(VALU_DEP_1)
	s_mul_hi_u32 s16, s8, s7
	s_mul_i32 s9, s9, s7
	s_add_i32 s12, s16, s12
	s_mul_i32 s8, s8, s7
	s_add_i32 s12, s12, s9
	s_mul_hi_u32 s16, s2, s8
	s_mul_i32 s17, s2, s8
	s_mul_hi_u32 s8, s7, s8
	s_mul_hi_u32 s18, s7, s12
	s_mul_i32 s7, s7, s12
	s_mul_hi_u32 s9, s2, s12
	s_add_u32 s7, s8, s7
	s_addc_u32 s8, 0, s18
	s_add_u32 s7, s7, s17
	s_mul_i32 s12, s2, s12
	s_addc_u32 s7, s8, s16
	s_addc_u32 s8, s9, 0
	s_add_u32 s7, s7, s12
	s_addc_u32 s8, 0, s8
	v_add_co_u32 v1, s7, v1, s7
	s_delay_alu instid0(VALU_DEP_1) | instskip(SKIP_2) | instid1(VALU_DEP_1)
	s_cmp_lg_u32 s7, 0
	s_addc_u32 s7, s2, s8
	s_ashr_i32 s8, s3, 31
	v_readfirstlane_b32 s12, v1
	s_add_u32 s2, s6, s8
	s_mov_b32 s9, s8
	s_addc_u32 s3, s3, s8
	s_delay_alu instid0(SALU_CYCLE_1) | instskip(NEXT) | instid1(SALU_CYCLE_1)
	s_xor_b64 s[2:3], s[2:3], s[8:9]
	s_mul_i32 s17, s2, s7
	s_mul_hi_u32 s18, s2, s12
	s_mul_hi_u32 s16, s2, s7
	;; [unrolled: 1-line block ×3, first 2 shown]
	s_mul_i32 s12, s3, s12
	s_add_u32 s17, s18, s17
	s_addc_u32 s16, 0, s16
	s_mul_hi_u32 s19, s3, s7
	s_add_u32 s12, s17, s12
	s_mul_i32 s7, s3, s7
	s_addc_u32 s12, s16, s20
	s_addc_u32 s16, s19, 0
	s_add_u32 s7, s12, s7
	s_addc_u32 s12, 0, s16
	s_mul_i32 s17, s11, s7
	s_add_u32 s16, s7, 1
	v_sub_co_u32 v1, s2, s2, s17
	s_mul_hi_u32 s17, s11, s7
	s_addc_u32 s18, s12, 0
	s_mul_i32 s19, s11, s12
	s_delay_alu instid0(VALU_DEP_1)
	v_sub_co_u32 v4, s20, v1, s11
	s_add_u32 s21, s7, 2
	s_addc_u32 s22, s12, 0
	s_add_i32 s17, s17, s19
	s_cmp_lg_u32 s2, 0
	v_readfirstlane_b32 s2, v4
	s_subb_u32 s3, s3, s17
	s_cmp_lg_u32 s20, 0
	s_subb_u32 s17, s3, 0
	s_delay_alu instid0(VALU_DEP_1) | instskip(SKIP_4) | instid1(SALU_CYCLE_1)
	s_cmp_ge_u32 s2, s11
	s_cselect_b32 s2, -1, 0
	s_cmp_eq_u32 s17, 0
	v_readfirstlane_b32 s17, v1
	s_cselect_b32 s2, s2, -1
	s_cmp_lg_u32 s2, 0
	s_cselect_b32 s2, s21, s16
	s_cselect_b32 s16, s22, s18
	s_cmp_ge_u32 s17, s11
	s_cselect_b32 s17, -1, 0
	s_cmp_eq_u32 s3, 0
	s_cselect_b32 s3, s17, -1
	s_delay_alu instid0(SALU_CYCLE_1) | instskip(SKIP_2) | instid1(SALU_CYCLE_1)
	s_cmp_lg_u32 s3, 0
	s_cselect_b32 s3, s16, s12
	s_cselect_b32 s2, s2, s7
	s_xor_b64 s[2:3], s[2:3], s[8:9]
	s_delay_alu instid0(SALU_CYCLE_1)
	s_sub_u32 s2, s2, s8
	s_subb_u32 s3, s3, s8
	s_cbranch_execnz .LBB18_5
.LBB18_4:
	v_cvt_f32_u32_e32 v1, s11
	s_sub_i32 s3, 0, s11
	s_delay_alu instid0(VALU_DEP_1) | instskip(SKIP_2) | instid1(VALU_DEP_1)
	v_rcp_iflag_f32_e32 v1, v1
	s_waitcnt_depctr 0xfff
	v_mul_f32_e32 v1, 0x4f7ffffe, v1
	v_cvt_u32_f32_e32 v1, v1
	s_delay_alu instid0(VALU_DEP_1) | instskip(NEXT) | instid1(VALU_DEP_1)
	v_readfirstlane_b32 s2, v1
	s_mul_i32 s3, s3, s2
	s_delay_alu instid0(SALU_CYCLE_1) | instskip(NEXT) | instid1(SALU_CYCLE_1)
	s_mul_hi_u32 s3, s2, s3
	s_add_i32 s2, s2, s3
	s_delay_alu instid0(SALU_CYCLE_1) | instskip(NEXT) | instid1(SALU_CYCLE_1)
	s_mul_hi_u32 s2, s6, s2
	s_mul_i32 s3, s2, s11
	s_delay_alu instid0(SALU_CYCLE_1)
	s_sub_i32 s3, s6, s3
	s_add_i32 s6, s2, 1
	s_sub_i32 s7, s3, s11
	s_cmp_ge_u32 s3, s11
	s_cselect_b32 s2, s6, s2
	s_cselect_b32 s3, s7, s3
	s_add_i32 s6, s2, 1
	s_cmp_ge_u32 s3, s11
	s_mov_b32 s3, 0
	s_cselect_b32 s2, s6, s2
.LBB18_5:
	v_mov_b32_e32 v1, 0
	s_add_u32 s2, s2, 1
	s_addc_u32 s3, s3, 0
	s_mul_hi_u32 s6, s10, s2
	s_mul_i32 s3, s10, s3
	v_mad_u64_u32 v[15:16], null, s13, s15, v[0:1]
	s_mul_hi_u32 s7, s14, s13
	s_add_i32 s3, s6, s3
	s_mul_i32 s7, s7, s2
	s_mul_i32 s2, s10, s2
	s_add_i32 s3, s3, s7
	s_delay_alu instid0(SALU_CYCLE_1)
	s_lshl_b64 s[6:7], s[2:3], 2
	s_mov_b32 s2, exec_lo
	v_cmpx_gt_i64_e64 s[6:7], v[15:16]
	s_cbranch_execz .LBB18_34
; %bb.6:
	v_alignbit_b32 v19, v3, v2, 2
	v_mad_u64_u32 v[6:7], null, 0xcd9e8d57, v15, 0
	v_lshrrev_b32_e32 v20, 2, v3
	s_waitcnt vmcnt(0)
	v_dual_mov_b32 v11, v14 :: v_dual_add_nc_u32 v32, 0x8ff34781, v13
	v_mad_u64_u32 v[4:5], null, 0xd2511f53, v19, 0
	v_add_co_u32 v22, null, 0x9e3779b9, v13
	s_delay_alu instid0(VALU_DEP_3) | instskip(SKIP_1) | instid1(VALU_DEP_4)
	v_add_co_u32 v21, null, 0xbb67ae85, v11
	v_add_co_u32 v23, null, 0x3c6ef372, v13
	v_xor_b32_e32 v3, v5, v14
	v_xor3_b32 v5, v13, v7, v20
	v_add_co_u32 v24, null, 0x76cf5d0a, v11
	v_add_co_u32 v25, null, 0x32370b8f, v11
	s_delay_alu instid0(VALU_DEP_4) | instskip(NEXT) | instid1(VALU_DEP_4)
	v_xor_b32_e32 v3, v3, v16
	v_mad_u64_u32 v[7:8], null, 0xd2511f53, v5, 0
	v_add_co_u32 v26, null, 0xdaa66d2b, v13
	s_delay_alu instid0(VALU_DEP_3) | instskip(SKIP_1) | instid1(VALU_DEP_4)
	v_mad_u64_u32 v[9:10], null, 0xcd9e8d57, v3, 0
	v_add_co_u32 v27, null, 0x78dde6e4, v13
	v_xor3_b32 v5, v21, v8, v4
	v_add_co_u32 v28, null, 0xed9eba14, v11
	v_add_co_u32 v29, null, 0xa9066899, v11
	v_xor3_b32 v8, v22, v10, v6
	s_delay_alu instid0(VALU_DEP_4) | instskip(SKIP_1) | instid1(VALU_DEP_3)
	v_mad_u64_u32 v[3:4], null, 0xcd9e8d57, v5, 0
	v_add_co_u32 v30, null, 0x1715609d, v13
	v_mad_u64_u32 v[5:6], null, 0xd2511f53, v8, 0
	v_and_b32_e32 v31, 3, v2
	v_add_co_u32 v35, null, 0xb54cda56, v13
	v_xor3_b32 v4, v23, v4, v9
	v_add_co_u32 v36, null, 0x646e171e, v11
	v_xor3_b32 v10, v24, v6, v7
	v_add_co_u32 v34, null, 0x5384540f, v13
	s_delay_alu instid0(VALU_DEP_4) | instskip(NEXT) | instid1(VALU_DEP_3)
	v_mad_u64_u32 v[6:7], null, 0xd2511f53, v4, 0
	v_mad_u64_u32 v[8:9], null, 0xcd9e8d57, v10, 0
	v_add_co_u32 v38, null, 0x1fd5c5a3, v11
	s_clause 0x1
	s_load_b64 s[8:9], s[0:1], 0x30
	s_load_b32 s16, s[0:1], 0x38
	v_add_co_u32 v37, null, 0xf1bbcdc8, v13
	s_delay_alu instid0(VALU_DEP_4) | instskip(NEXT) | instid1(VALU_DEP_4)
	v_xor3_b32 v5, v25, v7, v5
	v_xor3_b32 v7, v26, v9, v3
	v_add_co_u32 v40, null, 0xdb3d7428, v11
	s_load_b128 s[0:3], s[0:1], 0x40
	s_delay_alu instid0(VALU_DEP_3) | instskip(NEXT) | instid1(VALU_DEP_3)
	v_mad_u64_u32 v[3:4], null, 0xcd9e8d57, v5, 0
	v_mad_u64_u32 v[9:10], null, 0xd2511f53, v7, 0
	s_mul_i32 s17, s14, 3
	s_lshl_b32 s18, s14, 1
	s_add_i32 s19, s15, s14
	s_add_i32 s17, s15, s17
	s_delay_alu instid0(VALU_DEP_2) | instskip(SKIP_1) | instid1(VALU_DEP_3)
	v_xor3_b32 v7, v27, v4, v8
	v_mad_u64_u32 v[11:12], null, s19, s13, v[0:1]
	v_xor3_b32 v8, v28, v10, v6
	v_mad_u64_u32 v[17:18], null, s17, s13, v[0:1]
	s_delay_alu instid0(VALU_DEP_4) | instskip(NEXT) | instid1(VALU_DEP_3)
	v_mad_u64_u32 v[4:5], null, 0xd2511f53, v7, 0
	v_mad_u64_u32 v[6:7], null, 0xcd9e8d57, v8, 0
	v_add_nc_u32_e32 v33, 0x96a522ad, v14
	s_waitcnt lgkmcnt(0)
	v_mul_lo_u32 v44, s16, v11
	v_mul_lo_u32 v42, s16, v17
	s_mul_i32 s14, s14, s16
	v_xor3_b32 v5, v29, v5, v9
	v_mov_b32_e32 v39, v15
	v_xor3_b32 v9, v30, v7, v3
	v_mov_b32_e32 v45, v16
	s_mul_i32 s14, s14, s13
	v_mad_u64_u32 v[2:3], null, 0xcd9e8d57, v5, 0
	s_delay_alu instid0(VALU_DEP_3) | instskip(SKIP_3) | instid1(VALU_DEP_2)
	v_mad_u64_u32 v[7:8], null, 0xd2511f53, v9, 0
	s_mov_b32 s3, 0
	s_lshl_b32 s12, s10, 1
	s_lshl_b32 s14, s14, 2
	v_xor3_b32 v9, v35, v3, v6
	v_mad_u64_u32 v[5:6], null, s15, s13, v[0:1]
	s_delay_alu instid0(VALU_DEP_3) | instskip(SKIP_1) | instid1(VALU_DEP_3)
	v_xor3_b32 v10, v36, v8, v4
	s_add_i32 s15, s15, s18
	v_mad_u64_u32 v[3:4], null, 0xd2511f53, v9, 0
	s_delay_alu instid0(VALU_DEP_2) | instskip(NEXT) | instid1(VALU_DEP_4)
	v_mad_u64_u32 v[8:9], null, 0xcd9e8d57, v10, 0
	v_mul_lo_u32 v41, s16, v5
	s_delay_alu instid0(VALU_DEP_3) | instskip(NEXT) | instid1(VALU_DEP_3)
	v_xor3_b32 v4, v38, v4, v7
	v_xor3_b32 v2, v34, v9, v2
	s_delay_alu instid0(VALU_DEP_2) | instskip(NEXT) | instid1(VALU_DEP_2)
	v_mad_u64_u32 v[6:7], null, 0xcd9e8d57, v4, 0
	v_mad_u64_u32 v[9:10], null, 0xd2511f53, v2, 0
	s_delay_alu instid0(VALU_DEP_2) | instskip(NEXT) | instid1(VALU_DEP_2)
	v_xor3_b32 v4, v37, v7, v8
	v_xor3_b32 v10, v40, v10, v3
	v_mad_u64_u32 v[2:3], null, s15, s13, v[0:1]
	s_delay_alu instid0(VALU_DEP_3) | instskip(NEXT) | instid1(VALU_DEP_3)
	v_mad_u64_u32 v[7:8], null, 0xd2511f53, v4, 0
	v_mad_u64_u32 v[3:4], null, 0xcd9e8d57, v10, 0
	s_mul_i32 s13, s10, 3
	s_mov_b32 s15, 0
	s_delay_alu instid0(VALU_DEP_3) | instskip(NEXT) | instid1(VALU_DEP_3)
	v_mul_lo_u32 v43, s16, v2
	v_mov_b32_e32 v5, v7
	s_delay_alu instid0(VALU_DEP_3)
	v_xor3_b32 v2, v4, v6, v32
	v_xor3_b32 v4, v8, v9, v33
	s_branch .LBB18_9
.LBB18_7:                               ;   in Loop: Header=BB18_9 Depth=1
	s_or_b32 exec_lo, exec_lo, s17
	v_add_nc_u32_e32 v2, s15, v42
	s_delay_alu instid0(VALU_DEP_2) | instskip(NEXT) | instid1(VALU_DEP_2)
	v_add_nc_u32_e32 v0, s2, v0
	v_ashrrev_i32_e32 v3, 31, v2
	v_add_co_u32 v2, vcc_lo, s8, v2
	s_delay_alu instid0(VALU_DEP_2)
	v_add_co_ci_u32_e32 v3, vcc_lo, s9, v3, vcc_lo
	global_store_b16 v[2:3], v0, off
.LBB18_8:                               ;   in Loop: Header=BB18_9 Depth=1
	s_or_b32 exec_lo, exec_lo, s16
	v_add_co_u32 v15, vcc_lo, v15, s11
	v_add_co_ci_u32_e32 v16, vcc_lo, 0, v16, vcc_lo
	v_mov_b32_e32 v9, v17
	v_dual_mov_b32 v2, v6 :: v_dual_mov_b32 v3, v7
	s_delay_alu instid0(VALU_DEP_3) | instskip(NEXT) | instid1(VALU_DEP_3)
	v_cmp_le_i64_e32 vcc_lo, s[6:7], v[15:16]
	v_dual_mov_b32 v4, v8 :: v_dual_mov_b32 v5, v9
	s_add_i32 s15, s15, s14
	s_waitcnt_vscnt null, 0x0
	s_barrier
	s_or_b32 s3, vcc_lo, s3
	buffer_gl0_inv
	s_and_not1_b32 exec_lo, exec_lo, s3
	s_cbranch_execz .LBB18_34
.LBB18_9:                               ; =>This Inner Loop Header: Depth=1
	v_add_co_u32 v19, vcc_lo, v19, 1
	s_delay_alu instid0(VALU_DEP_1) | instskip(SKIP_1) | instid1(VALU_DEP_3)
	v_cndmask_b32_e64 v0, 0, 1, vcc_lo
	v_add_co_ci_u32_e32 v20, vcc_lo, 0, v20, vcc_lo
	v_mad_u64_u32 v[6:7], null, 0xd2511f53, v19, 0
	s_mov_b32 s16, exec_lo
	s_delay_alu instid0(VALU_DEP_2) | instskip(SKIP_1) | instid1(VALU_DEP_1)
	v_cmp_eq_u32_e32 vcc_lo, 0, v20
	v_cndmask_b32_e32 v0, 0, v0, vcc_lo
	v_add_nc_u32_e32 v39, v0, v39
	s_delay_alu instid0(VALU_DEP_1) | instskip(SKIP_2) | instid1(VALU_DEP_2)
	v_cmp_eq_u32_e32 vcc_lo, 0, v39
	v_cndmask_b32_e32 v0, 0, v0, vcc_lo
	v_mad_u64_u32 v[8:9], null, 0xcd9e8d57, v39, 0
	v_add_nc_u32_e32 v45, v0, v45
	v_xor_b32_e32 v0, v7, v14
	s_delay_alu instid0(VALU_DEP_3) | instskip(NEXT) | instid1(VALU_DEP_2)
	v_xor3_b32 v7, v9, v13, v20
	v_xor_b32_e32 v0, v45, v0
	s_delay_alu instid0(VALU_DEP_2) | instskip(NEXT) | instid1(VALU_DEP_2)
	v_mad_u64_u32 v[9:10], null, 0xd2511f53, v7, 0
	v_mad_u64_u32 v[11:12], null, 0xcd9e8d57, v0, 0
	s_delay_alu instid0(VALU_DEP_2) | instskip(NEXT) | instid1(VALU_DEP_2)
	v_xor3_b32 v0, v21, v10, v6
	v_xor3_b32 v8, v22, v12, v8
	s_delay_alu instid0(VALU_DEP_2) | instskip(NEXT) | instid1(VALU_DEP_2)
	v_mad_u64_u32 v[6:7], null, 0xcd9e8d57, v0, 0
	v_mad_u64_u32 v[17:18], null, 0xd2511f53, v8, 0
	s_delay_alu instid0(VALU_DEP_2) | instskip(NEXT) | instid1(VALU_DEP_2)
	v_xor3_b32 v0, v23, v7, v11
	v_xor3_b32 v11, v24, v18, v9
	;; [unrolled: 6-line block ×9, first 2 shown]
	s_delay_alu instid0(VALU_DEP_2)
	v_mov_b32_e32 v8, v12
	v_cmpx_lt_i32_e32 1, v31
	s_xor_b32 s16, exec_lo, s16
	s_cbranch_execnz .LBB18_12
; %bb.10:                               ;   in Loop: Header=BB18_9 Depth=1
	s_and_not1_saveexec_b32 s16, s16
	s_cbranch_execnz .LBB18_17
.LBB18_11:                              ;   in Loop: Header=BB18_9 Depth=1
	s_or_b32 exec_lo, exec_lo, s16
	s_delay_alu instid0(SALU_CYCLE_1)
	s_mov_b32 s16, exec_lo
	v_cmpx_gt_i64_e64 s[4:5], v[15:16]
	s_cbranch_execnz .LBB18_20
	s_branch .LBB18_23
.LBB18_12:                              ;   in Loop: Header=BB18_9 Depth=1
	s_mov_b32 s17, exec_lo
	v_cmpx_lt_i32_e32 2, v31
	s_xor_b32 s17, exec_lo, s17
; %bb.13:                               ;   in Loop: Header=BB18_9 Depth=1
	v_dual_mov_b32 v9, v5 :: v_dual_mov_b32 v10, v6
	v_mov_b32_e32 v11, v7
	s_delay_alu instid0(VALU_DEP_2) | instskip(NEXT) | instid1(VALU_DEP_2)
	v_dual_mov_b32 v2, v9 :: v_dual_mov_b32 v3, v10
	v_dual_mov_b32 v4, v11 :: v_dual_mov_b32 v5, v12
; %bb.14:                               ;   in Loop: Header=BB18_9 Depth=1
	s_and_not1_saveexec_b32 s17, s17
; %bb.15:                               ;   in Loop: Header=BB18_9 Depth=1
	s_delay_alu instid0(VALU_DEP_1)
	v_dual_mov_b32 v2, v4 :: v_dual_mov_b32 v3, v5
	v_dual_mov_b32 v4, v6 :: v_dual_mov_b32 v5, v7
; %bb.16:                               ;   in Loop: Header=BB18_9 Depth=1
	s_or_b32 exec_lo, exec_lo, s17
	s_and_not1_saveexec_b32 s16, s16
	s_cbranch_execz .LBB18_11
.LBB18_17:                              ;   in Loop: Header=BB18_9 Depth=1
	s_mov_b32 s17, exec_lo
	v_cmpx_eq_u32_e32 1, v31
; %bb.18:                               ;   in Loop: Header=BB18_9 Depth=1
	v_dual_mov_b32 v2, v3 :: v_dual_mov_b32 v3, v4
	v_dual_mov_b32 v4, v5 :: v_dual_mov_b32 v5, v6
; %bb.19:                               ;   in Loop: Header=BB18_9 Depth=1
	s_or_b32 exec_lo, exec_lo, s17
	s_delay_alu instid0(SALU_CYCLE_1) | instskip(NEXT) | instid1(SALU_CYCLE_1)
	s_or_b32 exec_lo, exec_lo, s16
	s_mov_b32 s16, exec_lo
	v_cmpx_gt_i64_e64 s[4:5], v[15:16]
	s_cbranch_execz .LBB18_23
.LBB18_20:                              ;   in Loop: Header=BB18_9 Depth=1
	v_mov_b32_e32 v0, v2
	s_mov_b32 s17, exec_lo
	s_delay_alu instid0(VALU_DEP_1)
	v_cmpx_le_u64_e64 s[0:1], v[0:1]
	s_cbranch_execz .LBB18_22
; %bb.21:                               ;   in Loop: Header=BB18_9 Depth=1
	v_cvt_f32_u32_e32 v2, s0
	s_sub_i32 s18, 0, s0
	s_delay_alu instid0(VALU_DEP_1) | instskip(SKIP_2) | instid1(VALU_DEP_1)
	v_rcp_iflag_f32_e32 v2, v2
	s_waitcnt_depctr 0xfff
	v_mul_f32_e32 v2, 0x4f7ffffe, v2
	v_cvt_u32_f32_e32 v2, v2
	s_delay_alu instid0(VALU_DEP_1) | instskip(NEXT) | instid1(VALU_DEP_1)
	v_mul_lo_u32 v9, s18, v2
	v_mul_hi_u32 v9, v2, v9
	s_delay_alu instid0(VALU_DEP_1) | instskip(NEXT) | instid1(VALU_DEP_1)
	v_add_nc_u32_e32 v2, v2, v9
	v_mul_hi_u32 v2, v0, v2
	s_delay_alu instid0(VALU_DEP_1) | instskip(NEXT) | instid1(VALU_DEP_1)
	v_mul_lo_u32 v2, v2, s0
	v_sub_nc_u32_e32 v0, v0, v2
	s_delay_alu instid0(VALU_DEP_1) | instskip(SKIP_1) | instid1(VALU_DEP_2)
	v_subrev_nc_u32_e32 v2, s0, v0
	v_cmp_le_u32_e32 vcc_lo, s0, v0
	v_cndmask_b32_e32 v0, v0, v2, vcc_lo
	s_delay_alu instid0(VALU_DEP_1) | instskip(SKIP_1) | instid1(VALU_DEP_2)
	v_subrev_nc_u32_e32 v2, s0, v0
	v_cmp_le_u32_e32 vcc_lo, s0, v0
	v_cndmask_b32_e32 v0, v0, v2, vcc_lo
.LBB18_22:                              ;   in Loop: Header=BB18_9 Depth=1
	s_or_b32 exec_lo, exec_lo, s17
	v_add_nc_u32_e32 v2, s15, v41
	s_delay_alu instid0(VALU_DEP_2) | instskip(NEXT) | instid1(VALU_DEP_2)
	v_add_nc_u32_e32 v0, s2, v0
	v_ashrrev_i32_e32 v10, 31, v2
	v_add_co_u32 v9, vcc_lo, s8, v2
	s_delay_alu instid0(VALU_DEP_2)
	v_add_co_ci_u32_e32 v10, vcc_lo, s9, v10, vcc_lo
	global_store_b16 v[9:10], v0, off
.LBB18_23:                              ;   in Loop: Header=BB18_9 Depth=1
	s_or_b32 exec_lo, exec_lo, s16
	v_add_co_u32 v9, vcc_lo, s10, v15
	v_add_co_ci_u32_e32 v10, vcc_lo, 0, v16, vcc_lo
	s_mov_b32 s16, exec_lo
	s_delay_alu instid0(VALU_DEP_1)
	v_cmpx_gt_i64_e64 s[4:5], v[9:10]
	s_cbranch_execz .LBB18_27
; %bb.24:                               ;   in Loop: Header=BB18_9 Depth=1
	v_mov_b32_e32 v0, v3
	s_mov_b32 s17, exec_lo
	s_delay_alu instid0(VALU_DEP_1)
	v_cmpx_le_u64_e64 s[0:1], v[0:1]
	s_cbranch_execz .LBB18_26
; %bb.25:                               ;   in Loop: Header=BB18_9 Depth=1
	v_cvt_f32_u32_e32 v2, s0
	s_sub_i32 s18, 0, s0
	s_delay_alu instid0(VALU_DEP_1) | instskip(SKIP_2) | instid1(VALU_DEP_1)
	v_rcp_iflag_f32_e32 v2, v2
	s_waitcnt_depctr 0xfff
	v_mul_f32_e32 v2, 0x4f7ffffe, v2
	v_cvt_u32_f32_e32 v2, v2
	s_delay_alu instid0(VALU_DEP_1) | instskip(NEXT) | instid1(VALU_DEP_1)
	v_mul_lo_u32 v3, s18, v2
	v_mul_hi_u32 v3, v2, v3
	s_delay_alu instid0(VALU_DEP_1) | instskip(NEXT) | instid1(VALU_DEP_1)
	v_add_nc_u32_e32 v2, v2, v3
	v_mul_hi_u32 v2, v0, v2
	s_delay_alu instid0(VALU_DEP_1) | instskip(NEXT) | instid1(VALU_DEP_1)
	v_mul_lo_u32 v2, v2, s0
	v_sub_nc_u32_e32 v0, v0, v2
	s_delay_alu instid0(VALU_DEP_1) | instskip(SKIP_1) | instid1(VALU_DEP_2)
	v_subrev_nc_u32_e32 v2, s0, v0
	v_cmp_le_u32_e32 vcc_lo, s0, v0
	v_cndmask_b32_e32 v0, v0, v2, vcc_lo
	s_delay_alu instid0(VALU_DEP_1) | instskip(SKIP_1) | instid1(VALU_DEP_2)
	v_subrev_nc_u32_e32 v2, s0, v0
	v_cmp_le_u32_e32 vcc_lo, s0, v0
	v_cndmask_b32_e32 v0, v0, v2, vcc_lo
.LBB18_26:                              ;   in Loop: Header=BB18_9 Depth=1
	s_or_b32 exec_lo, exec_lo, s17
	v_add_nc_u32_e32 v2, s15, v44
	s_delay_alu instid0(VALU_DEP_2) | instskip(NEXT) | instid1(VALU_DEP_2)
	v_add_nc_u32_e32 v0, s2, v0
	v_ashrrev_i32_e32 v3, 31, v2
	v_add_co_u32 v2, vcc_lo, s8, v2
	s_delay_alu instid0(VALU_DEP_2)
	v_add_co_ci_u32_e32 v3, vcc_lo, s9, v3, vcc_lo
	global_store_b16 v[2:3], v0, off
.LBB18_27:                              ;   in Loop: Header=BB18_9 Depth=1
	s_or_b32 exec_lo, exec_lo, s16
	v_add_co_u32 v2, vcc_lo, s12, v15
	v_add_co_ci_u32_e32 v3, vcc_lo, 0, v16, vcc_lo
	s_mov_b32 s16, exec_lo
	s_delay_alu instid0(VALU_DEP_1)
	v_cmpx_gt_i64_e64 s[4:5], v[2:3]
	s_cbranch_execz .LBB18_31
; %bb.28:                               ;   in Loop: Header=BB18_9 Depth=1
	v_mov_b32_e32 v0, v4
	s_mov_b32 s17, exec_lo
	s_delay_alu instid0(VALU_DEP_1)
	v_cmpx_le_u64_e64 s[0:1], v[0:1]
	s_cbranch_execz .LBB18_30
; %bb.29:                               ;   in Loop: Header=BB18_9 Depth=1
	v_cvt_f32_u32_e32 v2, s0
	s_sub_i32 s18, 0, s0
	s_delay_alu instid0(VALU_DEP_1) | instskip(SKIP_2) | instid1(VALU_DEP_1)
	v_rcp_iflag_f32_e32 v2, v2
	s_waitcnt_depctr 0xfff
	v_mul_f32_e32 v2, 0x4f7ffffe, v2
	v_cvt_u32_f32_e32 v2, v2
	s_delay_alu instid0(VALU_DEP_1) | instskip(NEXT) | instid1(VALU_DEP_1)
	v_mul_lo_u32 v3, s18, v2
	v_mul_hi_u32 v3, v2, v3
	s_delay_alu instid0(VALU_DEP_1) | instskip(NEXT) | instid1(VALU_DEP_1)
	v_add_nc_u32_e32 v2, v2, v3
	v_mul_hi_u32 v2, v0, v2
	s_delay_alu instid0(VALU_DEP_1) | instskip(NEXT) | instid1(VALU_DEP_1)
	v_mul_lo_u32 v2, v2, s0
	v_sub_nc_u32_e32 v0, v0, v2
	s_delay_alu instid0(VALU_DEP_1) | instskip(SKIP_1) | instid1(VALU_DEP_2)
	v_subrev_nc_u32_e32 v2, s0, v0
	v_cmp_le_u32_e32 vcc_lo, s0, v0
	v_cndmask_b32_e32 v0, v0, v2, vcc_lo
	s_delay_alu instid0(VALU_DEP_1) | instskip(SKIP_1) | instid1(VALU_DEP_2)
	v_subrev_nc_u32_e32 v2, s0, v0
	v_cmp_le_u32_e32 vcc_lo, s0, v0
	v_cndmask_b32_e32 v0, v0, v2, vcc_lo
.LBB18_30:                              ;   in Loop: Header=BB18_9 Depth=1
	s_or_b32 exec_lo, exec_lo, s17
	v_add_nc_u32_e32 v2, s15, v43
	s_delay_alu instid0(VALU_DEP_2) | instskip(NEXT) | instid1(VALU_DEP_2)
	v_add_nc_u32_e32 v0, s2, v0
	v_ashrrev_i32_e32 v3, 31, v2
	v_add_co_u32 v2, vcc_lo, s8, v2
	s_delay_alu instid0(VALU_DEP_2)
	v_add_co_ci_u32_e32 v3, vcc_lo, s9, v3, vcc_lo
	global_store_b16 v[2:3], v0, off
.LBB18_31:                              ;   in Loop: Header=BB18_9 Depth=1
	s_or_b32 exec_lo, exec_lo, s16
	v_add_co_u32 v2, vcc_lo, s13, v15
	v_add_co_ci_u32_e32 v3, vcc_lo, 0, v16, vcc_lo
	s_mov_b32 s16, exec_lo
	s_delay_alu instid0(VALU_DEP_1)
	v_cmpx_gt_i64_e64 s[4:5], v[2:3]
	s_cbranch_execz .LBB18_8
; %bb.32:                               ;   in Loop: Header=BB18_9 Depth=1
	v_mov_b32_e32 v0, v5
	s_mov_b32 s17, exec_lo
	s_delay_alu instid0(VALU_DEP_1)
	v_cmpx_le_u64_e64 s[0:1], v[0:1]
	s_cbranch_execz .LBB18_7
; %bb.33:                               ;   in Loop: Header=BB18_9 Depth=1
	v_cvt_f32_u32_e32 v2, s0
	s_sub_i32 s18, 0, s0
	s_delay_alu instid0(VALU_DEP_1) | instskip(SKIP_2) | instid1(VALU_DEP_1)
	v_rcp_iflag_f32_e32 v2, v2
	s_waitcnt_depctr 0xfff
	v_mul_f32_e32 v2, 0x4f7ffffe, v2
	v_cvt_u32_f32_e32 v2, v2
	s_delay_alu instid0(VALU_DEP_1) | instskip(NEXT) | instid1(VALU_DEP_1)
	v_mul_lo_u32 v3, s18, v2
	v_mul_hi_u32 v3, v2, v3
	s_delay_alu instid0(VALU_DEP_1) | instskip(NEXT) | instid1(VALU_DEP_1)
	v_add_nc_u32_e32 v2, v2, v3
	v_mul_hi_u32 v2, v0, v2
	s_delay_alu instid0(VALU_DEP_1) | instskip(NEXT) | instid1(VALU_DEP_1)
	v_mul_lo_u32 v2, v2, s0
	v_sub_nc_u32_e32 v0, v0, v2
	s_delay_alu instid0(VALU_DEP_1) | instskip(SKIP_1) | instid1(VALU_DEP_2)
	v_subrev_nc_u32_e32 v2, s0, v0
	v_cmp_le_u32_e32 vcc_lo, s0, v0
	v_cndmask_b32_e32 v0, v0, v2, vcc_lo
	s_delay_alu instid0(VALU_DEP_1) | instskip(SKIP_1) | instid1(VALU_DEP_2)
	v_subrev_nc_u32_e32 v2, s0, v0
	v_cmp_le_u32_e32 vcc_lo, s0, v0
	v_cndmask_b32_e32 v0, v0, v2, vcc_lo
	s_branch .LBB18_7
.LBB18_34:
	s_endpgm
.LBB18_35:
                                        ; implicit-def: $sgpr2_sgpr3
	s_branch .LBB18_4
	.section	.rodata,"a",@progbits
	.p2align	6, 0x0
	.amdhsa_kernel _ZN2at6native12_GLOBAL__N_143distribution_elementwise_grid_stride_kernelIjLi4EZZZNS0_9templates4cuda21random_from_to_kernelIPNS_17CUDAGeneratorImplEEEvRNS_18TensorIteratorBaseEmlT_ENKUlvE_clEvENKUlvE3_clEvEUlP25hiprandStatePhilox4_32_10E0_ZNS1_27distribution_nullary_kernelIsj15HIP_vector_typeIjLj4EES7_SF_ZZZNS5_IS7_EEvS9_mlSA_ENKSB_clEvENKSC_clEvEUljE_EEvS9_T2_RKT3_T4_EUlijE_EEvlNS_15PhiloxCudaStateET1_SK_
		.amdhsa_group_segment_fixed_size 0
		.amdhsa_private_segment_fixed_size 0
		.amdhsa_kernarg_size 336
		.amdhsa_user_sgpr_count 15
		.amdhsa_user_sgpr_dispatch_ptr 0
		.amdhsa_user_sgpr_queue_ptr 0
		.amdhsa_user_sgpr_kernarg_segment_ptr 1
		.amdhsa_user_sgpr_dispatch_id 0
		.amdhsa_user_sgpr_private_segment_size 0
		.amdhsa_wavefront_size32 1
		.amdhsa_uses_dynamic_stack 0
		.amdhsa_enable_private_segment 0
		.amdhsa_system_sgpr_workgroup_id_x 1
		.amdhsa_system_sgpr_workgroup_id_y 0
		.amdhsa_system_sgpr_workgroup_id_z 0
		.amdhsa_system_sgpr_workgroup_info 0
		.amdhsa_system_vgpr_workitem_id 0
		.amdhsa_next_free_vgpr 46
		.amdhsa_next_free_sgpr 23
		.amdhsa_reserve_vcc 1
		.amdhsa_float_round_mode_32 0
		.amdhsa_float_round_mode_16_64 0
		.amdhsa_float_denorm_mode_32 3
		.amdhsa_float_denorm_mode_16_64 3
		.amdhsa_dx10_clamp 1
		.amdhsa_ieee_mode 1
		.amdhsa_fp16_overflow 0
		.amdhsa_workgroup_processor_mode 1
		.amdhsa_memory_ordered 1
		.amdhsa_forward_progress 0
		.amdhsa_shared_vgpr_count 0
		.amdhsa_exception_fp_ieee_invalid_op 0
		.amdhsa_exception_fp_denorm_src 0
		.amdhsa_exception_fp_ieee_div_zero 0
		.amdhsa_exception_fp_ieee_overflow 0
		.amdhsa_exception_fp_ieee_underflow 0
		.amdhsa_exception_fp_ieee_inexact 0
		.amdhsa_exception_int_div_zero 0
	.end_amdhsa_kernel
	.section	.text._ZN2at6native12_GLOBAL__N_143distribution_elementwise_grid_stride_kernelIjLi4EZZZNS0_9templates4cuda21random_from_to_kernelIPNS_17CUDAGeneratorImplEEEvRNS_18TensorIteratorBaseEmlT_ENKUlvE_clEvENKUlvE3_clEvEUlP25hiprandStatePhilox4_32_10E0_ZNS1_27distribution_nullary_kernelIsj15HIP_vector_typeIjLj4EES7_SF_ZZZNS5_IS7_EEvS9_mlSA_ENKSB_clEvENKSC_clEvEUljE_EEvS9_T2_RKT3_T4_EUlijE_EEvlNS_15PhiloxCudaStateET1_SK_,"axG",@progbits,_ZN2at6native12_GLOBAL__N_143distribution_elementwise_grid_stride_kernelIjLi4EZZZNS0_9templates4cuda21random_from_to_kernelIPNS_17CUDAGeneratorImplEEEvRNS_18TensorIteratorBaseEmlT_ENKUlvE_clEvENKUlvE3_clEvEUlP25hiprandStatePhilox4_32_10E0_ZNS1_27distribution_nullary_kernelIsj15HIP_vector_typeIjLj4EES7_SF_ZZZNS5_IS7_EEvS9_mlSA_ENKSB_clEvENKSC_clEvEUljE_EEvS9_T2_RKT3_T4_EUlijE_EEvlNS_15PhiloxCudaStateET1_SK_,comdat
.Lfunc_end18:
	.size	_ZN2at6native12_GLOBAL__N_143distribution_elementwise_grid_stride_kernelIjLi4EZZZNS0_9templates4cuda21random_from_to_kernelIPNS_17CUDAGeneratorImplEEEvRNS_18TensorIteratorBaseEmlT_ENKUlvE_clEvENKUlvE3_clEvEUlP25hiprandStatePhilox4_32_10E0_ZNS1_27distribution_nullary_kernelIsj15HIP_vector_typeIjLj4EES7_SF_ZZZNS5_IS7_EEvS9_mlSA_ENKSB_clEvENKSC_clEvEUljE_EEvS9_T2_RKT3_T4_EUlijE_EEvlNS_15PhiloxCudaStateET1_SK_, .Lfunc_end18-_ZN2at6native12_GLOBAL__N_143distribution_elementwise_grid_stride_kernelIjLi4EZZZNS0_9templates4cuda21random_from_to_kernelIPNS_17CUDAGeneratorImplEEEvRNS_18TensorIteratorBaseEmlT_ENKUlvE_clEvENKUlvE3_clEvEUlP25hiprandStatePhilox4_32_10E0_ZNS1_27distribution_nullary_kernelIsj15HIP_vector_typeIjLj4EES7_SF_ZZZNS5_IS7_EEvS9_mlSA_ENKSB_clEvENKSC_clEvEUljE_EEvS9_T2_RKT3_T4_EUlijE_EEvlNS_15PhiloxCudaStateET1_SK_
                                        ; -- End function
	.section	.AMDGPU.csdata,"",@progbits
; Kernel info:
; codeLenInByte = 3424
; NumSgprs: 25
; NumVgprs: 46
; ScratchSize: 0
; MemoryBound: 0
; FloatMode: 240
; IeeeMode: 1
; LDSByteSize: 0 bytes/workgroup (compile time only)
; SGPRBlocks: 3
; VGPRBlocks: 5
; NumSGPRsForWavesPerEU: 25
; NumVGPRsForWavesPerEU: 46
; Occupancy: 16
; WaveLimiterHint : 0
; COMPUTE_PGM_RSRC2:SCRATCH_EN: 0
; COMPUTE_PGM_RSRC2:USER_SGPR: 15
; COMPUTE_PGM_RSRC2:TRAP_HANDLER: 0
; COMPUTE_PGM_RSRC2:TGID_X_EN: 1
; COMPUTE_PGM_RSRC2:TGID_Y_EN: 0
; COMPUTE_PGM_RSRC2:TGID_Z_EN: 0
; COMPUTE_PGM_RSRC2:TIDIG_COMP_CNT: 0
	.section	.text._ZN2at6native12_GLOBAL__N_143distribution_elementwise_grid_stride_kernelIjLi4EZZZNS0_9templates4cuda21random_from_to_kernelIPNS_17CUDAGeneratorImplEEEvRNS_18TensorIteratorBaseEmlT_ENKUlvE_clEvENKUlvE3_clEvEUlP25hiprandStatePhilox4_32_10E0_ZNS1_27distribution_nullary_kernelIsj15HIP_vector_typeIjLj4EES7_SF_ZZZNS5_IS7_EEvS9_mlSA_ENKSB_clEvENKSC_clEvEUljE_EEvS9_T2_RKT3_T4_EUlijE0_EEvlNS_15PhiloxCudaStateET1_SK_,"axG",@progbits,_ZN2at6native12_GLOBAL__N_143distribution_elementwise_grid_stride_kernelIjLi4EZZZNS0_9templates4cuda21random_from_to_kernelIPNS_17CUDAGeneratorImplEEEvRNS_18TensorIteratorBaseEmlT_ENKUlvE_clEvENKUlvE3_clEvEUlP25hiprandStatePhilox4_32_10E0_ZNS1_27distribution_nullary_kernelIsj15HIP_vector_typeIjLj4EES7_SF_ZZZNS5_IS7_EEvS9_mlSA_ENKSB_clEvENKSC_clEvEUljE_EEvS9_T2_RKT3_T4_EUlijE0_EEvlNS_15PhiloxCudaStateET1_SK_,comdat
	.globl	_ZN2at6native12_GLOBAL__N_143distribution_elementwise_grid_stride_kernelIjLi4EZZZNS0_9templates4cuda21random_from_to_kernelIPNS_17CUDAGeneratorImplEEEvRNS_18TensorIteratorBaseEmlT_ENKUlvE_clEvENKUlvE3_clEvEUlP25hiprandStatePhilox4_32_10E0_ZNS1_27distribution_nullary_kernelIsj15HIP_vector_typeIjLj4EES7_SF_ZZZNS5_IS7_EEvS9_mlSA_ENKSB_clEvENKSC_clEvEUljE_EEvS9_T2_RKT3_T4_EUlijE0_EEvlNS_15PhiloxCudaStateET1_SK_ ; -- Begin function _ZN2at6native12_GLOBAL__N_143distribution_elementwise_grid_stride_kernelIjLi4EZZZNS0_9templates4cuda21random_from_to_kernelIPNS_17CUDAGeneratorImplEEEvRNS_18TensorIteratorBaseEmlT_ENKUlvE_clEvENKUlvE3_clEvEUlP25hiprandStatePhilox4_32_10E0_ZNS1_27distribution_nullary_kernelIsj15HIP_vector_typeIjLj4EES7_SF_ZZZNS5_IS7_EEvS9_mlSA_ENKSB_clEvENKSC_clEvEUljE_EEvS9_T2_RKT3_T4_EUlijE0_EEvlNS_15PhiloxCudaStateET1_SK_
	.p2align	8
	.type	_ZN2at6native12_GLOBAL__N_143distribution_elementwise_grid_stride_kernelIjLi4EZZZNS0_9templates4cuda21random_from_to_kernelIPNS_17CUDAGeneratorImplEEEvRNS_18TensorIteratorBaseEmlT_ENKUlvE_clEvENKUlvE3_clEvEUlP25hiprandStatePhilox4_32_10E0_ZNS1_27distribution_nullary_kernelIsj15HIP_vector_typeIjLj4EES7_SF_ZZZNS5_IS7_EEvS9_mlSA_ENKSB_clEvENKSC_clEvEUljE_EEvS9_T2_RKT3_T4_EUlijE0_EEvlNS_15PhiloxCudaStateET1_SK_,@function
_ZN2at6native12_GLOBAL__N_143distribution_elementwise_grid_stride_kernelIjLi4EZZZNS0_9templates4cuda21random_from_to_kernelIPNS_17CUDAGeneratorImplEEEvRNS_18TensorIteratorBaseEmlT_ENKUlvE_clEvENKUlvE3_clEvEUlP25hiprandStatePhilox4_32_10E0_ZNS1_27distribution_nullary_kernelIsj15HIP_vector_typeIjLj4EES7_SF_ZZZNS5_IS7_EEvS9_mlSA_ENKSB_clEvENKSC_clEvEUljE_EEvS9_T2_RKT3_T4_EUlijE0_EEvlNS_15PhiloxCudaStateET1_SK_: ; @_ZN2at6native12_GLOBAL__N_143distribution_elementwise_grid_stride_kernelIjLi4EZZZNS0_9templates4cuda21random_from_to_kernelIPNS_17CUDAGeneratorImplEEEvRNS_18TensorIteratorBaseEmlT_ENKUlvE_clEvENKUlvE3_clEvEUlP25hiprandStatePhilox4_32_10E0_ZNS1_27distribution_nullary_kernelIsj15HIP_vector_typeIjLj4EES7_SF_ZZZNS5_IS7_EEvS9_mlSA_ENKSB_clEvENKSC_clEvEUljE_EEvS9_T2_RKT3_T4_EUlijE0_EEvlNS_15PhiloxCudaStateET1_SK_
; %bb.0:
	s_clause 0x2
	s_load_b64 s[4:5], s[0:1], 0x10
	s_load_b128 s[16:19], s[0:1], 0x0
	s_load_b32 s2, s[0:1], 0x20
	s_waitcnt lgkmcnt(0)
	v_dual_mov_b32 v2, s4 :: v_dual_mov_b32 v3, s5
	v_dual_mov_b32 v13, s18 :: v_dual_mov_b32 v14, s19
	s_bitcmp0_b32 s2, 0
	s_mov_b32 s2, 0
	s_cbranch_scc1 .LBB19_2
; %bb.1:
	v_dual_mov_b32 v1, s4 :: v_dual_mov_b32 v2, s5
	v_dual_mov_b32 v4, s18 :: v_dual_mov_b32 v5, s19
	s_load_b64 s[4:5], s[0:1], 0x18
	flat_load_b64 v[2:3], v[1:2]
	flat_load_b64 v[13:14], v[4:5]
	s_waitcnt vmcnt(1) lgkmcnt(0)
	v_add_co_u32 v2, vcc_lo, v2, s4
	v_add_co_ci_u32_e32 v3, vcc_lo, s5, v3, vcc_lo
.LBB19_2:
	s_clause 0x1
	s_load_b32 s3, s[0:1], 0x15c
	s_load_b32 s4, s[0:1], 0x150
	s_waitcnt lgkmcnt(0)
	s_and_b32 s5, s3, 0xffff
	s_add_u32 s6, s16, -1
	s_mul_i32 s28, s4, s5
	s_addc_u32 s3, s17, -1
	s_lshl_b32 s29, s28, 2
	s_cmp_lg_u64 s[2:3], 0
	s_cbranch_scc0 .LBB19_87
; %bb.3:
	v_cvt_f32_ubyte0_e32 v1, 0
	v_cvt_f32_u32_e32 v4, s29
	s_sub_u32 s8, 0, s29
	s_subb_u32 s9, 0, 0
	s_delay_alu instid0(VALU_DEP_1) | instskip(NEXT) | instid1(VALU_DEP_1)
	v_fmamk_f32 v1, v1, 0x4f800000, v4
	v_rcp_f32_e32 v1, v1
	s_waitcnt_depctr 0xfff
	v_mul_f32_e32 v1, 0x5f7ffffc, v1
	s_delay_alu instid0(VALU_DEP_1) | instskip(NEXT) | instid1(VALU_DEP_1)
	v_mul_f32_e32 v4, 0x2f800000, v1
	v_trunc_f32_e32 v4, v4
	s_delay_alu instid0(VALU_DEP_1) | instskip(SKIP_1) | instid1(VALU_DEP_2)
	v_fmamk_f32 v1, v4, 0xcf800000, v1
	v_cvt_u32_f32_e32 v4, v4
	v_cvt_u32_f32_e32 v1, v1
	s_delay_alu instid0(VALU_DEP_2) | instskip(NEXT) | instid1(VALU_DEP_2)
	v_readfirstlane_b32 s2, v4
	v_readfirstlane_b32 s7, v1
	s_delay_alu instid0(VALU_DEP_2) | instskip(NEXT) | instid1(VALU_DEP_1)
	s_mul_i32 s10, s8, s2
	s_mul_hi_u32 s12, s8, s7
	s_mul_i32 s11, s9, s7
	s_add_i32 s10, s12, s10
	s_mul_i32 s13, s8, s7
	s_add_i32 s10, s10, s11
	s_mul_hi_u32 s12, s7, s13
	s_mul_hi_u32 s14, s2, s13
	s_mul_i32 s11, s2, s13
	s_mul_hi_u32 s13, s7, s10
	s_mul_i32 s7, s7, s10
	s_mul_hi_u32 s18, s2, s10
	s_add_u32 s7, s12, s7
	s_addc_u32 s12, 0, s13
	s_add_u32 s7, s7, s11
	s_mul_i32 s10, s2, s10
	s_addc_u32 s7, s12, s14
	s_addc_u32 s11, s18, 0
	s_add_u32 s7, s7, s10
	s_addc_u32 s10, 0, s11
	v_add_co_u32 v1, s7, v1, s7
	s_delay_alu instid0(VALU_DEP_1) | instskip(SKIP_1) | instid1(VALU_DEP_1)
	s_cmp_lg_u32 s7, 0
	s_addc_u32 s2, s2, s10
	v_readfirstlane_b32 s7, v1
	s_mul_i32 s10, s8, s2
	s_delay_alu instid0(VALU_DEP_1)
	s_mul_hi_u32 s11, s8, s7
	s_mul_i32 s9, s9, s7
	s_add_i32 s10, s11, s10
	s_mul_i32 s8, s8, s7
	s_add_i32 s10, s10, s9
	s_mul_hi_u32 s11, s2, s8
	s_mul_i32 s12, s2, s8
	s_mul_hi_u32 s8, s7, s8
	s_mul_hi_u32 s13, s7, s10
	s_mul_i32 s7, s7, s10
	s_mul_hi_u32 s9, s2, s10
	s_add_u32 s7, s8, s7
	s_addc_u32 s8, 0, s13
	s_add_u32 s7, s7, s12
	s_mul_i32 s10, s2, s10
	s_addc_u32 s7, s8, s11
	s_addc_u32 s8, s9, 0
	s_add_u32 s7, s7, s10
	s_addc_u32 s8, 0, s8
	v_add_co_u32 v1, s7, v1, s7
	s_delay_alu instid0(VALU_DEP_1) | instskip(SKIP_2) | instid1(VALU_DEP_1)
	s_cmp_lg_u32 s7, 0
	s_addc_u32 s7, s2, s8
	s_ashr_i32 s8, s3, 31
	v_readfirstlane_b32 s10, v1
	s_add_u32 s2, s6, s8
	s_mov_b32 s9, s8
	s_addc_u32 s3, s3, s8
	s_delay_alu instid0(SALU_CYCLE_1) | instskip(NEXT) | instid1(SALU_CYCLE_1)
	s_xor_b64 s[2:3], s[2:3], s[8:9]
	s_mul_i32 s12, s2, s7
	s_mul_hi_u32 s13, s2, s10
	s_mul_hi_u32 s11, s2, s7
	;; [unrolled: 1-line block ×3, first 2 shown]
	s_mul_i32 s10, s3, s10
	s_add_u32 s12, s13, s12
	s_addc_u32 s11, 0, s11
	s_mul_hi_u32 s14, s3, s7
	s_add_u32 s10, s12, s10
	s_mul_i32 s7, s3, s7
	s_addc_u32 s10, s11, s18
	s_addc_u32 s11, s14, 0
	s_add_u32 s7, s10, s7
	s_addc_u32 s10, 0, s11
	s_mul_i32 s12, s29, s7
	s_add_u32 s11, s7, 1
	v_sub_co_u32 v1, s2, s2, s12
	s_mul_hi_u32 s12, s29, s7
	s_addc_u32 s13, s10, 0
	s_mul_i32 s14, s29, s10
	s_delay_alu instid0(VALU_DEP_1)
	v_sub_co_u32 v4, s18, v1, s29
	s_add_u32 s19, s7, 2
	s_addc_u32 s20, s10, 0
	s_add_i32 s12, s12, s14
	s_cmp_lg_u32 s2, 0
	v_readfirstlane_b32 s2, v4
	s_subb_u32 s3, s3, s12
	s_cmp_lg_u32 s18, 0
	s_subb_u32 s12, s3, 0
	s_delay_alu instid0(VALU_DEP_1) | instskip(SKIP_4) | instid1(SALU_CYCLE_1)
	s_cmp_ge_u32 s2, s29
	s_cselect_b32 s2, -1, 0
	s_cmp_eq_u32 s12, 0
	v_readfirstlane_b32 s12, v1
	s_cselect_b32 s2, s2, -1
	s_cmp_lg_u32 s2, 0
	s_cselect_b32 s2, s19, s11
	s_cselect_b32 s11, s20, s13
	s_cmp_ge_u32 s12, s29
	s_cselect_b32 s12, -1, 0
	s_cmp_eq_u32 s3, 0
	s_cselect_b32 s3, s12, -1
	s_delay_alu instid0(SALU_CYCLE_1) | instskip(SKIP_2) | instid1(SALU_CYCLE_1)
	s_cmp_lg_u32 s3, 0
	s_cselect_b32 s3, s11, s10
	s_cselect_b32 s2, s2, s7
	s_xor_b64 s[2:3], s[2:3], s[8:9]
	s_delay_alu instid0(SALU_CYCLE_1)
	s_sub_u32 s2, s2, s8
	s_subb_u32 s3, s3, s8
	s_cbranch_execnz .LBB19_5
.LBB19_4:
	v_cvt_f32_u32_e32 v1, s29
	s_sub_i32 s3, 0, s29
	s_delay_alu instid0(VALU_DEP_1) | instskip(SKIP_2) | instid1(VALU_DEP_1)
	v_rcp_iflag_f32_e32 v1, v1
	s_waitcnt_depctr 0xfff
	v_mul_f32_e32 v1, 0x4f7ffffe, v1
	v_cvt_u32_f32_e32 v1, v1
	s_delay_alu instid0(VALU_DEP_1) | instskip(NEXT) | instid1(VALU_DEP_1)
	v_readfirstlane_b32 s2, v1
	s_mul_i32 s3, s3, s2
	s_delay_alu instid0(SALU_CYCLE_1) | instskip(NEXT) | instid1(SALU_CYCLE_1)
	s_mul_hi_u32 s3, s2, s3
	s_add_i32 s2, s2, s3
	s_delay_alu instid0(SALU_CYCLE_1) | instskip(NEXT) | instid1(SALU_CYCLE_1)
	s_mul_hi_u32 s2, s6, s2
	s_mul_i32 s3, s2, s29
	s_delay_alu instid0(SALU_CYCLE_1)
	s_sub_i32 s3, s6, s3
	s_add_i32 s6, s2, 1
	s_sub_i32 s7, s3, s29
	s_cmp_ge_u32 s3, s29
	s_cselect_b32 s2, s6, s2
	s_cselect_b32 s3, s7, s3
	s_add_i32 s6, s2, 1
	s_cmp_ge_u32 s3, s29
	s_mov_b32 s3, 0
	s_cselect_b32 s2, s6, s2
.LBB19_5:
	v_mov_b32_e32 v1, 0
	s_add_u32 s2, s2, 1
	s_addc_u32 s3, s3, 0
	s_mul_hi_u32 s6, s28, s2
	s_mul_i32 s3, s28, s3
	v_mad_u64_u32 v[15:16], null, s5, s15, v[0:1]
	s_mul_hi_u32 s4, s4, s5
	s_add_i32 s3, s6, s3
	s_mul_i32 s4, s4, s2
	s_mul_i32 s2, s28, s2
	s_add_i32 s3, s3, s4
	s_mov_b32 s4, exec_lo
	s_lshl_b64 s[2:3], s[2:3], 2
	s_delay_alu instid0(SALU_CYCLE_1)
	v_cmpx_gt_i64_e64 s[2:3], v[15:16]
	s_cbranch_execz .LBB19_86
; %bb.6:
	v_alignbit_b32 v19, v3, v2, 2
	v_mad_u64_u32 v[6:7], null, 0xcd9e8d57, v15, 0
	v_lshrrev_b32_e32 v20, 2, v3
	s_waitcnt vmcnt(0)
	v_dual_mov_b32 v11, v14 :: v_dual_add_nc_u32 v28, 0x8ff34781, v13
	v_mad_u64_u32 v[4:5], null, 0xd2511f53, v19, 0
	v_add_co_u32 v22, null, 0x9e3779b9, v13
	v_xor3_b32 v3, v13, v7, v20
	s_delay_alu instid0(VALU_DEP_4) | instskip(SKIP_2) | instid1(VALU_DEP_4)
	v_add_co_u32 v21, null, 0xbb67ae85, v11
	v_add_co_u32 v23, null, 0x3c6ef372, v13
	v_xor_b32_e32 v0, v5, v14
	v_mad_u64_u32 v[7:8], null, 0xd2511f53, v3, 0
	v_add_co_u32 v24, null, 0x76cf5d0a, v11
	s_delay_alu instid0(VALU_DEP_3) | instskip(SKIP_2) | instid1(VALU_DEP_3)
	v_xor_b32_e32 v0, v0, v16
	v_add_co_u32 v25, null, 0x32370b8f, v11
	v_add_co_u32 v26, null, 0xdaa66d2b, v13
	v_mad_u64_u32 v[9:10], null, 0xcd9e8d57, v0, 0
	v_xor3_b32 v0, v21, v8, v4
	v_dual_mov_b32 v38, v15 :: v_dual_and_b32 v27, 3, v2
	v_add_co_u32 v29, null, 0x78dde6e4, v13
	s_delay_alu instid0(VALU_DEP_3) | instskip(SKIP_3) | instid1(VALU_DEP_3)
	v_mad_u64_u32 v[3:4], null, 0xcd9e8d57, v0, 0
	v_xor3_b32 v8, v22, v10, v6
	v_add_co_u32 v31, null, 0xed9eba14, v11
	v_add_co_u32 v33, null, 0xa9066899, v11
	v_mad_u64_u32 v[5:6], null, 0xd2511f53, v8, 0
	v_xor3_b32 v0, v23, v4, v9
	v_add_co_u32 v34, null, 0x1715609d, v13
	v_add_co_u32 v35, null, 0xb54cda56, v13
	;; [unrolled: 1-line block ×3, first 2 shown]
	v_xor3_b32 v4, v24, v6, v7
	v_mad_u64_u32 v[6:7], null, 0xd2511f53, v0, 0
	s_load_b256 s[4:11], s[0:1], 0x30
	v_add_co_u32 v32, null, 0x5384540f, v13
	s_delay_alu instid0(VALU_DEP_3) | instskip(SKIP_1) | instid1(VALU_DEP_4)
	v_mad_u64_u32 v[8:9], null, 0xcd9e8d57, v4, 0
	v_add_co_u32 v39, null, 0x1fd5c5a3, v11
	v_xor3_b32 v0, v25, v7, v5
	v_add_co_u32 v36, null, 0xf1bbcdc8, v13
	v_add_co_u32 v40, null, 0xdb3d7428, v11
	v_xor3_b32 v7, v26, v9, v3
	s_delay_alu instid0(VALU_DEP_4) | instskip(SKIP_2) | instid1(VALU_DEP_2)
	v_mad_u64_u32 v[2:3], null, 0xcd9e8d57, v0, 0
	s_add_u32 s18, s0, 48
	s_load_b64 s[20:21], s[0:1], 0x148
	v_mad_u64_u32 v[4:5], null, 0xd2511f53, v7, 0
	s_clause 0x1
	s_load_b64 s[22:23], s[0:1], 0xf4
	s_load_b128 s[12:15], s[0:1], 0x138
	s_addc_u32 s19, s1, 0
	v_xor3_b32 v0, v29, v3, v8
	s_waitcnt lgkmcnt(0)
	s_add_i32 s24, s4, -1
	v_mov_b32_e32 v41, v16
	s_cmp_gt_u32 s24, 1
	v_xor3_b32 v3, v31, v5, v6
	v_mad_u64_u32 v[5:6], null, 0xd2511f53, v0, 0
	s_cselect_b32 s11, -1, 0
	s_cmp_lg_u32 s4, 0
	s_delay_alu instid0(VALU_DEP_2) | instskip(SKIP_2) | instid1(VALU_DEP_2)
	v_mad_u64_u32 v[7:8], null, 0xcd9e8d57, v3, 0
	s_cselect_b32 s21, -1, 0
	s_add_u32 s0, s0, 0xf4
	v_xor3_b32 v0, v33, v6, v4
	s_addc_u32 s1, s1, 0
	s_min_u32 s25, s24, 15
	s_cmp_gt_u32 s4, 1
	s_delay_alu instid0(VALU_DEP_2) | instskip(SKIP_3) | instid1(VALU_DEP_2)
	v_xor3_b32 v4, v34, v8, v2
	v_mad_u64_u32 v[2:3], null, 0xcd9e8d57, v0, 0
	s_cselect_b32 s4, -1, 0
	s_add_i32 s25, s25, 1
	v_mad_u64_u32 v[8:9], null, 0xd2511f53, v4, 0
	s_lshl_b32 s31, s28, 1
	s_and_b32 s33, s25, 3
	s_delay_alu instid0(VALU_DEP_2) | instskip(SKIP_3) | instid1(VALU_DEP_2)
	v_xor3_b32 v0, v35, v3, v7
	s_cmp_lg_u32 s24, 2
	s_mov_b32 s30, 0
	s_cselect_b32 s34, -1, 0
	v_xor3_b32 v7, v37, v9, v5
	v_mad_u64_u32 v[3:4], null, 0xd2511f53, v0, 0
	s_and_b32 s35, s25, 28
	s_cmp_lg_u32 s33, 0
	s_delay_alu instid0(VALU_DEP_2) | instskip(SKIP_2) | instid1(VALU_DEP_2)
	v_mad_u64_u32 v[5:6], null, 0xcd9e8d57, v7, 0
	s_mul_i32 s36, s28, 3
	s_cselect_b32 s37, -1, 0
	v_xor3_b32 v0, v39, v4, v8
	s_delay_alu instid0(VALU_DEP_2) | instskip(NEXT) | instid1(VALU_DEP_2)
	v_xor3_b32 v2, v32, v6, v2
	v_mad_u64_u32 v[6:7], null, 0xcd9e8d57, v0, 0
	s_delay_alu instid0(VALU_DEP_2) | instskip(NEXT) | instid1(VALU_DEP_2)
	v_mad_u64_u32 v[8:9], null, 0xd2511f53, v2, 0
	v_xor3_b32 v0, v36, v7, v5
	s_delay_alu instid0(VALU_DEP_2) | instskip(NEXT) | instid1(VALU_DEP_2)
	v_xor3_b32 v2, v40, v9, v3
	v_mad_u64_u32 v[9:10], null, 0xd2511f53, v0, 0
	v_add_nc_u32_e32 v30, 0x96a522ad, v14
	s_delay_alu instid0(VALU_DEP_3) | instskip(NEXT) | instid1(VALU_DEP_3)
	v_mad_u64_u32 v[3:4], null, 0xcd9e8d57, v2, 0
	v_mov_b32_e32 v5, v9
	s_delay_alu instid0(VALU_DEP_2) | instskip(NEXT) | instid1(VALU_DEP_4)
	v_xor3_b32 v2, v4, v6, v28
	v_xor3_b32 v4, v10, v8, v30
	s_branch .LBB19_9
.LBB19_7:                               ;   in Loop: Header=BB19_9 Depth=1
	s_or_b32 exec_lo, exec_lo, s24
	s_delay_alu instid0(VALU_DEP_1)
	v_add_nc_u32_e32 v0, s20, v0
	global_store_b16 v2, v0, s[12:13]
.LBB19_8:                               ;   in Loop: Header=BB19_9 Depth=1
	s_or_b32 exec_lo, exec_lo, s38
	v_add_co_u32 v15, vcc_lo, v15, s29
	v_add_co_ci_u32_e32 v16, vcc_lo, 0, v16, vcc_lo
	v_mov_b32_e32 v9, v17
	v_dual_mov_b32 v2, v6 :: v_dual_mov_b32 v3, v7
	s_delay_alu instid0(VALU_DEP_3) | instskip(NEXT) | instid1(VALU_DEP_3)
	v_cmp_le_i64_e32 vcc_lo, s[2:3], v[15:16]
	v_dual_mov_b32 v4, v8 :: v_dual_mov_b32 v5, v9
	s_waitcnt_vscnt null, 0x0
	s_barrier
	buffer_gl0_inv
	s_or_b32 s30, vcc_lo, s30
	s_delay_alu instid0(SALU_CYCLE_1)
	s_and_not1_b32 exec_lo, exec_lo, s30
	s_cbranch_execz .LBB19_86
.LBB19_9:                               ; =>This Loop Header: Depth=1
                                        ;     Child Loop BB19_24 Depth 2
                                        ;     Child Loop BB19_29 Depth 2
	;; [unrolled: 1-line block ×8, first 2 shown]
	v_add_co_u32 v19, vcc_lo, v19, 1
	s_delay_alu instid0(VALU_DEP_1) | instskip(SKIP_1) | instid1(VALU_DEP_3)
	v_cndmask_b32_e64 v0, 0, 1, vcc_lo
	v_add_co_ci_u32_e32 v20, vcc_lo, 0, v20, vcc_lo
	v_mad_u64_u32 v[6:7], null, 0xd2511f53, v19, 0
	s_mov_b32 s24, exec_lo
	s_delay_alu instid0(VALU_DEP_2) | instskip(SKIP_1) | instid1(VALU_DEP_1)
	v_cmp_eq_u32_e32 vcc_lo, 0, v20
	v_cndmask_b32_e32 v0, 0, v0, vcc_lo
	v_add_nc_u32_e32 v38, v0, v38
	s_delay_alu instid0(VALU_DEP_1) | instskip(SKIP_2) | instid1(VALU_DEP_1)
	v_cmp_eq_u32_e32 vcc_lo, 0, v38
	v_mad_u64_u32 v[8:9], null, 0xcd9e8d57, v38, 0
	v_cndmask_b32_e32 v0, 0, v0, vcc_lo
	v_add_nc_u32_e32 v41, v0, v41
	v_xor_b32_e32 v0, v7, v14
	s_delay_alu instid0(VALU_DEP_4) | instskip(NEXT) | instid1(VALU_DEP_2)
	v_xor3_b32 v7, v9, v13, v20
	v_xor_b32_e32 v0, v41, v0
	s_delay_alu instid0(VALU_DEP_2) | instskip(NEXT) | instid1(VALU_DEP_2)
	v_mad_u64_u32 v[9:10], null, 0xd2511f53, v7, 0
	v_mad_u64_u32 v[11:12], null, 0xcd9e8d57, v0, 0
	s_delay_alu instid0(VALU_DEP_2) | instskip(NEXT) | instid1(VALU_DEP_2)
	v_xor3_b32 v0, v21, v10, v6
	v_xor3_b32 v8, v22, v12, v8
	s_delay_alu instid0(VALU_DEP_2) | instskip(NEXT) | instid1(VALU_DEP_2)
	v_mad_u64_u32 v[6:7], null, 0xcd9e8d57, v0, 0
	v_mad_u64_u32 v[17:18], null, 0xd2511f53, v8, 0
	s_delay_alu instid0(VALU_DEP_2) | instskip(NEXT) | instid1(VALU_DEP_2)
	v_xor3_b32 v0, v23, v7, v11
	v_xor3_b32 v11, v24, v18, v9
	;; [unrolled: 6-line block ×9, first 2 shown]
	s_delay_alu instid0(VALU_DEP_2)
	v_mov_b32_e32 v8, v12
	v_cmpx_lt_i32_e32 1, v27
	s_xor_b32 s24, exec_lo, s24
	s_cbranch_execnz .LBB19_12
; %bb.10:                               ;   in Loop: Header=BB19_9 Depth=1
	s_and_not1_saveexec_b32 s24, s24
	s_cbranch_execnz .LBB19_17
.LBB19_11:                              ;   in Loop: Header=BB19_9 Depth=1
	s_or_b32 exec_lo, exec_lo, s24
	s_delay_alu instid0(SALU_CYCLE_1)
	s_mov_b32 s38, exec_lo
	v_cmpx_gt_i64_e64 s[16:17], v[15:16]
	s_cbranch_execnz .LBB19_20
	s_branch .LBB19_36
.LBB19_12:                              ;   in Loop: Header=BB19_9 Depth=1
	s_mov_b32 s25, exec_lo
	v_cmpx_lt_i32_e32 2, v27
	s_xor_b32 s25, exec_lo, s25
; %bb.13:                               ;   in Loop: Header=BB19_9 Depth=1
	v_dual_mov_b32 v9, v5 :: v_dual_mov_b32 v10, v6
	v_mov_b32_e32 v11, v7
	s_delay_alu instid0(VALU_DEP_2) | instskip(NEXT) | instid1(VALU_DEP_2)
	v_dual_mov_b32 v2, v9 :: v_dual_mov_b32 v3, v10
	v_dual_mov_b32 v4, v11 :: v_dual_mov_b32 v5, v12
; %bb.14:                               ;   in Loop: Header=BB19_9 Depth=1
	s_and_not1_saveexec_b32 s25, s25
; %bb.15:                               ;   in Loop: Header=BB19_9 Depth=1
	s_delay_alu instid0(VALU_DEP_1)
	v_dual_mov_b32 v2, v4 :: v_dual_mov_b32 v3, v5
	v_dual_mov_b32 v4, v6 :: v_dual_mov_b32 v5, v7
; %bb.16:                               ;   in Loop: Header=BB19_9 Depth=1
	s_or_b32 exec_lo, exec_lo, s25
	s_and_not1_saveexec_b32 s24, s24
	s_cbranch_execz .LBB19_11
.LBB19_17:                              ;   in Loop: Header=BB19_9 Depth=1
	s_mov_b32 s25, exec_lo
	v_cmpx_eq_u32_e32 1, v27
; %bb.18:                               ;   in Loop: Header=BB19_9 Depth=1
	v_dual_mov_b32 v2, v3 :: v_dual_mov_b32 v3, v4
	v_dual_mov_b32 v4, v5 :: v_dual_mov_b32 v5, v6
; %bb.19:                               ;   in Loop: Header=BB19_9 Depth=1
	s_or_b32 exec_lo, exec_lo, s25
	s_delay_alu instid0(SALU_CYCLE_1) | instskip(NEXT) | instid1(SALU_CYCLE_1)
	s_or_b32 exec_lo, exec_lo, s24
	s_mov_b32 s38, exec_lo
	v_cmpx_gt_i64_e64 s[16:17], v[15:16]
	s_cbranch_execz .LBB19_36
.LBB19_20:                              ;   in Loop: Header=BB19_9 Depth=1
	s_and_not1_b32 vcc_lo, exec_lo, s11
	s_cbranch_vccnz .LBB19_26
; %bb.21:                               ;   in Loop: Header=BB19_9 Depth=1
	v_mov_b32_e32 v9, 0
	s_and_not1_b32 vcc_lo, exec_lo, s21
	s_cbranch_vccnz .LBB19_30
; %bb.22:                               ;   in Loop: Header=BB19_9 Depth=1
	s_and_not1_b32 vcc_lo, exec_lo, s34
	s_mov_b32 s24, 0
	s_cbranch_vccnz .LBB19_27
; %bb.23:                               ;   in Loop: Header=BB19_9 Depth=1
	v_dual_mov_b32 v9, 0 :: v_dual_mov_b32 v0, v15
	s_mov_b32 s39, 0
	s_mov_b64 s[24:25], s[18:19]
	s_mov_b64 s[26:27], s[0:1]
.LBB19_24:                              ;   Parent Loop BB19_9 Depth=1
                                        ; =>  This Inner Loop Header: Depth=2
	s_clause 0x1
	s_load_b256 s[40:47], s[24:25], 0x4
	s_load_b128 s[48:51], s[24:25], 0x24
	s_load_b128 s[52:55], s[26:27], 0x0
	s_add_u32 s24, s24, 48
	s_addc_u32 s25, s25, 0
	s_add_i32 s39, s39, 4
	s_add_u32 s26, s26, 16
	s_addc_u32 s27, s27, 0
	s_cmp_lg_u32 s35, s39
	s_waitcnt lgkmcnt(0)
	v_mul_hi_u32 v10, s41, v0
	s_delay_alu instid0(VALU_DEP_1) | instskip(NEXT) | instid1(VALU_DEP_1)
	v_add_nc_u32_e32 v10, v0, v10
	v_lshrrev_b32_e32 v10, s42, v10
	s_delay_alu instid0(VALU_DEP_1) | instskip(SKIP_1) | instid1(VALU_DEP_2)
	v_mul_hi_u32 v11, s44, v10
	v_mul_lo_u32 v42, v10, s40
	v_add_nc_u32_e32 v11, v10, v11
	s_delay_alu instid0(VALU_DEP_2) | instskip(NEXT) | instid1(VALU_DEP_2)
	v_sub_nc_u32_e32 v42, v0, v42
	v_lshrrev_b32_e32 v11, s45, v11
	s_delay_alu instid0(VALU_DEP_2) | instskip(NEXT) | instid1(VALU_DEP_2)
	v_mul_lo_u32 v42, v42, s52
	v_mul_hi_u32 v12, s47, v11
	v_mul_lo_u32 v43, v11, s43
	s_delay_alu instid0(VALU_DEP_2) | instskip(NEXT) | instid1(VALU_DEP_2)
	v_add_nc_u32_e32 v12, v11, v12
	v_sub_nc_u32_e32 v10, v10, v43
	s_delay_alu instid0(VALU_DEP_2) | instskip(NEXT) | instid1(VALU_DEP_2)
	v_lshrrev_b32_e32 v12, s48, v12
	v_mul_lo_u32 v10, v10, s53
	s_delay_alu instid0(VALU_DEP_2) | instskip(NEXT) | instid1(VALU_DEP_2)
	v_mul_hi_u32 v18, s50, v12
	v_add3_u32 v9, v42, v9, v10
	s_delay_alu instid0(VALU_DEP_2) | instskip(NEXT) | instid1(VALU_DEP_1)
	v_add_nc_u32_e32 v18, v12, v18
	v_lshrrev_b32_e32 v0, s51, v18
	v_mul_lo_u32 v18, v12, s46
	s_delay_alu instid0(VALU_DEP_2) | instskip(NEXT) | instid1(VALU_DEP_2)
	v_mul_lo_u32 v44, v0, s49
	v_sub_nc_u32_e32 v11, v11, v18
	s_delay_alu instid0(VALU_DEP_2) | instskip(NEXT) | instid1(VALU_DEP_2)
	v_sub_nc_u32_e32 v12, v12, v44
	v_mul_lo_u32 v11, v11, s54
	s_delay_alu instid0(VALU_DEP_2) | instskip(NEXT) | instid1(VALU_DEP_1)
	v_mul_lo_u32 v12, v12, s55
	v_add3_u32 v9, v11, v9, v12
	s_cbranch_scc1 .LBB19_24
; %bb.25:                               ;   in Loop: Header=BB19_9 Depth=1
	s_mov_b32 s24, s35
	s_and_not1_b32 vcc_lo, exec_lo, s37
	s_cbranch_vccz .LBB19_28
	s_branch .LBB19_30
.LBB19_26:                              ;   in Loop: Header=BB19_9 Depth=1
                                        ; implicit-def: $vgpr9
	s_branch .LBB19_31
.LBB19_27:                              ;   in Loop: Header=BB19_9 Depth=1
	v_mov_b32_e32 v0, v15
	s_and_not1_b32 vcc_lo, exec_lo, s37
	s_cbranch_vccnz .LBB19_30
.LBB19_28:                              ;   in Loop: Header=BB19_9 Depth=1
	s_lshl_b32 s25, s24, 2
	s_mul_i32 s26, s24, 12
	s_add_u32 s24, s0, s25
	s_addc_u32 s25, s1, 0
	s_add_u32 s26, s18, s26
	s_addc_u32 s27, s19, 0
	s_mov_b32 s39, s33
	.p2align	6
.LBB19_29:                              ;   Parent Loop BB19_9 Depth=1
                                        ; =>  This Inner Loop Header: Depth=2
	s_clause 0x1
	s_load_b64 s[40:41], s[26:27], 0x4
	s_load_b32 s42, s[26:27], 0xc
	s_add_u32 s26, s26, 12
	s_addc_u32 s27, s27, 0
	s_waitcnt lgkmcnt(0)
	v_mul_hi_u32 v10, s41, v0
	s_load_b32 s41, s[24:25], 0x0
	s_add_u32 s24, s24, 4
	s_addc_u32 s25, s25, 0
	s_add_i32 s39, s39, -1
	s_delay_alu instid0(SALU_CYCLE_1) | instskip(NEXT) | instid1(VALU_DEP_1)
	s_cmp_lg_u32 s39, 0
	v_add_nc_u32_e32 v10, v0, v10
	s_delay_alu instid0(VALU_DEP_1) | instskip(NEXT) | instid1(VALU_DEP_1)
	v_lshrrev_b32_e32 v12, s42, v10
	v_mul_lo_u32 v10, v12, s40
	s_delay_alu instid0(VALU_DEP_1) | instskip(SKIP_1) | instid1(VALU_DEP_1)
	v_sub_nc_u32_e32 v0, v0, v10
	s_waitcnt lgkmcnt(0)
	v_mad_u64_u32 v[10:11], null, v0, s41, v[9:10]
	s_delay_alu instid0(VALU_DEP_1)
	v_dual_mov_b32 v0, v12 :: v_dual_mov_b32 v9, v10
	s_cbranch_scc1 .LBB19_29
.LBB19_30:                              ;   in Loop: Header=BB19_9 Depth=1
	s_cbranch_execnz .LBB19_33
.LBB19_31:                              ;   in Loop: Header=BB19_9 Depth=1
	v_mul_hi_u32 v0, v15, s6
	s_and_not1_b32 vcc_lo, exec_lo, s4
	s_delay_alu instid0(VALU_DEP_1) | instskip(NEXT) | instid1(VALU_DEP_1)
	v_add_nc_u32_e32 v0, v0, v15
	v_lshrrev_b32_e32 v0, s7, v0
	s_delay_alu instid0(VALU_DEP_1) | instskip(NEXT) | instid1(VALU_DEP_1)
	v_mul_lo_u32 v9, v0, s5
	v_sub_nc_u32_e32 v9, v15, v9
	s_delay_alu instid0(VALU_DEP_1)
	v_mul_lo_u32 v9, v9, s22
	s_cbranch_vccnz .LBB19_33
; %bb.32:                               ;   in Loop: Header=BB19_9 Depth=1
	v_mul_hi_u32 v10, s9, v0
	s_delay_alu instid0(VALU_DEP_1) | instskip(NEXT) | instid1(VALU_DEP_1)
	v_add_nc_u32_e32 v10, v0, v10
	v_lshrrev_b32_e32 v10, s10, v10
	s_delay_alu instid0(VALU_DEP_1) | instskip(NEXT) | instid1(VALU_DEP_1)
	v_mul_lo_u32 v10, v10, s8
	v_sub_nc_u32_e32 v0, v0, v10
	s_delay_alu instid0(VALU_DEP_1) | instskip(NEXT) | instid1(VALU_DEP_1)
	v_mad_u64_u32 v[10:11], null, v0, s23, v[9:10]
	v_mov_b32_e32 v9, v10
.LBB19_33:                              ;   in Loop: Header=BB19_9 Depth=1
	v_mov_b32_e32 v0, v2
	s_mov_b32 s24, exec_lo
	s_delay_alu instid0(VALU_DEP_1)
	v_cmpx_le_u64_e64 s[14:15], v[0:1]
	s_cbranch_execz .LBB19_35
; %bb.34:                               ;   in Loop: Header=BB19_9 Depth=1
	v_cvt_f32_u32_e32 v2, s14
	s_sub_i32 s25, 0, s14
	s_delay_alu instid0(VALU_DEP_1) | instskip(SKIP_2) | instid1(VALU_DEP_1)
	v_rcp_iflag_f32_e32 v2, v2
	s_waitcnt_depctr 0xfff
	v_mul_f32_e32 v2, 0x4f7ffffe, v2
	v_cvt_u32_f32_e32 v2, v2
	s_delay_alu instid0(VALU_DEP_1) | instskip(NEXT) | instid1(VALU_DEP_1)
	v_mul_lo_u32 v10, s25, v2
	v_mul_hi_u32 v10, v2, v10
	s_delay_alu instid0(VALU_DEP_1) | instskip(NEXT) | instid1(VALU_DEP_1)
	v_add_nc_u32_e32 v2, v2, v10
	v_mul_hi_u32 v2, v0, v2
	s_delay_alu instid0(VALU_DEP_1) | instskip(NEXT) | instid1(VALU_DEP_1)
	v_mul_lo_u32 v2, v2, s14
	v_sub_nc_u32_e32 v0, v0, v2
	s_delay_alu instid0(VALU_DEP_1) | instskip(SKIP_1) | instid1(VALU_DEP_2)
	v_subrev_nc_u32_e32 v2, s14, v0
	v_cmp_le_u32_e32 vcc_lo, s14, v0
	v_cndmask_b32_e32 v0, v0, v2, vcc_lo
	s_delay_alu instid0(VALU_DEP_1) | instskip(SKIP_1) | instid1(VALU_DEP_2)
	v_subrev_nc_u32_e32 v2, s14, v0
	v_cmp_le_u32_e32 vcc_lo, s14, v0
	v_cndmask_b32_e32 v0, v0, v2, vcc_lo
.LBB19_35:                              ;   in Loop: Header=BB19_9 Depth=1
	s_or_b32 exec_lo, exec_lo, s24
	s_delay_alu instid0(VALU_DEP_1)
	v_add_nc_u32_e32 v0, s20, v0
	global_store_b16 v9, v0, s[12:13]
.LBB19_36:                              ;   in Loop: Header=BB19_9 Depth=1
	s_or_b32 exec_lo, exec_lo, s38
	v_add_co_u32 v9, vcc_lo, v15, s28
	v_add_co_ci_u32_e32 v10, vcc_lo, 0, v16, vcc_lo
	s_mov_b32 s38, exec_lo
	s_delay_alu instid0(VALU_DEP_1)
	v_cmpx_gt_i64_e64 s[16:17], v[9:10]
	s_cbranch_execz .LBB19_53
; %bb.37:                               ;   in Loop: Header=BB19_9 Depth=1
	s_and_not1_b32 vcc_lo, exec_lo, s11
	s_cbranch_vccnz .LBB19_43
; %bb.38:                               ;   in Loop: Header=BB19_9 Depth=1
	v_mov_b32_e32 v2, 0
	s_and_not1_b32 vcc_lo, exec_lo, s21
	s_cbranch_vccnz .LBB19_47
; %bb.39:                               ;   in Loop: Header=BB19_9 Depth=1
	s_and_not1_b32 vcc_lo, exec_lo, s34
	s_mov_b32 s24, 0
	s_cbranch_vccnz .LBB19_44
; %bb.40:                               ;   in Loop: Header=BB19_9 Depth=1
	v_mov_b32_e32 v2, 0
	v_mov_b32_e32 v0, v9
	s_mov_b32 s39, 0
	s_mov_b64 s[24:25], s[18:19]
	s_mov_b64 s[26:27], s[0:1]
.LBB19_41:                              ;   Parent Loop BB19_9 Depth=1
                                        ; =>  This Inner Loop Header: Depth=2
	s_clause 0x1
	s_load_b256 s[40:47], s[24:25], 0x4
	s_load_b128 s[48:51], s[24:25], 0x24
	s_load_b128 s[52:55], s[26:27], 0x0
	s_add_u32 s24, s24, 48
	s_addc_u32 s25, s25, 0
	s_add_i32 s39, s39, 4
	s_add_u32 s26, s26, 16
	s_addc_u32 s27, s27, 0
	s_cmp_eq_u32 s35, s39
	s_waitcnt lgkmcnt(0)
	v_mul_hi_u32 v10, s41, v0
	s_delay_alu instid0(VALU_DEP_1) | instskip(NEXT) | instid1(VALU_DEP_1)
	v_add_nc_u32_e32 v10, v0, v10
	v_lshrrev_b32_e32 v10, s42, v10
	s_delay_alu instid0(VALU_DEP_1) | instskip(SKIP_1) | instid1(VALU_DEP_2)
	v_mul_hi_u32 v11, s44, v10
	v_mul_lo_u32 v42, v10, s40
	v_add_nc_u32_e32 v11, v10, v11
	s_delay_alu instid0(VALU_DEP_2) | instskip(NEXT) | instid1(VALU_DEP_2)
	v_sub_nc_u32_e32 v42, v0, v42
	v_lshrrev_b32_e32 v11, s45, v11
	s_delay_alu instid0(VALU_DEP_2) | instskip(NEXT) | instid1(VALU_DEP_2)
	v_mul_lo_u32 v42, v42, s52
	v_mul_hi_u32 v12, s47, v11
	v_mul_lo_u32 v43, v11, s43
	s_delay_alu instid0(VALU_DEP_2) | instskip(NEXT) | instid1(VALU_DEP_2)
	v_add_nc_u32_e32 v12, v11, v12
	v_sub_nc_u32_e32 v10, v10, v43
	s_delay_alu instid0(VALU_DEP_2) | instskip(NEXT) | instid1(VALU_DEP_2)
	v_lshrrev_b32_e32 v12, s48, v12
	v_mul_lo_u32 v10, v10, s53
	s_delay_alu instid0(VALU_DEP_2) | instskip(NEXT) | instid1(VALU_DEP_2)
	v_mul_hi_u32 v18, s50, v12
	v_add3_u32 v2, v42, v2, v10
	s_delay_alu instid0(VALU_DEP_2) | instskip(NEXT) | instid1(VALU_DEP_1)
	v_add_nc_u32_e32 v18, v12, v18
	v_lshrrev_b32_e32 v0, s51, v18
	v_mul_lo_u32 v18, v12, s46
	s_delay_alu instid0(VALU_DEP_2) | instskip(NEXT) | instid1(VALU_DEP_2)
	v_mul_lo_u32 v44, v0, s49
	v_sub_nc_u32_e32 v11, v11, v18
	s_delay_alu instid0(VALU_DEP_2) | instskip(NEXT) | instid1(VALU_DEP_2)
	v_sub_nc_u32_e32 v12, v12, v44
	v_mul_lo_u32 v11, v11, s54
	s_delay_alu instid0(VALU_DEP_2) | instskip(NEXT) | instid1(VALU_DEP_1)
	v_mul_lo_u32 v12, v12, s55
	v_add3_u32 v2, v11, v2, v12
	s_cbranch_scc0 .LBB19_41
; %bb.42:                               ;   in Loop: Header=BB19_9 Depth=1
	s_mov_b32 s24, s35
	s_and_not1_b32 vcc_lo, exec_lo, s37
	s_cbranch_vccz .LBB19_45
	s_branch .LBB19_47
.LBB19_43:                              ;   in Loop: Header=BB19_9 Depth=1
                                        ; implicit-def: $vgpr2
	s_branch .LBB19_48
.LBB19_44:                              ;   in Loop: Header=BB19_9 Depth=1
	v_mov_b32_e32 v0, v9
	s_and_not1_b32 vcc_lo, exec_lo, s37
	s_cbranch_vccnz .LBB19_47
.LBB19_45:                              ;   in Loop: Header=BB19_9 Depth=1
	s_lshl_b32 s25, s24, 2
	s_mul_i32 s26, s24, 12
	s_add_u32 s24, s0, s25
	s_addc_u32 s25, s1, 0
	s_add_u32 s26, s18, s26
	s_addc_u32 s27, s19, 0
	s_mov_b32 s39, s33
	.p2align	6
.LBB19_46:                              ;   Parent Loop BB19_9 Depth=1
                                        ; =>  This Inner Loop Header: Depth=2
	s_clause 0x1
	s_load_b64 s[40:41], s[26:27], 0x4
	s_load_b32 s42, s[26:27], 0xc
	s_add_u32 s26, s26, 12
	s_addc_u32 s27, s27, 0
	s_waitcnt lgkmcnt(0)
	v_mul_hi_u32 v10, s41, v0
	s_load_b32 s41, s[24:25], 0x0
	s_add_u32 s24, s24, 4
	s_addc_u32 s25, s25, 0
	s_add_i32 s39, s39, -1
	s_delay_alu instid0(SALU_CYCLE_1) | instskip(NEXT) | instid1(VALU_DEP_1)
	s_cmp_lg_u32 s39, 0
	v_add_nc_u32_e32 v10, v0, v10
	s_delay_alu instid0(VALU_DEP_1) | instskip(NEXT) | instid1(VALU_DEP_1)
	v_lshrrev_b32_e32 v12, s42, v10
	v_mul_lo_u32 v10, v12, s40
	s_delay_alu instid0(VALU_DEP_1) | instskip(SKIP_1) | instid1(VALU_DEP_1)
	v_sub_nc_u32_e32 v0, v0, v10
	s_waitcnt lgkmcnt(0)
	v_mad_u64_u32 v[10:11], null, v0, s41, v[2:3]
	v_mov_b32_e32 v0, v12
	s_delay_alu instid0(VALU_DEP_2)
	v_mov_b32_e32 v2, v10
	s_cbranch_scc1 .LBB19_46
.LBB19_47:                              ;   in Loop: Header=BB19_9 Depth=1
	s_cbranch_execnz .LBB19_50
.LBB19_48:                              ;   in Loop: Header=BB19_9 Depth=1
	v_mul_hi_u32 v0, v9, s6
	s_and_not1_b32 vcc_lo, exec_lo, s4
	s_delay_alu instid0(VALU_DEP_1) | instskip(NEXT) | instid1(VALU_DEP_1)
	v_add_nc_u32_e32 v0, v0, v9
	v_lshrrev_b32_e32 v0, s7, v0
	s_delay_alu instid0(VALU_DEP_1) | instskip(NEXT) | instid1(VALU_DEP_1)
	v_mul_lo_u32 v2, v0, s5
	v_sub_nc_u32_e32 v2, v9, v2
	s_delay_alu instid0(VALU_DEP_1)
	v_mul_lo_u32 v2, v2, s22
	s_cbranch_vccnz .LBB19_50
; %bb.49:                               ;   in Loop: Header=BB19_9 Depth=1
	v_mul_hi_u32 v9, s9, v0
	s_delay_alu instid0(VALU_DEP_1) | instskip(NEXT) | instid1(VALU_DEP_1)
	v_add_nc_u32_e32 v9, v0, v9
	v_lshrrev_b32_e32 v9, s10, v9
	s_delay_alu instid0(VALU_DEP_1) | instskip(NEXT) | instid1(VALU_DEP_1)
	v_mul_lo_u32 v9, v9, s8
	v_sub_nc_u32_e32 v0, v0, v9
	s_delay_alu instid0(VALU_DEP_1) | instskip(NEXT) | instid1(VALU_DEP_1)
	v_mad_u64_u32 v[9:10], null, v0, s23, v[2:3]
	v_mov_b32_e32 v2, v9
.LBB19_50:                              ;   in Loop: Header=BB19_9 Depth=1
	v_mov_b32_e32 v0, v3
	s_mov_b32 s24, exec_lo
	s_delay_alu instid0(VALU_DEP_1)
	v_cmpx_le_u64_e64 s[14:15], v[0:1]
	s_cbranch_execz .LBB19_52
; %bb.51:                               ;   in Loop: Header=BB19_9 Depth=1
	v_cvt_f32_u32_e32 v3, s14
	s_sub_i32 s25, 0, s14
	s_delay_alu instid0(VALU_DEP_1) | instskip(SKIP_2) | instid1(VALU_DEP_1)
	v_rcp_iflag_f32_e32 v3, v3
	s_waitcnt_depctr 0xfff
	v_mul_f32_e32 v3, 0x4f7ffffe, v3
	v_cvt_u32_f32_e32 v3, v3
	s_delay_alu instid0(VALU_DEP_1) | instskip(NEXT) | instid1(VALU_DEP_1)
	v_mul_lo_u32 v9, s25, v3
	v_mul_hi_u32 v9, v3, v9
	s_delay_alu instid0(VALU_DEP_1) | instskip(NEXT) | instid1(VALU_DEP_1)
	v_add_nc_u32_e32 v3, v3, v9
	v_mul_hi_u32 v3, v0, v3
	s_delay_alu instid0(VALU_DEP_1) | instskip(NEXT) | instid1(VALU_DEP_1)
	v_mul_lo_u32 v3, v3, s14
	v_sub_nc_u32_e32 v0, v0, v3
	s_delay_alu instid0(VALU_DEP_1) | instskip(SKIP_1) | instid1(VALU_DEP_2)
	v_subrev_nc_u32_e32 v3, s14, v0
	v_cmp_le_u32_e32 vcc_lo, s14, v0
	v_cndmask_b32_e32 v0, v0, v3, vcc_lo
	s_delay_alu instid0(VALU_DEP_1) | instskip(SKIP_1) | instid1(VALU_DEP_2)
	v_subrev_nc_u32_e32 v3, s14, v0
	v_cmp_le_u32_e32 vcc_lo, s14, v0
	v_cndmask_b32_e32 v0, v0, v3, vcc_lo
.LBB19_52:                              ;   in Loop: Header=BB19_9 Depth=1
	s_or_b32 exec_lo, exec_lo, s24
	s_delay_alu instid0(VALU_DEP_1)
	v_add_nc_u32_e32 v0, s20, v0
	global_store_b16 v2, v0, s[12:13]
.LBB19_53:                              ;   in Loop: Header=BB19_9 Depth=1
	s_or_b32 exec_lo, exec_lo, s38
	v_add_co_u32 v9, vcc_lo, v15, s31
	v_add_co_ci_u32_e32 v10, vcc_lo, 0, v16, vcc_lo
	s_mov_b32 s38, exec_lo
	s_delay_alu instid0(VALU_DEP_1)
	v_cmpx_gt_i64_e64 s[16:17], v[9:10]
	s_cbranch_execz .LBB19_70
; %bb.54:                               ;   in Loop: Header=BB19_9 Depth=1
	s_and_not1_b32 vcc_lo, exec_lo, s11
	s_cbranch_vccnz .LBB19_60
; %bb.55:                               ;   in Loop: Header=BB19_9 Depth=1
	v_mov_b32_e32 v2, 0
	s_and_not1_b32 vcc_lo, exec_lo, s21
	s_cbranch_vccnz .LBB19_64
; %bb.56:                               ;   in Loop: Header=BB19_9 Depth=1
	s_and_not1_b32 vcc_lo, exec_lo, s34
	s_mov_b32 s24, 0
	s_cbranch_vccnz .LBB19_61
; %bb.57:                               ;   in Loop: Header=BB19_9 Depth=1
	v_mov_b32_e32 v2, 0
	v_mov_b32_e32 v0, v9
	s_mov_b32 s39, 0
	s_mov_b64 s[24:25], s[18:19]
	s_mov_b64 s[26:27], s[0:1]
.LBB19_58:                              ;   Parent Loop BB19_9 Depth=1
                                        ; =>  This Inner Loop Header: Depth=2
	s_clause 0x1
	s_load_b256 s[40:47], s[24:25], 0x4
	s_load_b128 s[48:51], s[24:25], 0x24
	s_load_b128 s[52:55], s[26:27], 0x0
	s_add_u32 s24, s24, 48
	s_addc_u32 s25, s25, 0
	s_add_i32 s39, s39, 4
	s_add_u32 s26, s26, 16
	s_addc_u32 s27, s27, 0
	s_cmp_eq_u32 s35, s39
	s_waitcnt lgkmcnt(0)
	v_mul_hi_u32 v3, s41, v0
	s_delay_alu instid0(VALU_DEP_1) | instskip(NEXT) | instid1(VALU_DEP_1)
	v_add_nc_u32_e32 v3, v0, v3
	v_lshrrev_b32_e32 v3, s42, v3
	s_delay_alu instid0(VALU_DEP_1) | instskip(SKIP_1) | instid1(VALU_DEP_2)
	v_mul_hi_u32 v10, s44, v3
	v_mul_lo_u32 v18, v3, s40
	v_add_nc_u32_e32 v10, v3, v10
	s_delay_alu instid0(VALU_DEP_2) | instskip(NEXT) | instid1(VALU_DEP_2)
	v_sub_nc_u32_e32 v18, v0, v18
	v_lshrrev_b32_e32 v10, s45, v10
	s_delay_alu instid0(VALU_DEP_2) | instskip(NEXT) | instid1(VALU_DEP_2)
	v_mul_lo_u32 v18, v18, s52
	v_mul_hi_u32 v11, s47, v10
	v_mul_lo_u32 v42, v10, s43
	s_delay_alu instid0(VALU_DEP_2) | instskip(NEXT) | instid1(VALU_DEP_2)
	v_add_nc_u32_e32 v11, v10, v11
	v_sub_nc_u32_e32 v3, v3, v42
	s_delay_alu instid0(VALU_DEP_2) | instskip(NEXT) | instid1(VALU_DEP_2)
	v_lshrrev_b32_e32 v11, s48, v11
	v_mul_lo_u32 v3, v3, s53
	s_delay_alu instid0(VALU_DEP_2) | instskip(NEXT) | instid1(VALU_DEP_2)
	v_mul_hi_u32 v12, s50, v11
	v_add3_u32 v2, v18, v2, v3
	s_delay_alu instid0(VALU_DEP_2) | instskip(NEXT) | instid1(VALU_DEP_1)
	v_add_nc_u32_e32 v12, v11, v12
	v_lshrrev_b32_e32 v0, s51, v12
	v_mul_lo_u32 v12, v11, s46
	s_delay_alu instid0(VALU_DEP_2) | instskip(NEXT) | instid1(VALU_DEP_2)
	v_mul_lo_u32 v43, v0, s49
	v_sub_nc_u32_e32 v10, v10, v12
	s_delay_alu instid0(VALU_DEP_2) | instskip(NEXT) | instid1(VALU_DEP_2)
	v_sub_nc_u32_e32 v11, v11, v43
	v_mul_lo_u32 v10, v10, s54
	s_delay_alu instid0(VALU_DEP_2) | instskip(NEXT) | instid1(VALU_DEP_1)
	v_mul_lo_u32 v11, v11, s55
	v_add3_u32 v2, v10, v2, v11
	s_cbranch_scc0 .LBB19_58
; %bb.59:                               ;   in Loop: Header=BB19_9 Depth=1
	s_mov_b32 s24, s35
	s_and_not1_b32 vcc_lo, exec_lo, s37
	s_cbranch_vccz .LBB19_62
	s_branch .LBB19_64
.LBB19_60:                              ;   in Loop: Header=BB19_9 Depth=1
                                        ; implicit-def: $vgpr2
	s_branch .LBB19_65
.LBB19_61:                              ;   in Loop: Header=BB19_9 Depth=1
	v_mov_b32_e32 v0, v9
	s_and_not1_b32 vcc_lo, exec_lo, s37
	s_cbranch_vccnz .LBB19_64
.LBB19_62:                              ;   in Loop: Header=BB19_9 Depth=1
	s_lshl_b32 s25, s24, 2
	s_mul_i32 s26, s24, 12
	s_add_u32 s24, s0, s25
	s_addc_u32 s25, s1, 0
	s_add_u32 s26, s18, s26
	s_addc_u32 s27, s19, 0
	s_mov_b32 s39, s33
	.p2align	6
.LBB19_63:                              ;   Parent Loop BB19_9 Depth=1
                                        ; =>  This Inner Loop Header: Depth=2
	s_clause 0x1
	s_load_b64 s[40:41], s[26:27], 0x4
	s_load_b32 s42, s[26:27], 0xc
	s_add_u32 s26, s26, 12
	s_addc_u32 s27, s27, 0
	s_waitcnt lgkmcnt(0)
	v_mul_hi_u32 v3, s41, v0
	s_load_b32 s41, s[24:25], 0x0
	s_add_u32 s24, s24, 4
	s_addc_u32 s25, s25, 0
	s_add_i32 s39, s39, -1
	s_delay_alu instid0(SALU_CYCLE_1) | instskip(NEXT) | instid1(VALU_DEP_1)
	s_cmp_lg_u32 s39, 0
	v_add_nc_u32_e32 v3, v0, v3
	s_delay_alu instid0(VALU_DEP_1) | instskip(NEXT) | instid1(VALU_DEP_1)
	v_lshrrev_b32_e32 v3, s42, v3
	v_mul_lo_u32 v10, v3, s40
	s_delay_alu instid0(VALU_DEP_1) | instskip(SKIP_1) | instid1(VALU_DEP_1)
	v_sub_nc_u32_e32 v0, v0, v10
	s_waitcnt lgkmcnt(0)
	v_mad_u64_u32 v[10:11], null, v0, s41, v[2:3]
	v_mov_b32_e32 v0, v3
	s_delay_alu instid0(VALU_DEP_2)
	v_mov_b32_e32 v2, v10
	s_cbranch_scc1 .LBB19_63
.LBB19_64:                              ;   in Loop: Header=BB19_9 Depth=1
	s_cbranch_execnz .LBB19_67
.LBB19_65:                              ;   in Loop: Header=BB19_9 Depth=1
	v_mul_hi_u32 v0, v9, s6
	s_and_not1_b32 vcc_lo, exec_lo, s4
	s_delay_alu instid0(VALU_DEP_1) | instskip(NEXT) | instid1(VALU_DEP_1)
	v_add_nc_u32_e32 v0, v0, v9
	v_lshrrev_b32_e32 v0, s7, v0
	s_delay_alu instid0(VALU_DEP_1) | instskip(NEXT) | instid1(VALU_DEP_1)
	v_mul_lo_u32 v2, v0, s5
	v_sub_nc_u32_e32 v2, v9, v2
	s_delay_alu instid0(VALU_DEP_1)
	v_mul_lo_u32 v2, v2, s22
	s_cbranch_vccnz .LBB19_67
; %bb.66:                               ;   in Loop: Header=BB19_9 Depth=1
	v_mul_hi_u32 v3, s9, v0
	s_delay_alu instid0(VALU_DEP_1) | instskip(NEXT) | instid1(VALU_DEP_1)
	v_add_nc_u32_e32 v3, v0, v3
	v_lshrrev_b32_e32 v3, s10, v3
	s_delay_alu instid0(VALU_DEP_1) | instskip(NEXT) | instid1(VALU_DEP_1)
	v_mul_lo_u32 v3, v3, s8
	v_sub_nc_u32_e32 v0, v0, v3
	s_delay_alu instid0(VALU_DEP_1) | instskip(NEXT) | instid1(VALU_DEP_1)
	v_mad_u64_u32 v[9:10], null, v0, s23, v[2:3]
	v_mov_b32_e32 v2, v9
.LBB19_67:                              ;   in Loop: Header=BB19_9 Depth=1
	v_mov_b32_e32 v0, v4
	s_mov_b32 s24, exec_lo
	s_delay_alu instid0(VALU_DEP_1)
	v_cmpx_le_u64_e64 s[14:15], v[0:1]
	s_cbranch_execz .LBB19_69
; %bb.68:                               ;   in Loop: Header=BB19_9 Depth=1
	v_cvt_f32_u32_e32 v3, s14
	s_sub_i32 s25, 0, s14
	s_delay_alu instid0(VALU_DEP_1) | instskip(SKIP_2) | instid1(VALU_DEP_1)
	v_rcp_iflag_f32_e32 v3, v3
	s_waitcnt_depctr 0xfff
	v_mul_f32_e32 v3, 0x4f7ffffe, v3
	v_cvt_u32_f32_e32 v3, v3
	s_delay_alu instid0(VALU_DEP_1) | instskip(NEXT) | instid1(VALU_DEP_1)
	v_mul_lo_u32 v4, s25, v3
	v_mul_hi_u32 v4, v3, v4
	s_delay_alu instid0(VALU_DEP_1) | instskip(NEXT) | instid1(VALU_DEP_1)
	v_add_nc_u32_e32 v3, v3, v4
	v_mul_hi_u32 v3, v0, v3
	s_delay_alu instid0(VALU_DEP_1) | instskip(NEXT) | instid1(VALU_DEP_1)
	v_mul_lo_u32 v3, v3, s14
	v_sub_nc_u32_e32 v0, v0, v3
	s_delay_alu instid0(VALU_DEP_1) | instskip(SKIP_1) | instid1(VALU_DEP_2)
	v_subrev_nc_u32_e32 v3, s14, v0
	v_cmp_le_u32_e32 vcc_lo, s14, v0
	v_cndmask_b32_e32 v0, v0, v3, vcc_lo
	s_delay_alu instid0(VALU_DEP_1) | instskip(SKIP_1) | instid1(VALU_DEP_2)
	v_subrev_nc_u32_e32 v3, s14, v0
	v_cmp_le_u32_e32 vcc_lo, s14, v0
	v_cndmask_b32_e32 v0, v0, v3, vcc_lo
.LBB19_69:                              ;   in Loop: Header=BB19_9 Depth=1
	s_or_b32 exec_lo, exec_lo, s24
	s_delay_alu instid0(VALU_DEP_1)
	v_add_nc_u32_e32 v0, s20, v0
	global_store_b16 v2, v0, s[12:13]
.LBB19_70:                              ;   in Loop: Header=BB19_9 Depth=1
	s_or_b32 exec_lo, exec_lo, s38
	v_add_co_u32 v3, vcc_lo, v15, s36
	v_add_co_ci_u32_e32 v4, vcc_lo, 0, v16, vcc_lo
	s_mov_b32 s38, exec_lo
	s_delay_alu instid0(VALU_DEP_1)
	v_cmpx_gt_i64_e64 s[16:17], v[3:4]
	s_cbranch_execz .LBB19_8
; %bb.71:                               ;   in Loop: Header=BB19_9 Depth=1
	s_and_not1_b32 vcc_lo, exec_lo, s11
	s_cbranch_vccnz .LBB19_77
; %bb.72:                               ;   in Loop: Header=BB19_9 Depth=1
	v_mov_b32_e32 v2, 0
	s_and_not1_b32 vcc_lo, exec_lo, s21
	s_cbranch_vccnz .LBB19_81
; %bb.73:                               ;   in Loop: Header=BB19_9 Depth=1
	s_and_not1_b32 vcc_lo, exec_lo, s34
	s_mov_b32 s24, 0
	s_cbranch_vccnz .LBB19_78
; %bb.74:                               ;   in Loop: Header=BB19_9 Depth=1
	v_mov_b32_e32 v2, 0
	v_mov_b32_e32 v0, v3
	s_mov_b32 s39, 0
	s_mov_b64 s[24:25], s[18:19]
	s_mov_b64 s[26:27], s[0:1]
.LBB19_75:                              ;   Parent Loop BB19_9 Depth=1
                                        ; =>  This Inner Loop Header: Depth=2
	s_clause 0x1
	s_load_b256 s[40:47], s[24:25], 0x4
	s_load_b128 s[48:51], s[24:25], 0x24
	s_load_b128 s[52:55], s[26:27], 0x0
	s_add_u32 s24, s24, 48
	s_addc_u32 s25, s25, 0
	s_add_i32 s39, s39, 4
	s_add_u32 s26, s26, 16
	s_addc_u32 s27, s27, 0
	s_cmp_eq_u32 s35, s39
	s_waitcnt lgkmcnt(0)
	v_mul_hi_u32 v4, s41, v0
	s_delay_alu instid0(VALU_DEP_1) | instskip(NEXT) | instid1(VALU_DEP_1)
	v_add_nc_u32_e32 v4, v0, v4
	v_lshrrev_b32_e32 v4, s42, v4
	s_delay_alu instid0(VALU_DEP_1) | instskip(SKIP_1) | instid1(VALU_DEP_2)
	v_mul_hi_u32 v9, s44, v4
	v_mul_lo_u32 v12, v4, s40
	v_add_nc_u32_e32 v9, v4, v9
	s_delay_alu instid0(VALU_DEP_2) | instskip(NEXT) | instid1(VALU_DEP_2)
	v_sub_nc_u32_e32 v12, v0, v12
	v_lshrrev_b32_e32 v9, s45, v9
	s_delay_alu instid0(VALU_DEP_2) | instskip(NEXT) | instid1(VALU_DEP_2)
	v_mul_lo_u32 v12, v12, s52
	v_mul_hi_u32 v10, s47, v9
	v_mul_lo_u32 v18, v9, s43
	s_delay_alu instid0(VALU_DEP_2) | instskip(NEXT) | instid1(VALU_DEP_2)
	v_add_nc_u32_e32 v10, v9, v10
	v_sub_nc_u32_e32 v4, v4, v18
	s_delay_alu instid0(VALU_DEP_2) | instskip(NEXT) | instid1(VALU_DEP_2)
	v_lshrrev_b32_e32 v10, s48, v10
	v_mul_lo_u32 v4, v4, s53
	s_delay_alu instid0(VALU_DEP_2) | instskip(NEXT) | instid1(VALU_DEP_2)
	v_mul_hi_u32 v11, s50, v10
	v_add3_u32 v2, v12, v2, v4
	s_delay_alu instid0(VALU_DEP_2) | instskip(NEXT) | instid1(VALU_DEP_1)
	v_add_nc_u32_e32 v11, v10, v11
	v_lshrrev_b32_e32 v0, s51, v11
	v_mul_lo_u32 v11, v10, s46
	s_delay_alu instid0(VALU_DEP_2) | instskip(NEXT) | instid1(VALU_DEP_2)
	v_mul_lo_u32 v42, v0, s49
	v_sub_nc_u32_e32 v9, v9, v11
	s_delay_alu instid0(VALU_DEP_2) | instskip(NEXT) | instid1(VALU_DEP_2)
	v_sub_nc_u32_e32 v10, v10, v42
	v_mul_lo_u32 v9, v9, s54
	s_delay_alu instid0(VALU_DEP_2) | instskip(NEXT) | instid1(VALU_DEP_1)
	v_mul_lo_u32 v10, v10, s55
	v_add3_u32 v2, v9, v2, v10
	s_cbranch_scc0 .LBB19_75
; %bb.76:                               ;   in Loop: Header=BB19_9 Depth=1
	s_mov_b32 s24, s35
	s_and_not1_b32 vcc_lo, exec_lo, s37
	s_cbranch_vccz .LBB19_79
	s_branch .LBB19_81
.LBB19_77:                              ;   in Loop: Header=BB19_9 Depth=1
                                        ; implicit-def: $vgpr2
	s_branch .LBB19_82
.LBB19_78:                              ;   in Loop: Header=BB19_9 Depth=1
	v_mov_b32_e32 v0, v3
	s_and_not1_b32 vcc_lo, exec_lo, s37
	s_cbranch_vccnz .LBB19_81
.LBB19_79:                              ;   in Loop: Header=BB19_9 Depth=1
	s_lshl_b32 s25, s24, 2
	s_mul_i32 s26, s24, 12
	s_add_u32 s24, s0, s25
	s_addc_u32 s25, s1, 0
	s_add_u32 s26, s18, s26
	s_addc_u32 s27, s19, 0
	s_mov_b32 s39, s33
	.p2align	6
.LBB19_80:                              ;   Parent Loop BB19_9 Depth=1
                                        ; =>  This Inner Loop Header: Depth=2
	s_clause 0x1
	s_load_b64 s[40:41], s[26:27], 0x4
	s_load_b32 s42, s[26:27], 0xc
	s_add_u32 s26, s26, 12
	s_addc_u32 s27, s27, 0
	s_waitcnt lgkmcnt(0)
	v_mul_hi_u32 v4, s41, v0
	s_load_b32 s41, s[24:25], 0x0
	s_add_u32 s24, s24, 4
	s_addc_u32 s25, s25, 0
	s_add_i32 s39, s39, -1
	s_delay_alu instid0(SALU_CYCLE_1) | instskip(NEXT) | instid1(VALU_DEP_1)
	s_cmp_lg_u32 s39, 0
	v_add_nc_u32_e32 v4, v0, v4
	s_delay_alu instid0(VALU_DEP_1) | instskip(NEXT) | instid1(VALU_DEP_1)
	v_lshrrev_b32_e32 v4, s42, v4
	v_mul_lo_u32 v9, v4, s40
	s_delay_alu instid0(VALU_DEP_1) | instskip(SKIP_1) | instid1(VALU_DEP_1)
	v_sub_nc_u32_e32 v0, v0, v9
	s_waitcnt lgkmcnt(0)
	v_mad_u64_u32 v[9:10], null, v0, s41, v[2:3]
	v_mov_b32_e32 v0, v4
	s_delay_alu instid0(VALU_DEP_2)
	v_mov_b32_e32 v2, v9
	s_cbranch_scc1 .LBB19_80
.LBB19_81:                              ;   in Loop: Header=BB19_9 Depth=1
	s_cbranch_execnz .LBB19_84
.LBB19_82:                              ;   in Loop: Header=BB19_9 Depth=1
	v_mul_hi_u32 v0, v3, s6
	s_and_not1_b32 vcc_lo, exec_lo, s4
	s_delay_alu instid0(VALU_DEP_1) | instskip(NEXT) | instid1(VALU_DEP_1)
	v_add_nc_u32_e32 v0, v0, v3
	v_lshrrev_b32_e32 v0, s7, v0
	s_delay_alu instid0(VALU_DEP_1) | instskip(NEXT) | instid1(VALU_DEP_1)
	v_mul_lo_u32 v2, v0, s5
	v_sub_nc_u32_e32 v2, v3, v2
	s_delay_alu instid0(VALU_DEP_1)
	v_mul_lo_u32 v2, v2, s22
	s_cbranch_vccnz .LBB19_84
; %bb.83:                               ;   in Loop: Header=BB19_9 Depth=1
	v_mul_hi_u32 v3, s9, v0
	s_delay_alu instid0(VALU_DEP_1) | instskip(NEXT) | instid1(VALU_DEP_1)
	v_add_nc_u32_e32 v3, v0, v3
	v_lshrrev_b32_e32 v3, s10, v3
	s_delay_alu instid0(VALU_DEP_1) | instskip(NEXT) | instid1(VALU_DEP_1)
	v_mul_lo_u32 v3, v3, s8
	v_sub_nc_u32_e32 v0, v0, v3
	s_delay_alu instid0(VALU_DEP_1) | instskip(NEXT) | instid1(VALU_DEP_1)
	v_mad_u64_u32 v[3:4], null, v0, s23, v[2:3]
	v_mov_b32_e32 v2, v3
.LBB19_84:                              ;   in Loop: Header=BB19_9 Depth=1
	v_mov_b32_e32 v0, v5
	s_mov_b32 s24, exec_lo
	s_delay_alu instid0(VALU_DEP_1)
	v_cmpx_le_u64_e64 s[14:15], v[0:1]
	s_cbranch_execz .LBB19_7
; %bb.85:                               ;   in Loop: Header=BB19_9 Depth=1
	v_cvt_f32_u32_e32 v3, s14
	s_sub_i32 s25, 0, s14
	s_delay_alu instid0(VALU_DEP_1) | instskip(SKIP_2) | instid1(VALU_DEP_1)
	v_rcp_iflag_f32_e32 v3, v3
	s_waitcnt_depctr 0xfff
	v_mul_f32_e32 v3, 0x4f7ffffe, v3
	v_cvt_u32_f32_e32 v3, v3
	s_delay_alu instid0(VALU_DEP_1) | instskip(NEXT) | instid1(VALU_DEP_1)
	v_mul_lo_u32 v4, s25, v3
	v_mul_hi_u32 v4, v3, v4
	s_delay_alu instid0(VALU_DEP_1) | instskip(NEXT) | instid1(VALU_DEP_1)
	v_add_nc_u32_e32 v3, v3, v4
	v_mul_hi_u32 v3, v0, v3
	s_delay_alu instid0(VALU_DEP_1) | instskip(NEXT) | instid1(VALU_DEP_1)
	v_mul_lo_u32 v3, v3, s14
	v_sub_nc_u32_e32 v0, v0, v3
	s_delay_alu instid0(VALU_DEP_1) | instskip(SKIP_1) | instid1(VALU_DEP_2)
	v_subrev_nc_u32_e32 v3, s14, v0
	v_cmp_le_u32_e32 vcc_lo, s14, v0
	v_cndmask_b32_e32 v0, v0, v3, vcc_lo
	s_delay_alu instid0(VALU_DEP_1) | instskip(SKIP_1) | instid1(VALU_DEP_2)
	v_subrev_nc_u32_e32 v3, s14, v0
	v_cmp_le_u32_e32 vcc_lo, s14, v0
	v_cndmask_b32_e32 v0, v0, v3, vcc_lo
	s_branch .LBB19_7
.LBB19_86:
	s_endpgm
.LBB19_87:
                                        ; implicit-def: $sgpr2_sgpr3
	s_branch .LBB19_4
	.section	.rodata,"a",@progbits
	.p2align	6, 0x0
	.amdhsa_kernel _ZN2at6native12_GLOBAL__N_143distribution_elementwise_grid_stride_kernelIjLi4EZZZNS0_9templates4cuda21random_from_to_kernelIPNS_17CUDAGeneratorImplEEEvRNS_18TensorIteratorBaseEmlT_ENKUlvE_clEvENKUlvE3_clEvEUlP25hiprandStatePhilox4_32_10E0_ZNS1_27distribution_nullary_kernelIsj15HIP_vector_typeIjLj4EES7_SF_ZZZNS5_IS7_EEvS9_mlSA_ENKSB_clEvENKSC_clEvEUljE_EEvS9_T2_RKT3_T4_EUlijE0_EEvlNS_15PhiloxCudaStateET1_SK_
		.amdhsa_group_segment_fixed_size 0
		.amdhsa_private_segment_fixed_size 0
		.amdhsa_kernarg_size 592
		.amdhsa_user_sgpr_count 15
		.amdhsa_user_sgpr_dispatch_ptr 0
		.amdhsa_user_sgpr_queue_ptr 0
		.amdhsa_user_sgpr_kernarg_segment_ptr 1
		.amdhsa_user_sgpr_dispatch_id 0
		.amdhsa_user_sgpr_private_segment_size 0
		.amdhsa_wavefront_size32 1
		.amdhsa_uses_dynamic_stack 0
		.amdhsa_enable_private_segment 0
		.amdhsa_system_sgpr_workgroup_id_x 1
		.amdhsa_system_sgpr_workgroup_id_y 0
		.amdhsa_system_sgpr_workgroup_id_z 0
		.amdhsa_system_sgpr_workgroup_info 0
		.amdhsa_system_vgpr_workitem_id 0
		.amdhsa_next_free_vgpr 45
		.amdhsa_next_free_sgpr 56
		.amdhsa_reserve_vcc 1
		.amdhsa_float_round_mode_32 0
		.amdhsa_float_round_mode_16_64 0
		.amdhsa_float_denorm_mode_32 3
		.amdhsa_float_denorm_mode_16_64 3
		.amdhsa_dx10_clamp 1
		.amdhsa_ieee_mode 1
		.amdhsa_fp16_overflow 0
		.amdhsa_workgroup_processor_mode 1
		.amdhsa_memory_ordered 1
		.amdhsa_forward_progress 0
		.amdhsa_shared_vgpr_count 0
		.amdhsa_exception_fp_ieee_invalid_op 0
		.amdhsa_exception_fp_denorm_src 0
		.amdhsa_exception_fp_ieee_div_zero 0
		.amdhsa_exception_fp_ieee_overflow 0
		.amdhsa_exception_fp_ieee_underflow 0
		.amdhsa_exception_fp_ieee_inexact 0
		.amdhsa_exception_int_div_zero 0
	.end_amdhsa_kernel
	.section	.text._ZN2at6native12_GLOBAL__N_143distribution_elementwise_grid_stride_kernelIjLi4EZZZNS0_9templates4cuda21random_from_to_kernelIPNS_17CUDAGeneratorImplEEEvRNS_18TensorIteratorBaseEmlT_ENKUlvE_clEvENKUlvE3_clEvEUlP25hiprandStatePhilox4_32_10E0_ZNS1_27distribution_nullary_kernelIsj15HIP_vector_typeIjLj4EES7_SF_ZZZNS5_IS7_EEvS9_mlSA_ENKSB_clEvENKSC_clEvEUljE_EEvS9_T2_RKT3_T4_EUlijE0_EEvlNS_15PhiloxCudaStateET1_SK_,"axG",@progbits,_ZN2at6native12_GLOBAL__N_143distribution_elementwise_grid_stride_kernelIjLi4EZZZNS0_9templates4cuda21random_from_to_kernelIPNS_17CUDAGeneratorImplEEEvRNS_18TensorIteratorBaseEmlT_ENKUlvE_clEvENKUlvE3_clEvEUlP25hiprandStatePhilox4_32_10E0_ZNS1_27distribution_nullary_kernelIsj15HIP_vector_typeIjLj4EES7_SF_ZZZNS5_IS7_EEvS9_mlSA_ENKSB_clEvENKSC_clEvEUljE_EEvS9_T2_RKT3_T4_EUlijE0_EEvlNS_15PhiloxCudaStateET1_SK_,comdat
.Lfunc_end19:
	.size	_ZN2at6native12_GLOBAL__N_143distribution_elementwise_grid_stride_kernelIjLi4EZZZNS0_9templates4cuda21random_from_to_kernelIPNS_17CUDAGeneratorImplEEEvRNS_18TensorIteratorBaseEmlT_ENKUlvE_clEvENKUlvE3_clEvEUlP25hiprandStatePhilox4_32_10E0_ZNS1_27distribution_nullary_kernelIsj15HIP_vector_typeIjLj4EES7_SF_ZZZNS5_IS7_EEvS9_mlSA_ENKSB_clEvENKSC_clEvEUljE_EEvS9_T2_RKT3_T4_EUlijE0_EEvlNS_15PhiloxCudaStateET1_SK_, .Lfunc_end19-_ZN2at6native12_GLOBAL__N_143distribution_elementwise_grid_stride_kernelIjLi4EZZZNS0_9templates4cuda21random_from_to_kernelIPNS_17CUDAGeneratorImplEEEvRNS_18TensorIteratorBaseEmlT_ENKUlvE_clEvENKUlvE3_clEvEUlP25hiprandStatePhilox4_32_10E0_ZNS1_27distribution_nullary_kernelIsj15HIP_vector_typeIjLj4EES7_SF_ZZZNS5_IS7_EEvS9_mlSA_ENKSB_clEvENKSC_clEvEUljE_EEvS9_T2_RKT3_T4_EUlijE0_EEvlNS_15PhiloxCudaStateET1_SK_
                                        ; -- End function
	.section	.AMDGPU.csdata,"",@progbits
; Kernel info:
; codeLenInByte = 5748
; NumSgprs: 58
; NumVgprs: 45
; ScratchSize: 0
; MemoryBound: 0
; FloatMode: 240
; IeeeMode: 1
; LDSByteSize: 0 bytes/workgroup (compile time only)
; SGPRBlocks: 7
; VGPRBlocks: 5
; NumSGPRsForWavesPerEU: 58
; NumVGPRsForWavesPerEU: 45
; Occupancy: 16
; WaveLimiterHint : 1
; COMPUTE_PGM_RSRC2:SCRATCH_EN: 0
; COMPUTE_PGM_RSRC2:USER_SGPR: 15
; COMPUTE_PGM_RSRC2:TRAP_HANDLER: 0
; COMPUTE_PGM_RSRC2:TGID_X_EN: 1
; COMPUTE_PGM_RSRC2:TGID_Y_EN: 0
; COMPUTE_PGM_RSRC2:TGID_Z_EN: 0
; COMPUTE_PGM_RSRC2:TIDIG_COMP_CNT: 0
	.section	.text._ZN2at6native12_GLOBAL__N_143distribution_elementwise_grid_stride_kernelImLi2EZZZNS0_9templates4cuda21random_from_to_kernelIPNS_17CUDAGeneratorImplEEEvRNS_18TensorIteratorBaseEmlT_ENKUlvE_clEvENKUlvE4_clEvEUlP25hiprandStatePhilox4_32_10E_ZNS1_27distribution_nullary_kernelIdm15HIP_vector_typeIyLj2EES7_SF_ZZZNS5_IS7_EEvS9_mlSA_ENKSB_clEvENKSC_clEvEUlmE_EEvS9_T2_RKT3_T4_EUlimE_EEvlNS_15PhiloxCudaStateET1_SK_,"axG",@progbits,_ZN2at6native12_GLOBAL__N_143distribution_elementwise_grid_stride_kernelImLi2EZZZNS0_9templates4cuda21random_from_to_kernelIPNS_17CUDAGeneratorImplEEEvRNS_18TensorIteratorBaseEmlT_ENKUlvE_clEvENKUlvE4_clEvEUlP25hiprandStatePhilox4_32_10E_ZNS1_27distribution_nullary_kernelIdm15HIP_vector_typeIyLj2EES7_SF_ZZZNS5_IS7_EEvS9_mlSA_ENKSB_clEvENKSC_clEvEUlmE_EEvS9_T2_RKT3_T4_EUlimE_EEvlNS_15PhiloxCudaStateET1_SK_,comdat
	.globl	_ZN2at6native12_GLOBAL__N_143distribution_elementwise_grid_stride_kernelImLi2EZZZNS0_9templates4cuda21random_from_to_kernelIPNS_17CUDAGeneratorImplEEEvRNS_18TensorIteratorBaseEmlT_ENKUlvE_clEvENKUlvE4_clEvEUlP25hiprandStatePhilox4_32_10E_ZNS1_27distribution_nullary_kernelIdm15HIP_vector_typeIyLj2EES7_SF_ZZZNS5_IS7_EEvS9_mlSA_ENKSB_clEvENKSC_clEvEUlmE_EEvS9_T2_RKT3_T4_EUlimE_EEvlNS_15PhiloxCudaStateET1_SK_ ; -- Begin function _ZN2at6native12_GLOBAL__N_143distribution_elementwise_grid_stride_kernelImLi2EZZZNS0_9templates4cuda21random_from_to_kernelIPNS_17CUDAGeneratorImplEEEvRNS_18TensorIteratorBaseEmlT_ENKUlvE_clEvENKUlvE4_clEvEUlP25hiprandStatePhilox4_32_10E_ZNS1_27distribution_nullary_kernelIdm15HIP_vector_typeIyLj2EES7_SF_ZZZNS5_IS7_EEvS9_mlSA_ENKSB_clEvENKSC_clEvEUlmE_EEvS9_T2_RKT3_T4_EUlimE_EEvlNS_15PhiloxCudaStateET1_SK_
	.p2align	8
	.type	_ZN2at6native12_GLOBAL__N_143distribution_elementwise_grid_stride_kernelImLi2EZZZNS0_9templates4cuda21random_from_to_kernelIPNS_17CUDAGeneratorImplEEEvRNS_18TensorIteratorBaseEmlT_ENKUlvE_clEvENKUlvE4_clEvEUlP25hiprandStatePhilox4_32_10E_ZNS1_27distribution_nullary_kernelIdm15HIP_vector_typeIyLj2EES7_SF_ZZZNS5_IS7_EEvS9_mlSA_ENKSB_clEvENKSC_clEvEUlmE_EEvS9_T2_RKT3_T4_EUlimE_EEvlNS_15PhiloxCudaStateET1_SK_,@function
_ZN2at6native12_GLOBAL__N_143distribution_elementwise_grid_stride_kernelImLi2EZZZNS0_9templates4cuda21random_from_to_kernelIPNS_17CUDAGeneratorImplEEEvRNS_18TensorIteratorBaseEmlT_ENKUlvE_clEvENKUlvE4_clEvEUlP25hiprandStatePhilox4_32_10E_ZNS1_27distribution_nullary_kernelIdm15HIP_vector_typeIyLj2EES7_SF_ZZZNS5_IS7_EEvS9_mlSA_ENKSB_clEvENKSC_clEvEUlmE_EEvS9_T2_RKT3_T4_EUlimE_EEvlNS_15PhiloxCudaStateET1_SK_: ; @_ZN2at6native12_GLOBAL__N_143distribution_elementwise_grid_stride_kernelImLi2EZZZNS0_9templates4cuda21random_from_to_kernelIPNS_17CUDAGeneratorImplEEEvRNS_18TensorIteratorBaseEmlT_ENKUlvE_clEvENKUlvE4_clEvEUlP25hiprandStatePhilox4_32_10E_ZNS1_27distribution_nullary_kernelIdm15HIP_vector_typeIyLj2EES7_SF_ZZZNS5_IS7_EEvS9_mlSA_ENKSB_clEvENKSC_clEvEUlmE_EEvS9_T2_RKT3_T4_EUlimE_EEvlNS_15PhiloxCudaStateET1_SK_
; %bb.0:
	s_clause 0x2
	s_load_b64 s[8:9], s[0:1], 0x10
	s_load_b128 s[4:7], s[0:1], 0x0
	s_load_b32 s2, s[0:1], 0x20
	s_waitcnt lgkmcnt(0)
	v_dual_mov_b32 v2, s8 :: v_dual_mov_b32 v3, s9
	v_dual_mov_b32 v12, s7 :: v_dual_mov_b32 v11, s6
	s_bitcmp0_b32 s2, 0
	s_mov_b32 s2, 0
	s_cbranch_scc1 .LBB20_2
; %bb.1:
	v_dual_mov_b32 v1, s8 :: v_dual_mov_b32 v2, s9
	v_dual_mov_b32 v4, s6 :: v_dual_mov_b32 v5, s7
	s_load_b64 s[6:7], s[0:1], 0x18
	flat_load_b64 v[2:3], v[1:2]
	flat_load_b64 v[11:12], v[4:5]
	s_waitcnt vmcnt(1) lgkmcnt(0)
	v_add_co_u32 v2, vcc_lo, v2, s6
	v_add_co_ci_u32_e32 v3, vcc_lo, s7, v3, vcc_lo
.LBB20_2:
	s_clause 0x1
	s_load_b32 s3, s[0:1], 0x5c
	s_load_b32 s16, s[0:1], 0x50
	s_waitcnt lgkmcnt(0)
	s_and_b32 s14, s3, 0xffff
	s_add_u32 s6, s4, -1
	s_mul_i32 s12, s16, s14
	s_addc_u32 s3, s5, -1
	s_lshl_b32 s13, s12, 1
	s_cmp_lg_u64 s[2:3], 0
	s_cbranch_scc0 .LBB20_31
; %bb.3:
	v_cvt_f32_ubyte0_e32 v1, 0
	v_cvt_f32_u32_e32 v4, s13
	s_sub_u32 s8, 0, s13
	s_subb_u32 s9, 0, 0
	s_delay_alu instid0(VALU_DEP_1) | instskip(NEXT) | instid1(VALU_DEP_1)
	v_fmamk_f32 v1, v1, 0x4f800000, v4
	v_rcp_f32_e32 v1, v1
	s_waitcnt_depctr 0xfff
	v_mul_f32_e32 v1, 0x5f7ffffc, v1
	s_delay_alu instid0(VALU_DEP_1) | instskip(NEXT) | instid1(VALU_DEP_1)
	v_mul_f32_e32 v4, 0x2f800000, v1
	v_trunc_f32_e32 v4, v4
	s_delay_alu instid0(VALU_DEP_1) | instskip(SKIP_1) | instid1(VALU_DEP_2)
	v_fmamk_f32 v1, v4, 0xcf800000, v1
	v_cvt_u32_f32_e32 v4, v4
	v_cvt_u32_f32_e32 v1, v1
	s_delay_alu instid0(VALU_DEP_2) | instskip(NEXT) | instid1(VALU_DEP_2)
	v_readfirstlane_b32 s2, v4
	v_readfirstlane_b32 s7, v1
	s_delay_alu instid0(VALU_DEP_2) | instskip(NEXT) | instid1(VALU_DEP_1)
	s_mul_i32 s10, s8, s2
	s_mul_hi_u32 s17, s8, s7
	s_mul_i32 s11, s9, s7
	s_add_i32 s10, s17, s10
	s_mul_i32 s18, s8, s7
	s_add_i32 s10, s10, s11
	s_mul_hi_u32 s17, s7, s18
	s_mul_hi_u32 s19, s2, s18
	s_mul_i32 s11, s2, s18
	s_mul_hi_u32 s18, s7, s10
	s_mul_i32 s7, s7, s10
	s_mul_hi_u32 s20, s2, s10
	s_add_u32 s7, s17, s7
	s_addc_u32 s17, 0, s18
	s_add_u32 s7, s7, s11
	s_mul_i32 s10, s2, s10
	s_addc_u32 s7, s17, s19
	s_addc_u32 s11, s20, 0
	s_add_u32 s7, s7, s10
	s_addc_u32 s10, 0, s11
	v_add_co_u32 v1, s7, v1, s7
	s_delay_alu instid0(VALU_DEP_1) | instskip(SKIP_1) | instid1(VALU_DEP_1)
	s_cmp_lg_u32 s7, 0
	s_addc_u32 s2, s2, s10
	v_readfirstlane_b32 s7, v1
	s_mul_i32 s10, s8, s2
	s_delay_alu instid0(VALU_DEP_1)
	s_mul_hi_u32 s11, s8, s7
	s_mul_i32 s9, s9, s7
	s_add_i32 s10, s11, s10
	s_mul_i32 s8, s8, s7
	s_add_i32 s10, s10, s9
	s_mul_hi_u32 s11, s2, s8
	s_mul_i32 s17, s2, s8
	s_mul_hi_u32 s8, s7, s8
	s_mul_hi_u32 s18, s7, s10
	s_mul_i32 s7, s7, s10
	s_mul_hi_u32 s9, s2, s10
	s_add_u32 s7, s8, s7
	s_addc_u32 s8, 0, s18
	s_add_u32 s7, s7, s17
	s_mul_i32 s10, s2, s10
	s_addc_u32 s7, s8, s11
	s_addc_u32 s8, s9, 0
	s_add_u32 s7, s7, s10
	s_addc_u32 s8, 0, s8
	v_add_co_u32 v1, s7, v1, s7
	s_delay_alu instid0(VALU_DEP_1) | instskip(SKIP_2) | instid1(VALU_DEP_1)
	s_cmp_lg_u32 s7, 0
	s_addc_u32 s7, s2, s8
	s_ashr_i32 s8, s3, 31
	v_readfirstlane_b32 s10, v1
	s_add_u32 s2, s6, s8
	s_mov_b32 s9, s8
	s_addc_u32 s3, s3, s8
	s_delay_alu instid0(SALU_CYCLE_1) | instskip(NEXT) | instid1(SALU_CYCLE_1)
	s_xor_b64 s[2:3], s[2:3], s[8:9]
	s_mul_i32 s17, s2, s7
	s_mul_hi_u32 s18, s2, s10
	s_mul_hi_u32 s11, s2, s7
	;; [unrolled: 1-line block ×3, first 2 shown]
	s_mul_i32 s10, s3, s10
	s_add_u32 s17, s18, s17
	s_addc_u32 s11, 0, s11
	s_mul_hi_u32 s19, s3, s7
	s_add_u32 s10, s17, s10
	s_mul_i32 s7, s3, s7
	s_addc_u32 s10, s11, s20
	s_addc_u32 s11, s19, 0
	s_add_u32 s7, s10, s7
	s_addc_u32 s10, 0, s11
	s_mul_i32 s17, s13, s7
	s_add_u32 s11, s7, 1
	v_sub_co_u32 v1, s2, s2, s17
	s_mul_hi_u32 s17, s13, s7
	s_addc_u32 s18, s10, 0
	s_mul_i32 s19, s13, s10
	s_delay_alu instid0(VALU_DEP_1)
	v_sub_co_u32 v4, s20, v1, s13
	s_add_u32 s21, s7, 2
	s_addc_u32 s22, s10, 0
	s_add_i32 s17, s17, s19
	s_cmp_lg_u32 s2, 0
	v_readfirstlane_b32 s2, v4
	s_subb_u32 s3, s3, s17
	s_cmp_lg_u32 s20, 0
	s_subb_u32 s17, s3, 0
	s_delay_alu instid0(VALU_DEP_1) | instskip(SKIP_4) | instid1(SALU_CYCLE_1)
	s_cmp_ge_u32 s2, s13
	s_cselect_b32 s2, -1, 0
	s_cmp_eq_u32 s17, 0
	v_readfirstlane_b32 s17, v1
	s_cselect_b32 s2, s2, -1
	s_cmp_lg_u32 s2, 0
	s_cselect_b32 s2, s21, s11
	s_cselect_b32 s11, s22, s18
	s_cmp_ge_u32 s17, s13
	s_cselect_b32 s17, -1, 0
	s_cmp_eq_u32 s3, 0
	s_cselect_b32 s3, s17, -1
	s_delay_alu instid0(SALU_CYCLE_1) | instskip(SKIP_2) | instid1(SALU_CYCLE_1)
	s_cmp_lg_u32 s3, 0
	s_cselect_b32 s3, s11, s10
	s_cselect_b32 s2, s2, s7
	s_xor_b64 s[2:3], s[2:3], s[8:9]
	s_delay_alu instid0(SALU_CYCLE_1)
	s_sub_u32 s2, s2, s8
	s_subb_u32 s3, s3, s8
	s_cbranch_execnz .LBB20_5
.LBB20_4:
	v_cvt_f32_u32_e32 v1, s13
	s_sub_i32 s3, 0, s13
	s_delay_alu instid0(VALU_DEP_1) | instskip(SKIP_2) | instid1(VALU_DEP_1)
	v_rcp_iflag_f32_e32 v1, v1
	s_waitcnt_depctr 0xfff
	v_mul_f32_e32 v1, 0x4f7ffffe, v1
	v_cvt_u32_f32_e32 v1, v1
	s_delay_alu instid0(VALU_DEP_1) | instskip(NEXT) | instid1(VALU_DEP_1)
	v_readfirstlane_b32 s2, v1
	s_mul_i32 s3, s3, s2
	s_delay_alu instid0(SALU_CYCLE_1) | instskip(NEXT) | instid1(SALU_CYCLE_1)
	s_mul_hi_u32 s3, s2, s3
	s_add_i32 s2, s2, s3
	s_delay_alu instid0(SALU_CYCLE_1) | instskip(NEXT) | instid1(SALU_CYCLE_1)
	s_mul_hi_u32 s2, s6, s2
	s_mul_i32 s3, s2, s13
	s_delay_alu instid0(SALU_CYCLE_1)
	s_sub_i32 s3, s6, s3
	s_add_i32 s6, s2, 1
	s_sub_i32 s7, s3, s13
	s_cmp_ge_u32 s3, s13
	s_cselect_b32 s2, s6, s2
	s_cselect_b32 s3, s7, s3
	s_add_i32 s6, s2, 1
	s_cmp_ge_u32 s3, s13
	s_mov_b32 s3, 0
	s_cselect_b32 s2, s6, s2
.LBB20_5:
	v_mov_b32_e32 v13, 0
	s_add_u32 s2, s2, 1
	s_addc_u32 s3, s3, 0
	s_mul_hi_u32 s6, s16, s14
	s_mul_hi_u32 s7, s12, s2
	v_mov_b32_e32 v1, v13
	s_mul_i32 s3, s12, s3
	s_mul_i32 s6, s6, s2
	s_add_i32 s3, s7, s3
	s_mul_i32 s2, s12, s2
	v_mad_u64_u32 v[15:16], null, s14, s15, v[0:1]
	s_add_i32 s3, s3, s6
	s_mov_b32 s6, exec_lo
	s_lshl_b64 s[2:3], s[2:3], 1
	s_delay_alu instid0(VALU_DEP_1) | instid1(SALU_CYCLE_1)
	v_cmpx_gt_i64_e64 s[2:3], v[15:16]
	s_cbranch_execz .LBB20_30
; %bb.6:
	v_alignbit_b32 v19, v3, v2, 2
	v_mad_u64_u32 v[6:7], null, 0xcd9e8d57, v15, 0
	v_lshrrev_b32_e32 v20, 2, v3
	s_waitcnt vmcnt(0)
	v_dual_mov_b32 v14, v12 :: v_dual_and_b32 v35, 3, v2
	v_mad_u64_u32 v[4:5], null, 0xd2511f53, v19, 0
	v_add_co_u32 v22, null, 0x9e3779b9, v11
	v_xor3_b32 v3, v11, v7, v20
	s_delay_alu instid0(VALU_DEP_4) | instskip(SKIP_2) | instid1(VALU_DEP_4)
	v_add_co_u32 v21, null, 0xbb67ae85, v14
	v_add_co_u32 v23, null, 0x3c6ef372, v11
	v_xor_b32_e32 v1, v5, v12
	v_mad_u64_u32 v[7:8], null, 0xd2511f53, v3, 0
	v_add_co_u32 v24, null, 0x76cf5d0a, v14
	s_delay_alu instid0(VALU_DEP_3) | instskip(SKIP_2) | instid1(VALU_DEP_3)
	v_xor_b32_e32 v1, v1, v16
	v_add_co_u32 v25, null, 0x32370b8f, v14
	v_add_co_u32 v26, null, 0xdaa66d2b, v11
	v_mad_u64_u32 v[9:10], null, 0xcd9e8d57, v1, 0
	v_xor3_b32 v1, v21, v8, v4
	v_add_co_u32 v27, null, 0x78dde6e4, v11
	v_add_co_u32 v28, null, 0xed9eba14, v14
	s_delay_alu instid0(VALU_DEP_3) | instskip(SKIP_3) | instid1(VALU_DEP_3)
	v_mad_u64_u32 v[3:4], null, 0xcd9e8d57, v1, 0
	v_xor3_b32 v8, v22, v10, v6
	v_add_co_u32 v29, null, 0xa9066899, v14
	v_add_co_u32 v30, null, 0x1715609d, v11
	v_mad_u64_u32 v[5:6], null, 0xd2511f53, v8, 0
	v_xor3_b32 v1, v23, v4, v9
	v_add_co_u32 v31, null, 0xb54cda56, v11
	v_add_co_u32 v32, null, 0x646e171e, v14
	;; [unrolled: 1-line block ×3, first 2 shown]
	v_xor3_b32 v4, v24, v6, v7
	v_mad_u64_u32 v[6:7], null, 0xd2511f53, v1, 0
	v_add_co_u32 v34, null, 0x5384540f, v11
	s_delay_alu instid0(VALU_DEP_3)
	v_mad_u64_u32 v[8:9], null, 0xcd9e8d57, v4, 0
	s_clause 0x2
	s_load_b64 s[6:7], s[0:1], 0x30
	s_load_b32 s17, s[0:1], 0x38
	s_load_b128 s[8:11], s[0:1], 0x40
	v_add_co_u32 v37, null, 0xf1bbcdc8, v11
	v_xor3_b32 v1, v25, v7, v5
	v_add_co_u32 v38, null, 0xdb3d7428, v14
	v_xor3_b32 v5, v26, v9, v3
	v_dual_mov_b32 v40, v15 :: v_dual_add_nc_u32 v39, 0x96a522ad, v12
	s_delay_alu instid0(VALU_DEP_4) | instskip(NEXT) | instid1(VALU_DEP_3)
	v_mad_u64_u32 v[3:4], null, 0xcd9e8d57, v1, 0
	v_mad_u64_u32 v[9:10], null, 0xd2511f53, v5, 0
	v_mov_b32_e32 v43, v16
	s_mov_b32 s1, 0
	s_delay_alu instid0(VALU_DEP_3) | instskip(NEXT) | instid1(VALU_DEP_3)
	v_xor3_b32 v1, v27, v4, v8
	v_xor3_b32 v8, v28, v10, v6
	s_waitcnt lgkmcnt(0)
	s_mul_i32 s0, s16, s17
	s_delay_alu instid0(VALU_DEP_2) | instskip(NEXT) | instid1(VALU_DEP_2)
	v_mad_u64_u32 v[4:5], null, 0xd2511f53, v1, 0
	v_mad_u64_u32 v[6:7], null, 0xcd9e8d57, v8, 0
	s_mul_i32 s0, s0, s14
	s_delay_alu instid0(VALU_DEP_2) | instskip(NEXT) | instid1(VALU_DEP_2)
	v_xor3_b32 v1, v29, v5, v9
	v_xor3_b32 v3, v30, v7, v3
	s_delay_alu instid0(VALU_DEP_2) | instskip(NEXT) | instid1(VALU_DEP_2)
	v_mad_u64_u32 v[7:8], null, 0xcd9e8d57, v1, 0
	v_mad_u64_u32 v[9:10], null, 0xd2511f53, v3, 0
	s_delay_alu instid0(VALU_DEP_2) | instskip(NEXT) | instid1(VALU_DEP_2)
	v_xor3_b32 v1, v31, v8, v6
	v_xor3_b32 v8, v32, v10, v4
	s_delay_alu instid0(VALU_DEP_2) | instskip(NEXT) | instid1(VALU_DEP_2)
	v_mad_u64_u32 v[3:4], null, 0xd2511f53, v1, 0
	v_mad_u64_u32 v[5:6], null, 0xcd9e8d57, v8, 0
	;; [unrolled: 6-line block ×3, first 2 shown]
	v_mad_u64_u32 v[17:18], null, s15, s14, v[0:1]
	s_add_i32 s15, s15, s16
	s_delay_alu instid0(VALU_DEP_3) | instskip(NEXT) | instid1(VALU_DEP_3)
	v_xor3_b32 v1, v37, v7, v5
	v_xor3_b32 v7, v38, v9, v3
	s_delay_alu instid0(VALU_DEP_3) | instskip(NEXT) | instid1(VALU_DEP_3)
	v_mul_lo_u32 v41, s17, v17
	v_mad_u64_u32 v[3:4], null, s15, s14, v[0:1]
	v_mad_u64_u32 v[4:5], null, 0xd2511f53, v1, 0
	s_delay_alu instid0(VALU_DEP_4) | instskip(SKIP_2) | instid1(VALU_DEP_4)
	v_mad_u64_u32 v[1:2], null, 0xcd9e8d57, v7, 0
	v_add_nc_u32_e32 v36, 0x8ff34781, v11
	s_lshl_b32 s14, s0, 1
	v_mul_lo_u32 v42, s17, v3
	s_mov_b32 s15, 0
	s_delay_alu instid0(VALU_DEP_4) | instskip(NEXT) | instid1(VALU_DEP_4)
	v_mov_b32_e32 v3, v4
	v_xor3_b32 v0, v2, v6, v36
	v_xor3_b32 v2, v5, v8, v39
	s_branch .LBB20_9
.LBB20_7:                               ;   in Loop: Header=BB20_9 Depth=1
	s_or_b32 exec_lo, exec_lo, s0
	s_delay_alu instid0(VALU_DEP_1) | instskip(SKIP_1) | instid1(VALU_DEP_2)
	v_add_co_u32 v2, vcc_lo, v7, s10
	v_add_co_ci_u32_e32 v0, vcc_lo, s11, v8, vcc_lo
	v_cvt_f64_u32_e32 v[2:3], v2
	s_delay_alu instid0(VALU_DEP_2) | instskip(NEXT) | instid1(VALU_DEP_1)
	v_cvt_f64_i32_e32 v[0:1], v0
	v_ldexp_f64 v[0:1], v[0:1], 32
	s_delay_alu instid0(VALU_DEP_1) | instskip(SKIP_1) | instid1(VALU_DEP_1)
	v_add_f64 v[0:1], v[0:1], v[2:3]
	v_add_nc_u32_e32 v2, s15, v42
	v_ashrrev_i32_e32 v3, 31, v2
	v_add_co_u32 v2, vcc_lo, s6, v2
	s_delay_alu instid0(VALU_DEP_2)
	v_add_co_ci_u32_e32 v3, vcc_lo, s7, v3, vcc_lo
	global_store_b64 v[2:3], v[0:1], off
.LBB20_8:                               ;   in Loop: Header=BB20_9 Depth=1
	s_or_b32 exec_lo, exec_lo, s16
	v_add_co_u32 v15, vcc_lo, v15, s13
	v_add_co_ci_u32_e32 v16, vcc_lo, 0, v16, vcc_lo
	v_mov_b32_e32 v7, v17
	v_dual_mov_b32 v0, v4 :: v_dual_mov_b32 v1, v5
	s_delay_alu instid0(VALU_DEP_3) | instskip(NEXT) | instid1(VALU_DEP_3)
	v_cmp_le_i64_e32 vcc_lo, s[2:3], v[15:16]
	v_dual_mov_b32 v2, v6 :: v_dual_mov_b32 v3, v7
	s_add_i32 s15, s15, s14
	s_waitcnt_vscnt null, 0x0
	s_barrier
	s_or_b32 s1, vcc_lo, s1
	buffer_gl0_inv
	s_and_not1_b32 exec_lo, exec_lo, s1
	s_cbranch_execz .LBB20_30
.LBB20_9:                               ; =>This Inner Loop Header: Depth=1
	v_add_co_u32 v19, vcc_lo, v19, 1
	s_delay_alu instid0(VALU_DEP_1) | instskip(SKIP_2) | instid1(VALU_DEP_1)
	v_cndmask_b32_e64 v4, 0, 1, vcc_lo
	v_add_co_ci_u32_e32 v20, vcc_lo, 0, v20, vcc_lo
	s_mov_b32 s0, exec_lo
	v_cmp_eq_u32_e32 vcc_lo, 0, v20
	s_delay_alu instid0(VALU_DEP_3) | instskip(NEXT) | instid1(VALU_DEP_1)
	v_cndmask_b32_e32 v4, 0, v4, vcc_lo
	v_add_nc_u32_e32 v40, v4, v40
	s_delay_alu instid0(VALU_DEP_1) | instskip(SKIP_2) | instid1(VALU_DEP_2)
	v_cmp_eq_u32_e32 vcc_lo, 0, v40
	v_mad_u64_u32 v[6:7], null, 0xcd9e8d57, v40, 0
	v_cndmask_b32_e32 v4, 0, v4, vcc_lo
	v_xor3_b32 v9, v7, v11, v20
	s_delay_alu instid0(VALU_DEP_2) | instskip(SKIP_1) | instid1(VALU_DEP_3)
	v_add_nc_u32_e32 v43, v4, v43
	v_mad_u64_u32 v[4:5], null, 0xd2511f53, v19, 0
	v_mad_u64_u32 v[7:8], null, 0xd2511f53, v9, 0
	s_delay_alu instid0(VALU_DEP_2) | instskip(NEXT) | instid1(VALU_DEP_2)
	v_xor_b32_e32 v5, v5, v12
	v_xor3_b32 v8, v21, v8, v4
	s_delay_alu instid0(VALU_DEP_2) | instskip(NEXT) | instid1(VALU_DEP_1)
	v_xor_b32_e32 v5, v43, v5
	v_mad_u64_u32 v[9:10], null, 0xcd9e8d57, v5, 0
	s_delay_alu instid0(VALU_DEP_3) | instskip(NEXT) | instid1(VALU_DEP_2)
	v_mad_u64_u32 v[4:5], null, 0xcd9e8d57, v8, 0
	v_xor3_b32 v6, v22, v10, v6
	s_delay_alu instid0(VALU_DEP_2) | instskip(NEXT) | instid1(VALU_DEP_2)
	v_xor3_b32 v8, v23, v5, v9
	v_mad_u64_u32 v[17:18], null, 0xd2511f53, v6, 0
	s_delay_alu instid0(VALU_DEP_2) | instskip(NEXT) | instid1(VALU_DEP_2)
	v_mad_u64_u32 v[5:6], null, 0xd2511f53, v8, 0
	v_xor3_b32 v9, v24, v18, v7
	s_delay_alu instid0(VALU_DEP_2) | instskip(NEXT) | instid1(VALU_DEP_2)
	v_xor3_b32 v6, v25, v6, v17
	v_mad_u64_u32 v[7:8], null, 0xcd9e8d57, v9, 0
	s_delay_alu instid0(VALU_DEP_1) | instskip(NEXT) | instid1(VALU_DEP_3)
	v_xor3_b32 v4, v26, v8, v4
	v_mad_u64_u32 v[8:9], null, 0xcd9e8d57, v6, 0
	s_delay_alu instid0(VALU_DEP_2) | instskip(NEXT) | instid1(VALU_DEP_2)
	v_mad_u64_u32 v[17:18], null, 0xd2511f53, v4, 0
	v_xor3_b32 v6, v27, v9, v7
	s_delay_alu instid0(VALU_DEP_2) | instskip(NEXT) | instid1(VALU_DEP_2)
	v_xor3_b32 v9, v28, v18, v5
	v_mad_u64_u32 v[4:5], null, 0xd2511f53, v6, 0
	s_delay_alu instid0(VALU_DEP_2) | instskip(NEXT) | instid1(VALU_DEP_2)
	v_mad_u64_u32 v[6:7], null, 0xcd9e8d57, v9, 0
	v_xor3_b32 v5, v29, v5, v17
	s_delay_alu instid0(VALU_DEP_2) | instskip(NEXT) | instid1(VALU_DEP_2)
	;; [unrolled: 6-line block ×6, first 2 shown]
	v_xor3_b32 v4, v6, v7, v36
	v_mov_b32_e32 v6, v10
	v_cmpx_lt_i32_e32 1, v35
	s_xor_b32 s0, exec_lo, s0
	s_cbranch_execnz .LBB20_12
; %bb.10:                               ;   in Loop: Header=BB20_9 Depth=1
	s_and_not1_saveexec_b32 s0, s0
	s_cbranch_execnz .LBB20_17
.LBB20_11:                              ;   in Loop: Header=BB20_9 Depth=1
	s_or_b32 exec_lo, exec_lo, s0
	s_delay_alu instid0(SALU_CYCLE_1)
	s_mov_b32 s16, exec_lo
	v_cmpx_gt_i64_e64 s[4:5], v[15:16]
	s_cbranch_execnz .LBB20_20
	s_branch .LBB20_25
.LBB20_12:                              ;   in Loop: Header=BB20_9 Depth=1
	s_mov_b32 s16, exec_lo
	v_cmpx_lt_i32_e32 2, v35
	s_xor_b32 s16, exec_lo, s16
; %bb.13:                               ;   in Loop: Header=BB20_9 Depth=1
	v_dual_mov_b32 v7, v3 :: v_dual_mov_b32 v8, v4
	v_mov_b32_e32 v9, v5
	s_delay_alu instid0(VALU_DEP_2) | instskip(NEXT) | instid1(VALU_DEP_2)
	v_dual_mov_b32 v0, v7 :: v_dual_mov_b32 v1, v8
	v_dual_mov_b32 v2, v9 :: v_dual_mov_b32 v3, v10
; %bb.14:                               ;   in Loop: Header=BB20_9 Depth=1
	s_and_not1_saveexec_b32 s16, s16
; %bb.15:                               ;   in Loop: Header=BB20_9 Depth=1
	s_delay_alu instid0(VALU_DEP_1)
	v_dual_mov_b32 v0, v2 :: v_dual_mov_b32 v1, v3
	v_dual_mov_b32 v2, v4 :: v_dual_mov_b32 v3, v5
; %bb.16:                               ;   in Loop: Header=BB20_9 Depth=1
	s_or_b32 exec_lo, exec_lo, s16
	s_and_not1_saveexec_b32 s0, s0
	s_cbranch_execz .LBB20_11
.LBB20_17:                              ;   in Loop: Header=BB20_9 Depth=1
	s_mov_b32 s16, exec_lo
	v_cmpx_eq_u32_e32 1, v35
; %bb.18:                               ;   in Loop: Header=BB20_9 Depth=1
	v_dual_mov_b32 v0, v1 :: v_dual_mov_b32 v1, v2
	v_dual_mov_b32 v2, v3 :: v_dual_mov_b32 v3, v4
; %bb.19:                               ;   in Loop: Header=BB20_9 Depth=1
	s_or_b32 exec_lo, exec_lo, s16
	s_delay_alu instid0(SALU_CYCLE_1) | instskip(NEXT) | instid1(SALU_CYCLE_1)
	s_or_b32 exec_lo, exec_lo, s0
	s_mov_b32 s16, exec_lo
	v_cmpx_gt_i64_e64 s[4:5], v[15:16]
	s_cbranch_execz .LBB20_25
.LBB20_20:                              ;   in Loop: Header=BB20_9 Depth=1
	v_or_b32_e32 v14, s9, v0
                                        ; implicit-def: $vgpr7_vgpr8
	s_mov_b32 s0, exec_lo
	s_delay_alu instid0(VALU_DEP_1)
	v_cmpx_ne_u64_e32 0, v[13:14]
	s_xor_b32 s17, exec_lo, s0
	s_cbranch_execz .LBB20_22
; %bb.21:                               ;   in Loop: Header=BB20_9 Depth=1
	v_cvt_f32_u32_e32 v7, s8
	v_cvt_f32_u32_e32 v8, s9
	s_sub_u32 s0, 0, s8
	s_subb_u32 s18, 0, s9
	s_delay_alu instid0(VALU_DEP_1) | instskip(NEXT) | instid1(VALU_DEP_1)
	v_fmac_f32_e32 v7, 0x4f800000, v8
	v_rcp_f32_e32 v7, v7
	s_waitcnt_depctr 0xfff
	v_mul_f32_e32 v7, 0x5f7ffffc, v7
	s_delay_alu instid0(VALU_DEP_1) | instskip(NEXT) | instid1(VALU_DEP_1)
	v_mul_f32_e32 v8, 0x2f800000, v7
	v_trunc_f32_e32 v8, v8
	s_delay_alu instid0(VALU_DEP_1) | instskip(SKIP_1) | instid1(VALU_DEP_2)
	v_fmac_f32_e32 v7, 0xcf800000, v8
	v_cvt_u32_f32_e32 v8, v8
	v_cvt_u32_f32_e32 v7, v7
	s_delay_alu instid0(VALU_DEP_2) | instskip(NEXT) | instid1(VALU_DEP_2)
	v_mul_lo_u32 v9, s0, v8
	v_mul_hi_u32 v10, s0, v7
	v_mul_lo_u32 v14, s18, v7
	s_delay_alu instid0(VALU_DEP_2) | instskip(SKIP_1) | instid1(VALU_DEP_2)
	v_add_nc_u32_e32 v9, v10, v9
	v_mul_lo_u32 v10, s0, v7
	v_add_nc_u32_e32 v9, v9, v14
	s_delay_alu instid0(VALU_DEP_2) | instskip(NEXT) | instid1(VALU_DEP_2)
	v_mul_hi_u32 v14, v7, v10
	v_mul_lo_u32 v18, v7, v9
	v_mul_hi_u32 v44, v7, v9
	v_mul_hi_u32 v45, v8, v10
	v_mul_lo_u32 v10, v8, v10
	v_mul_hi_u32 v46, v8, v9
	v_mul_lo_u32 v9, v8, v9
	v_add_co_u32 v14, vcc_lo, v14, v18
	v_add_co_ci_u32_e32 v18, vcc_lo, 0, v44, vcc_lo
	s_delay_alu instid0(VALU_DEP_2) | instskip(NEXT) | instid1(VALU_DEP_2)
	v_add_co_u32 v10, vcc_lo, v14, v10
	v_add_co_ci_u32_e32 v10, vcc_lo, v18, v45, vcc_lo
	v_add_co_ci_u32_e32 v14, vcc_lo, 0, v46, vcc_lo
	s_delay_alu instid0(VALU_DEP_2) | instskip(NEXT) | instid1(VALU_DEP_2)
	v_add_co_u32 v9, vcc_lo, v10, v9
	v_add_co_ci_u32_e32 v10, vcc_lo, 0, v14, vcc_lo
	s_delay_alu instid0(VALU_DEP_2) | instskip(NEXT) | instid1(VALU_DEP_2)
	v_add_co_u32 v7, vcc_lo, v7, v9
	v_add_co_ci_u32_e32 v8, vcc_lo, v8, v10, vcc_lo
	s_delay_alu instid0(VALU_DEP_2) | instskip(SKIP_1) | instid1(VALU_DEP_3)
	v_mul_hi_u32 v9, s0, v7
	v_mul_lo_u32 v14, s18, v7
	v_mul_lo_u32 v10, s0, v8
	s_delay_alu instid0(VALU_DEP_1) | instskip(SKIP_1) | instid1(VALU_DEP_2)
	v_add_nc_u32_e32 v9, v9, v10
	v_mul_lo_u32 v10, s0, v7
	v_add_nc_u32_e32 v9, v9, v14
	s_delay_alu instid0(VALU_DEP_2) | instskip(NEXT) | instid1(VALU_DEP_2)
	v_mul_hi_u32 v14, v7, v10
	v_mul_lo_u32 v18, v7, v9
	v_mul_hi_u32 v44, v7, v9
	v_mul_hi_u32 v45, v8, v10
	v_mul_lo_u32 v10, v8, v10
	v_mul_hi_u32 v46, v8, v9
	v_mul_lo_u32 v9, v8, v9
	v_add_co_u32 v14, vcc_lo, v14, v18
	v_add_co_ci_u32_e32 v18, vcc_lo, 0, v44, vcc_lo
	s_delay_alu instid0(VALU_DEP_2) | instskip(NEXT) | instid1(VALU_DEP_2)
	v_add_co_u32 v10, vcc_lo, v14, v10
	v_add_co_ci_u32_e32 v10, vcc_lo, v18, v45, vcc_lo
	v_add_co_ci_u32_e32 v14, vcc_lo, 0, v46, vcc_lo
	s_delay_alu instid0(VALU_DEP_2) | instskip(NEXT) | instid1(VALU_DEP_2)
	v_add_co_u32 v9, vcc_lo, v10, v9
	v_add_co_ci_u32_e32 v10, vcc_lo, 0, v14, vcc_lo
	s_delay_alu instid0(VALU_DEP_2) | instskip(NEXT) | instid1(VALU_DEP_2)
	v_add_co_u32 v14, vcc_lo, v7, v9
	v_add_co_ci_u32_e32 v18, vcc_lo, v8, v10, vcc_lo
	s_delay_alu instid0(VALU_DEP_2) | instskip(SKIP_1) | instid1(VALU_DEP_3)
	v_mul_hi_u32 v46, v1, v14
	v_mad_u64_u32 v[9:10], null, v0, v14, 0
	v_mad_u64_u32 v[7:8], null, v1, v18, 0
	;; [unrolled: 1-line block ×3, first 2 shown]
	s_delay_alu instid0(VALU_DEP_2) | instskip(NEXT) | instid1(VALU_DEP_3)
	v_add_co_u32 v7, vcc_lo, v46, v7
	v_add_co_ci_u32_e32 v8, vcc_lo, 0, v8, vcc_lo
	s_delay_alu instid0(VALU_DEP_2) | instskip(NEXT) | instid1(VALU_DEP_2)
	v_add_co_u32 v7, vcc_lo, v7, v9
	v_add_co_ci_u32_e32 v7, vcc_lo, v8, v10, vcc_lo
	v_add_co_ci_u32_e32 v8, vcc_lo, 0, v45, vcc_lo
	s_delay_alu instid0(VALU_DEP_2) | instskip(NEXT) | instid1(VALU_DEP_2)
	v_add_co_u32 v9, vcc_lo, v7, v44
	v_add_co_ci_u32_e32 v10, vcc_lo, 0, v8, vcc_lo
	s_delay_alu instid0(VALU_DEP_2) | instskip(SKIP_1) | instid1(VALU_DEP_3)
	v_mul_lo_u32 v14, s9, v9
	v_mad_u64_u32 v[7:8], null, s8, v9, 0
	v_mul_lo_u32 v9, s8, v10
	s_delay_alu instid0(VALU_DEP_2) | instskip(NEXT) | instid1(VALU_DEP_2)
	v_sub_co_u32 v7, vcc_lo, v1, v7
	v_add3_u32 v8, v8, v9, v14
	s_delay_alu instid0(VALU_DEP_1) | instskip(NEXT) | instid1(VALU_DEP_1)
	v_sub_nc_u32_e32 v9, v0, v8
	v_subrev_co_ci_u32_e64 v9, s0, s9, v9, vcc_lo
	v_sub_co_ci_u32_e32 v0, vcc_lo, v0, v8, vcc_lo
	v_sub_co_u32 v8, vcc_lo, v7, s8
	s_delay_alu instid0(VALU_DEP_1) | instskip(SKIP_3) | instid1(VALU_DEP_3)
	v_subrev_co_ci_u32_e64 v10, s0, 0, v9, vcc_lo
	v_cmp_le_u32_e64 s0, s8, v7
	v_subrev_co_ci_u32_e32 v9, vcc_lo, s9, v9, vcc_lo
	v_cmp_le_u32_e32 vcc_lo, s9, v0
	v_cndmask_b32_e64 v14, 0, -1, s0
	v_cmp_le_u32_e64 s0, s8, v8
	v_cndmask_b32_e64 v45, 0, -1, vcc_lo
	v_cmp_eq_u32_e32 vcc_lo, s9, v10
	s_delay_alu instid0(VALU_DEP_3) | instskip(SKIP_1) | instid1(VALU_DEP_1)
	v_cndmask_b32_e64 v18, 0, -1, s0
	v_cmp_le_u32_e64 s0, s9, v10
	v_cndmask_b32_e64 v44, 0, -1, s0
	v_cmp_eq_u32_e64 s0, s9, v0
	s_delay_alu instid0(VALU_DEP_2) | instskip(SKIP_2) | instid1(VALU_DEP_3)
	v_cndmask_b32_e32 v18, v44, v18, vcc_lo
	v_sub_co_u32 v44, vcc_lo, v8, s8
	v_subrev_co_ci_u32_e32 v9, vcc_lo, 0, v9, vcc_lo
	v_cmp_ne_u32_e32 vcc_lo, 0, v18
	v_cndmask_b32_e64 v14, v45, v14, s0
	s_delay_alu instid0(VALU_DEP_3) | instskip(NEXT) | instid1(VALU_DEP_2)
	v_dual_cndmask_b32 v9, v10, v9 :: v_dual_cndmask_b32 v10, v8, v44
	v_cmp_ne_u32_e32 vcc_lo, 0, v14
	s_delay_alu instid0(VALU_DEP_2)
	v_dual_cndmask_b32 v8, v0, v9 :: v_dual_cndmask_b32 v7, v7, v10
.LBB20_22:                              ;   in Loop: Header=BB20_9 Depth=1
	s_and_not1_saveexec_b32 s0, s17
	s_cbranch_execz .LBB20_24
; %bb.23:                               ;   in Loop: Header=BB20_9 Depth=1
	v_cvt_f32_u32_e32 v0, s8
	s_sub_i32 s17, 0, s8
	v_mov_b32_e32 v8, v13
	s_delay_alu instid0(VALU_DEP_2) | instskip(SKIP_2) | instid1(VALU_DEP_1)
	v_rcp_iflag_f32_e32 v0, v0
	s_waitcnt_depctr 0xfff
	v_mul_f32_e32 v0, 0x4f7ffffe, v0
	v_cvt_u32_f32_e32 v0, v0
	s_delay_alu instid0(VALU_DEP_1) | instskip(NEXT) | instid1(VALU_DEP_1)
	v_mul_lo_u32 v7, s17, v0
	v_mul_hi_u32 v7, v0, v7
	s_delay_alu instid0(VALU_DEP_1) | instskip(NEXT) | instid1(VALU_DEP_1)
	v_add_nc_u32_e32 v0, v0, v7
	v_mul_hi_u32 v0, v1, v0
	s_delay_alu instid0(VALU_DEP_1) | instskip(NEXT) | instid1(VALU_DEP_1)
	v_mul_lo_u32 v0, v0, s8
	v_sub_nc_u32_e32 v0, v1, v0
	s_delay_alu instid0(VALU_DEP_1) | instskip(SKIP_1) | instid1(VALU_DEP_2)
	v_subrev_nc_u32_e32 v1, s8, v0
	v_cmp_le_u32_e32 vcc_lo, s8, v0
	v_cndmask_b32_e32 v0, v0, v1, vcc_lo
	s_delay_alu instid0(VALU_DEP_1) | instskip(SKIP_1) | instid1(VALU_DEP_2)
	v_subrev_nc_u32_e32 v1, s8, v0
	v_cmp_le_u32_e32 vcc_lo, s8, v0
	v_cndmask_b32_e32 v7, v0, v1, vcc_lo
.LBB20_24:                              ;   in Loop: Header=BB20_9 Depth=1
	s_or_b32 exec_lo, exec_lo, s0
	s_delay_alu instid0(VALU_DEP_1) | instskip(SKIP_1) | instid1(VALU_DEP_2)
	v_add_co_u32 v7, vcc_lo, v7, s10
	v_add_co_ci_u32_e32 v0, vcc_lo, s11, v8, vcc_lo
	v_cvt_f64_u32_e32 v[7:8], v7
	s_delay_alu instid0(VALU_DEP_2) | instskip(NEXT) | instid1(VALU_DEP_1)
	v_cvt_f64_i32_e32 v[0:1], v0
	v_ldexp_f64 v[0:1], v[0:1], 32
	s_delay_alu instid0(VALU_DEP_1) | instskip(SKIP_1) | instid1(VALU_DEP_1)
	v_add_f64 v[0:1], v[0:1], v[7:8]
	v_add_nc_u32_e32 v7, s15, v41
	v_ashrrev_i32_e32 v8, 31, v7
	v_add_co_u32 v7, vcc_lo, s6, v7
	s_delay_alu instid0(VALU_DEP_2)
	v_add_co_ci_u32_e32 v8, vcc_lo, s7, v8, vcc_lo
	global_store_b64 v[7:8], v[0:1], off
.LBB20_25:                              ;   in Loop: Header=BB20_9 Depth=1
	s_or_b32 exec_lo, exec_lo, s16
	v_add_co_u32 v0, vcc_lo, s12, v15
	v_add_co_ci_u32_e32 v1, vcc_lo, 0, v16, vcc_lo
	s_mov_b32 s16, exec_lo
	s_delay_alu instid0(VALU_DEP_1)
	v_cmpx_gt_i64_e64 s[4:5], v[0:1]
	s_cbranch_execz .LBB20_8
; %bb.26:                               ;   in Loop: Header=BB20_9 Depth=1
	v_or_b32_e32 v14, s9, v2
                                        ; implicit-def: $vgpr7_vgpr8
	s_mov_b32 s0, exec_lo
	s_delay_alu instid0(VALU_DEP_1)
	v_cmpx_ne_u64_e32 0, v[13:14]
	s_xor_b32 s17, exec_lo, s0
	s_cbranch_execz .LBB20_28
; %bb.27:                               ;   in Loop: Header=BB20_9 Depth=1
	v_cvt_f32_u32_e32 v0, s8
	v_cvt_f32_u32_e32 v1, s9
	s_sub_u32 s0, 0, s8
	s_subb_u32 s18, 0, s9
	s_delay_alu instid0(VALU_DEP_1) | instskip(NEXT) | instid1(VALU_DEP_1)
	v_fmac_f32_e32 v0, 0x4f800000, v1
	v_rcp_f32_e32 v0, v0
	s_waitcnt_depctr 0xfff
	v_mul_f32_e32 v0, 0x5f7ffffc, v0
	s_delay_alu instid0(VALU_DEP_1) | instskip(NEXT) | instid1(VALU_DEP_1)
	v_mul_f32_e32 v1, 0x2f800000, v0
	v_trunc_f32_e32 v1, v1
	s_delay_alu instid0(VALU_DEP_1) | instskip(SKIP_1) | instid1(VALU_DEP_2)
	v_fmac_f32_e32 v0, 0xcf800000, v1
	v_cvt_u32_f32_e32 v1, v1
	v_cvt_u32_f32_e32 v0, v0
	s_delay_alu instid0(VALU_DEP_2) | instskip(NEXT) | instid1(VALU_DEP_2)
	v_mul_lo_u32 v7, s0, v1
	v_mul_hi_u32 v8, s0, v0
	v_mul_lo_u32 v9, s18, v0
	s_delay_alu instid0(VALU_DEP_2) | instskip(SKIP_1) | instid1(VALU_DEP_2)
	v_add_nc_u32_e32 v7, v8, v7
	v_mul_lo_u32 v8, s0, v0
	v_add_nc_u32_e32 v7, v7, v9
	s_delay_alu instid0(VALU_DEP_2) | instskip(NEXT) | instid1(VALU_DEP_2)
	v_mul_hi_u32 v9, v0, v8
	v_mul_lo_u32 v10, v0, v7
	v_mul_hi_u32 v14, v0, v7
	v_mul_hi_u32 v18, v1, v8
	v_mul_lo_u32 v8, v1, v8
	v_mul_hi_u32 v44, v1, v7
	v_mul_lo_u32 v7, v1, v7
	v_add_co_u32 v9, vcc_lo, v9, v10
	v_add_co_ci_u32_e32 v10, vcc_lo, 0, v14, vcc_lo
	s_delay_alu instid0(VALU_DEP_2) | instskip(NEXT) | instid1(VALU_DEP_2)
	v_add_co_u32 v8, vcc_lo, v9, v8
	v_add_co_ci_u32_e32 v8, vcc_lo, v10, v18, vcc_lo
	v_add_co_ci_u32_e32 v9, vcc_lo, 0, v44, vcc_lo
	s_delay_alu instid0(VALU_DEP_2) | instskip(NEXT) | instid1(VALU_DEP_2)
	v_add_co_u32 v7, vcc_lo, v8, v7
	v_add_co_ci_u32_e32 v8, vcc_lo, 0, v9, vcc_lo
	s_delay_alu instid0(VALU_DEP_2) | instskip(NEXT) | instid1(VALU_DEP_2)
	v_add_co_u32 v0, vcc_lo, v0, v7
	v_add_co_ci_u32_e32 v1, vcc_lo, v1, v8, vcc_lo
	s_delay_alu instid0(VALU_DEP_2) | instskip(SKIP_1) | instid1(VALU_DEP_3)
	v_mul_hi_u32 v7, s0, v0
	v_mul_lo_u32 v9, s18, v0
	v_mul_lo_u32 v8, s0, v1
	s_delay_alu instid0(VALU_DEP_1) | instskip(SKIP_1) | instid1(VALU_DEP_2)
	v_add_nc_u32_e32 v7, v7, v8
	v_mul_lo_u32 v8, s0, v0
	v_add_nc_u32_e32 v7, v7, v9
	s_delay_alu instid0(VALU_DEP_2) | instskip(NEXT) | instid1(VALU_DEP_2)
	v_mul_hi_u32 v9, v0, v8
	v_mul_lo_u32 v10, v0, v7
	v_mul_hi_u32 v14, v0, v7
	v_mul_hi_u32 v18, v1, v8
	v_mul_lo_u32 v8, v1, v8
	v_mul_hi_u32 v44, v1, v7
	v_mul_lo_u32 v7, v1, v7
	v_add_co_u32 v9, vcc_lo, v9, v10
	v_add_co_ci_u32_e32 v10, vcc_lo, 0, v14, vcc_lo
	s_delay_alu instid0(VALU_DEP_2) | instskip(NEXT) | instid1(VALU_DEP_2)
	v_add_co_u32 v8, vcc_lo, v9, v8
	v_add_co_ci_u32_e32 v8, vcc_lo, v10, v18, vcc_lo
	v_add_co_ci_u32_e32 v9, vcc_lo, 0, v44, vcc_lo
	s_delay_alu instid0(VALU_DEP_2) | instskip(NEXT) | instid1(VALU_DEP_2)
	v_add_co_u32 v7, vcc_lo, v8, v7
	v_add_co_ci_u32_e32 v8, vcc_lo, 0, v9, vcc_lo
	s_delay_alu instid0(VALU_DEP_2) | instskip(NEXT) | instid1(VALU_DEP_2)
	v_add_co_u32 v9, vcc_lo, v0, v7
	v_add_co_ci_u32_e32 v14, vcc_lo, v1, v8, vcc_lo
	s_delay_alu instid0(VALU_DEP_2) | instskip(SKIP_1) | instid1(VALU_DEP_3)
	v_mul_hi_u32 v18, v3, v9
	v_mad_u64_u32 v[7:8], null, v2, v9, 0
	v_mad_u64_u32 v[0:1], null, v3, v14, 0
	;; [unrolled: 1-line block ×3, first 2 shown]
	s_delay_alu instid0(VALU_DEP_2) | instskip(NEXT) | instid1(VALU_DEP_3)
	v_add_co_u32 v0, vcc_lo, v18, v0
	v_add_co_ci_u32_e32 v1, vcc_lo, 0, v1, vcc_lo
	s_delay_alu instid0(VALU_DEP_2) | instskip(NEXT) | instid1(VALU_DEP_2)
	v_add_co_u32 v0, vcc_lo, v0, v7
	v_add_co_ci_u32_e32 v0, vcc_lo, v1, v8, vcc_lo
	v_add_co_ci_u32_e32 v1, vcc_lo, 0, v10, vcc_lo
	s_delay_alu instid0(VALU_DEP_2) | instskip(NEXT) | instid1(VALU_DEP_2)
	v_add_co_u32 v7, vcc_lo, v0, v9
	v_add_co_ci_u32_e32 v8, vcc_lo, 0, v1, vcc_lo
	s_delay_alu instid0(VALU_DEP_2) | instskip(SKIP_1) | instid1(VALU_DEP_3)
	v_mul_lo_u32 v9, s9, v7
	v_mad_u64_u32 v[0:1], null, s8, v7, 0
	v_mul_lo_u32 v7, s8, v8
	s_delay_alu instid0(VALU_DEP_2) | instskip(NEXT) | instid1(VALU_DEP_2)
	v_sub_co_u32 v0, vcc_lo, v3, v0
	v_add3_u32 v1, v1, v7, v9
	s_delay_alu instid0(VALU_DEP_1) | instskip(NEXT) | instid1(VALU_DEP_1)
	v_sub_nc_u32_e32 v7, v2, v1
	v_subrev_co_ci_u32_e64 v3, s0, s9, v7, vcc_lo
	v_sub_co_ci_u32_e32 v1, vcc_lo, v2, v1, vcc_lo
	v_sub_co_u32 v2, vcc_lo, v0, s8
	s_delay_alu instid0(VALU_DEP_1) | instskip(SKIP_3) | instid1(VALU_DEP_3)
	v_subrev_co_ci_u32_e64 v7, s0, 0, v3, vcc_lo
	v_cmp_le_u32_e64 s0, s8, v0
	v_subrev_co_ci_u32_e32 v3, vcc_lo, s9, v3, vcc_lo
	v_cmp_le_u32_e32 vcc_lo, s9, v1
	v_cndmask_b32_e64 v8, 0, -1, s0
	v_cmp_le_u32_e64 s0, s8, v2
	v_cndmask_b32_e64 v14, 0, -1, vcc_lo
	v_cmp_eq_u32_e32 vcc_lo, s9, v7
	s_delay_alu instid0(VALU_DEP_3) | instskip(SKIP_1) | instid1(VALU_DEP_1)
	v_cndmask_b32_e64 v9, 0, -1, s0
	v_cmp_le_u32_e64 s0, s9, v7
	v_cndmask_b32_e64 v10, 0, -1, s0
	v_cmp_eq_u32_e64 s0, s9, v1
	s_delay_alu instid0(VALU_DEP_2) | instskip(SKIP_2) | instid1(VALU_DEP_3)
	v_cndmask_b32_e32 v9, v10, v9, vcc_lo
	v_sub_co_u32 v10, vcc_lo, v2, s8
	v_subrev_co_ci_u32_e32 v3, vcc_lo, 0, v3, vcc_lo
	v_cmp_ne_u32_e32 vcc_lo, 0, v9
	v_cndmask_b32_e64 v8, v14, v8, s0
	s_delay_alu instid0(VALU_DEP_3) | instskip(NEXT) | instid1(VALU_DEP_2)
	v_dual_cndmask_b32 v3, v7, v3 :: v_dual_cndmask_b32 v2, v2, v10
	v_cmp_ne_u32_e32 vcc_lo, 0, v8
	s_delay_alu instid0(VALU_DEP_2)
	v_dual_cndmask_b32 v8, v1, v3 :: v_dual_cndmask_b32 v7, v0, v2
                                        ; implicit-def: $vgpr0_vgpr1_vgpr2_vgpr3
.LBB20_28:                              ;   in Loop: Header=BB20_9 Depth=1
	s_and_not1_saveexec_b32 s0, s17
	s_cbranch_execz .LBB20_7
; %bb.29:                               ;   in Loop: Header=BB20_9 Depth=1
	v_cvt_f32_u32_e32 v0, s8
	s_sub_i32 s17, 0, s8
	v_mov_b32_e32 v8, v13
	s_delay_alu instid0(VALU_DEP_2) | instskip(SKIP_2) | instid1(VALU_DEP_1)
	v_rcp_iflag_f32_e32 v0, v0
	s_waitcnt_depctr 0xfff
	v_mul_f32_e32 v0, 0x4f7ffffe, v0
	v_cvt_u32_f32_e32 v0, v0
	s_delay_alu instid0(VALU_DEP_1) | instskip(NEXT) | instid1(VALU_DEP_1)
	v_mul_lo_u32 v1, s17, v0
	v_mul_hi_u32 v1, v0, v1
	s_delay_alu instid0(VALU_DEP_1) | instskip(NEXT) | instid1(VALU_DEP_1)
	v_add_nc_u32_e32 v0, v0, v1
	v_mul_hi_u32 v0, v3, v0
	s_delay_alu instid0(VALU_DEP_1) | instskip(NEXT) | instid1(VALU_DEP_1)
	v_mul_lo_u32 v0, v0, s8
	v_sub_nc_u32_e32 v0, v3, v0
	s_delay_alu instid0(VALU_DEP_1) | instskip(SKIP_1) | instid1(VALU_DEP_2)
	v_subrev_nc_u32_e32 v1, s8, v0
	v_cmp_le_u32_e32 vcc_lo, s8, v0
	v_cndmask_b32_e32 v0, v0, v1, vcc_lo
	s_delay_alu instid0(VALU_DEP_1) | instskip(SKIP_1) | instid1(VALU_DEP_2)
	v_subrev_nc_u32_e32 v1, s8, v0
	v_cmp_le_u32_e32 vcc_lo, s8, v0
	v_cndmask_b32_e32 v7, v0, v1, vcc_lo
	s_branch .LBB20_7
.LBB20_30:
	s_endpgm
.LBB20_31:
                                        ; implicit-def: $sgpr2_sgpr3
	s_branch .LBB20_4
	.section	.rodata,"a",@progbits
	.p2align	6, 0x0
	.amdhsa_kernel _ZN2at6native12_GLOBAL__N_143distribution_elementwise_grid_stride_kernelImLi2EZZZNS0_9templates4cuda21random_from_to_kernelIPNS_17CUDAGeneratorImplEEEvRNS_18TensorIteratorBaseEmlT_ENKUlvE_clEvENKUlvE4_clEvEUlP25hiprandStatePhilox4_32_10E_ZNS1_27distribution_nullary_kernelIdm15HIP_vector_typeIyLj2EES7_SF_ZZZNS5_IS7_EEvS9_mlSA_ENKSB_clEvENKSC_clEvEUlmE_EEvS9_T2_RKT3_T4_EUlimE_EEvlNS_15PhiloxCudaStateET1_SK_
		.amdhsa_group_segment_fixed_size 0
		.amdhsa_private_segment_fixed_size 0
		.amdhsa_kernarg_size 336
		.amdhsa_user_sgpr_count 15
		.amdhsa_user_sgpr_dispatch_ptr 0
		.amdhsa_user_sgpr_queue_ptr 0
		.amdhsa_user_sgpr_kernarg_segment_ptr 1
		.amdhsa_user_sgpr_dispatch_id 0
		.amdhsa_user_sgpr_private_segment_size 0
		.amdhsa_wavefront_size32 1
		.amdhsa_uses_dynamic_stack 0
		.amdhsa_enable_private_segment 0
		.amdhsa_system_sgpr_workgroup_id_x 1
		.amdhsa_system_sgpr_workgroup_id_y 0
		.amdhsa_system_sgpr_workgroup_id_z 0
		.amdhsa_system_sgpr_workgroup_info 0
		.amdhsa_system_vgpr_workitem_id 0
		.amdhsa_next_free_vgpr 47
		.amdhsa_next_free_sgpr 23
		.amdhsa_reserve_vcc 1
		.amdhsa_float_round_mode_32 0
		.amdhsa_float_round_mode_16_64 0
		.amdhsa_float_denorm_mode_32 3
		.amdhsa_float_denorm_mode_16_64 3
		.amdhsa_dx10_clamp 1
		.amdhsa_ieee_mode 1
		.amdhsa_fp16_overflow 0
		.amdhsa_workgroup_processor_mode 1
		.amdhsa_memory_ordered 1
		.amdhsa_forward_progress 0
		.amdhsa_shared_vgpr_count 0
		.amdhsa_exception_fp_ieee_invalid_op 0
		.amdhsa_exception_fp_denorm_src 0
		.amdhsa_exception_fp_ieee_div_zero 0
		.amdhsa_exception_fp_ieee_overflow 0
		.amdhsa_exception_fp_ieee_underflow 0
		.amdhsa_exception_fp_ieee_inexact 0
		.amdhsa_exception_int_div_zero 0
	.end_amdhsa_kernel
	.section	.text._ZN2at6native12_GLOBAL__N_143distribution_elementwise_grid_stride_kernelImLi2EZZZNS0_9templates4cuda21random_from_to_kernelIPNS_17CUDAGeneratorImplEEEvRNS_18TensorIteratorBaseEmlT_ENKUlvE_clEvENKUlvE4_clEvEUlP25hiprandStatePhilox4_32_10E_ZNS1_27distribution_nullary_kernelIdm15HIP_vector_typeIyLj2EES7_SF_ZZZNS5_IS7_EEvS9_mlSA_ENKSB_clEvENKSC_clEvEUlmE_EEvS9_T2_RKT3_T4_EUlimE_EEvlNS_15PhiloxCudaStateET1_SK_,"axG",@progbits,_ZN2at6native12_GLOBAL__N_143distribution_elementwise_grid_stride_kernelImLi2EZZZNS0_9templates4cuda21random_from_to_kernelIPNS_17CUDAGeneratorImplEEEvRNS_18TensorIteratorBaseEmlT_ENKUlvE_clEvENKUlvE4_clEvEUlP25hiprandStatePhilox4_32_10E_ZNS1_27distribution_nullary_kernelIdm15HIP_vector_typeIyLj2EES7_SF_ZZZNS5_IS7_EEvS9_mlSA_ENKSB_clEvENKSC_clEvEUlmE_EEvS9_T2_RKT3_T4_EUlimE_EEvlNS_15PhiloxCudaStateET1_SK_,comdat
.Lfunc_end20:
	.size	_ZN2at6native12_GLOBAL__N_143distribution_elementwise_grid_stride_kernelImLi2EZZZNS0_9templates4cuda21random_from_to_kernelIPNS_17CUDAGeneratorImplEEEvRNS_18TensorIteratorBaseEmlT_ENKUlvE_clEvENKUlvE4_clEvEUlP25hiprandStatePhilox4_32_10E_ZNS1_27distribution_nullary_kernelIdm15HIP_vector_typeIyLj2EES7_SF_ZZZNS5_IS7_EEvS9_mlSA_ENKSB_clEvENKSC_clEvEUlmE_EEvS9_T2_RKT3_T4_EUlimE_EEvlNS_15PhiloxCudaStateET1_SK_, .Lfunc_end20-_ZN2at6native12_GLOBAL__N_143distribution_elementwise_grid_stride_kernelImLi2EZZZNS0_9templates4cuda21random_from_to_kernelIPNS_17CUDAGeneratorImplEEEvRNS_18TensorIteratorBaseEmlT_ENKUlvE_clEvENKUlvE4_clEvEUlP25hiprandStatePhilox4_32_10E_ZNS1_27distribution_nullary_kernelIdm15HIP_vector_typeIyLj2EES7_SF_ZZZNS5_IS7_EEvS9_mlSA_ENKSB_clEvENKSC_clEvEUlmE_EEvS9_T2_RKT3_T4_EUlimE_EEvlNS_15PhiloxCudaStateET1_SK_
                                        ; -- End function
	.section	.AMDGPU.csdata,"",@progbits
; Kernel info:
; codeLenInByte = 4512
; NumSgprs: 25
; NumVgprs: 47
; ScratchSize: 0
; MemoryBound: 0
; FloatMode: 240
; IeeeMode: 1
; LDSByteSize: 0 bytes/workgroup (compile time only)
; SGPRBlocks: 3
; VGPRBlocks: 5
; NumSGPRsForWavesPerEU: 25
; NumVGPRsForWavesPerEU: 47
; Occupancy: 16
; WaveLimiterHint : 0
; COMPUTE_PGM_RSRC2:SCRATCH_EN: 0
; COMPUTE_PGM_RSRC2:USER_SGPR: 15
; COMPUTE_PGM_RSRC2:TRAP_HANDLER: 0
; COMPUTE_PGM_RSRC2:TGID_X_EN: 1
; COMPUTE_PGM_RSRC2:TGID_Y_EN: 0
; COMPUTE_PGM_RSRC2:TGID_Z_EN: 0
; COMPUTE_PGM_RSRC2:TIDIG_COMP_CNT: 0
	.section	.text._ZN2at6native12_GLOBAL__N_143distribution_elementwise_grid_stride_kernelImLi2EZZZNS0_9templates4cuda21random_from_to_kernelIPNS_17CUDAGeneratorImplEEEvRNS_18TensorIteratorBaseEmlT_ENKUlvE_clEvENKUlvE4_clEvEUlP25hiprandStatePhilox4_32_10E_ZNS1_27distribution_nullary_kernelIdm15HIP_vector_typeIyLj2EES7_SF_ZZZNS5_IS7_EEvS9_mlSA_ENKSB_clEvENKSC_clEvEUlmE_EEvS9_T2_RKT3_T4_EUlimE0_EEvlNS_15PhiloxCudaStateET1_SK_,"axG",@progbits,_ZN2at6native12_GLOBAL__N_143distribution_elementwise_grid_stride_kernelImLi2EZZZNS0_9templates4cuda21random_from_to_kernelIPNS_17CUDAGeneratorImplEEEvRNS_18TensorIteratorBaseEmlT_ENKUlvE_clEvENKUlvE4_clEvEUlP25hiprandStatePhilox4_32_10E_ZNS1_27distribution_nullary_kernelIdm15HIP_vector_typeIyLj2EES7_SF_ZZZNS5_IS7_EEvS9_mlSA_ENKSB_clEvENKSC_clEvEUlmE_EEvS9_T2_RKT3_T4_EUlimE0_EEvlNS_15PhiloxCudaStateET1_SK_,comdat
	.globl	_ZN2at6native12_GLOBAL__N_143distribution_elementwise_grid_stride_kernelImLi2EZZZNS0_9templates4cuda21random_from_to_kernelIPNS_17CUDAGeneratorImplEEEvRNS_18TensorIteratorBaseEmlT_ENKUlvE_clEvENKUlvE4_clEvEUlP25hiprandStatePhilox4_32_10E_ZNS1_27distribution_nullary_kernelIdm15HIP_vector_typeIyLj2EES7_SF_ZZZNS5_IS7_EEvS9_mlSA_ENKSB_clEvENKSC_clEvEUlmE_EEvS9_T2_RKT3_T4_EUlimE0_EEvlNS_15PhiloxCudaStateET1_SK_ ; -- Begin function _ZN2at6native12_GLOBAL__N_143distribution_elementwise_grid_stride_kernelImLi2EZZZNS0_9templates4cuda21random_from_to_kernelIPNS_17CUDAGeneratorImplEEEvRNS_18TensorIteratorBaseEmlT_ENKUlvE_clEvENKUlvE4_clEvEUlP25hiprandStatePhilox4_32_10E_ZNS1_27distribution_nullary_kernelIdm15HIP_vector_typeIyLj2EES7_SF_ZZZNS5_IS7_EEvS9_mlSA_ENKSB_clEvENKSC_clEvEUlmE_EEvS9_T2_RKT3_T4_EUlimE0_EEvlNS_15PhiloxCudaStateET1_SK_
	.p2align	8
	.type	_ZN2at6native12_GLOBAL__N_143distribution_elementwise_grid_stride_kernelImLi2EZZZNS0_9templates4cuda21random_from_to_kernelIPNS_17CUDAGeneratorImplEEEvRNS_18TensorIteratorBaseEmlT_ENKUlvE_clEvENKUlvE4_clEvEUlP25hiprandStatePhilox4_32_10E_ZNS1_27distribution_nullary_kernelIdm15HIP_vector_typeIyLj2EES7_SF_ZZZNS5_IS7_EEvS9_mlSA_ENKSB_clEvENKSC_clEvEUlmE_EEvS9_T2_RKT3_T4_EUlimE0_EEvlNS_15PhiloxCudaStateET1_SK_,@function
_ZN2at6native12_GLOBAL__N_143distribution_elementwise_grid_stride_kernelImLi2EZZZNS0_9templates4cuda21random_from_to_kernelIPNS_17CUDAGeneratorImplEEEvRNS_18TensorIteratorBaseEmlT_ENKUlvE_clEvENKUlvE4_clEvEUlP25hiprandStatePhilox4_32_10E_ZNS1_27distribution_nullary_kernelIdm15HIP_vector_typeIyLj2EES7_SF_ZZZNS5_IS7_EEvS9_mlSA_ENKSB_clEvENKSC_clEvEUlmE_EEvS9_T2_RKT3_T4_EUlimE0_EEvlNS_15PhiloxCudaStateET1_SK_: ; @_ZN2at6native12_GLOBAL__N_143distribution_elementwise_grid_stride_kernelImLi2EZZZNS0_9templates4cuda21random_from_to_kernelIPNS_17CUDAGeneratorImplEEEvRNS_18TensorIteratorBaseEmlT_ENKUlvE_clEvENKUlvE4_clEvEUlP25hiprandStatePhilox4_32_10E_ZNS1_27distribution_nullary_kernelIdm15HIP_vector_typeIyLj2EES7_SF_ZZZNS5_IS7_EEvS9_mlSA_ENKSB_clEvENKSC_clEvEUlmE_EEvS9_T2_RKT3_T4_EUlimE0_EEvlNS_15PhiloxCudaStateET1_SK_
; %bb.0:
	s_clause 0x2
	s_load_b64 s[4:5], s[0:1], 0x10
	s_load_b128 s[16:19], s[0:1], 0x0
	s_load_b32 s2, s[0:1], 0x20
	s_waitcnt lgkmcnt(0)
	v_dual_mov_b32 v2, s4 :: v_dual_mov_b32 v3, s5
	v_dual_mov_b32 v11, s18 :: v_dual_mov_b32 v12, s19
	s_bitcmp0_b32 s2, 0
	s_mov_b32 s2, 0
	s_cbranch_scc1 .LBB21_2
; %bb.1:
	v_dual_mov_b32 v1, s4 :: v_dual_mov_b32 v2, s5
	v_dual_mov_b32 v4, s18 :: v_dual_mov_b32 v5, s19
	s_load_b64 s[4:5], s[0:1], 0x18
	flat_load_b64 v[2:3], v[1:2]
	flat_load_b64 v[11:12], v[4:5]
	s_waitcnt vmcnt(1) lgkmcnt(0)
	v_add_co_u32 v2, vcc_lo, v2, s4
	v_add_co_ci_u32_e32 v3, vcc_lo, s5, v3, vcc_lo
.LBB21_2:
	s_clause 0x1
	s_load_b32 s3, s[0:1], 0x15c
	s_load_b32 s5, s[0:1], 0x150
	s_waitcnt lgkmcnt(0)
	s_and_b32 s4, s3, 0xffff
	s_add_u32 s6, s16, -1
	s_mul_i32 s28, s5, s4
	s_addc_u32 s3, s17, -1
	s_lshl_b32 s29, s28, 1
	s_cmp_lg_u64 s[2:3], 0
	s_cbranch_scc0 .LBB21_57
; %bb.3:
	v_cvt_f32_ubyte0_e32 v1, 0
	v_cvt_f32_u32_e32 v4, s29
	s_sub_u32 s8, 0, s29
	s_subb_u32 s9, 0, 0
	s_delay_alu instid0(VALU_DEP_1) | instskip(NEXT) | instid1(VALU_DEP_1)
	v_fmamk_f32 v1, v1, 0x4f800000, v4
	v_rcp_f32_e32 v1, v1
	s_waitcnt_depctr 0xfff
	v_mul_f32_e32 v1, 0x5f7ffffc, v1
	s_delay_alu instid0(VALU_DEP_1) | instskip(NEXT) | instid1(VALU_DEP_1)
	v_mul_f32_e32 v4, 0x2f800000, v1
	v_trunc_f32_e32 v4, v4
	s_delay_alu instid0(VALU_DEP_1) | instskip(SKIP_1) | instid1(VALU_DEP_2)
	v_fmamk_f32 v1, v4, 0xcf800000, v1
	v_cvt_u32_f32_e32 v4, v4
	v_cvt_u32_f32_e32 v1, v1
	s_delay_alu instid0(VALU_DEP_2) | instskip(NEXT) | instid1(VALU_DEP_2)
	v_readfirstlane_b32 s2, v4
	v_readfirstlane_b32 s7, v1
	s_delay_alu instid0(VALU_DEP_2) | instskip(NEXT) | instid1(VALU_DEP_1)
	s_mul_i32 s10, s8, s2
	s_mul_hi_u32 s12, s8, s7
	s_mul_i32 s11, s9, s7
	s_add_i32 s10, s12, s10
	s_mul_i32 s13, s8, s7
	s_add_i32 s10, s10, s11
	s_mul_hi_u32 s12, s7, s13
	s_mul_hi_u32 s14, s2, s13
	s_mul_i32 s11, s2, s13
	s_mul_hi_u32 s13, s7, s10
	s_mul_i32 s7, s7, s10
	s_mul_hi_u32 s18, s2, s10
	s_add_u32 s7, s12, s7
	s_addc_u32 s12, 0, s13
	s_add_u32 s7, s7, s11
	s_mul_i32 s10, s2, s10
	s_addc_u32 s7, s12, s14
	s_addc_u32 s11, s18, 0
	s_add_u32 s7, s7, s10
	s_addc_u32 s10, 0, s11
	v_add_co_u32 v1, s7, v1, s7
	s_delay_alu instid0(VALU_DEP_1) | instskip(SKIP_1) | instid1(VALU_DEP_1)
	s_cmp_lg_u32 s7, 0
	s_addc_u32 s2, s2, s10
	v_readfirstlane_b32 s7, v1
	s_mul_i32 s10, s8, s2
	s_delay_alu instid0(VALU_DEP_1)
	s_mul_hi_u32 s11, s8, s7
	s_mul_i32 s9, s9, s7
	s_add_i32 s10, s11, s10
	s_mul_i32 s8, s8, s7
	s_add_i32 s10, s10, s9
	s_mul_hi_u32 s11, s2, s8
	s_mul_i32 s12, s2, s8
	s_mul_hi_u32 s8, s7, s8
	s_mul_hi_u32 s13, s7, s10
	s_mul_i32 s7, s7, s10
	s_mul_hi_u32 s9, s2, s10
	s_add_u32 s7, s8, s7
	s_addc_u32 s8, 0, s13
	s_add_u32 s7, s7, s12
	s_mul_i32 s10, s2, s10
	s_addc_u32 s7, s8, s11
	s_addc_u32 s8, s9, 0
	s_add_u32 s7, s7, s10
	s_addc_u32 s8, 0, s8
	v_add_co_u32 v1, s7, v1, s7
	s_delay_alu instid0(VALU_DEP_1) | instskip(SKIP_2) | instid1(VALU_DEP_1)
	s_cmp_lg_u32 s7, 0
	s_addc_u32 s7, s2, s8
	s_ashr_i32 s8, s3, 31
	v_readfirstlane_b32 s10, v1
	s_add_u32 s2, s6, s8
	s_mov_b32 s9, s8
	s_addc_u32 s3, s3, s8
	s_delay_alu instid0(SALU_CYCLE_1) | instskip(NEXT) | instid1(SALU_CYCLE_1)
	s_xor_b64 s[2:3], s[2:3], s[8:9]
	s_mul_i32 s12, s2, s7
	s_mul_hi_u32 s13, s2, s10
	s_mul_hi_u32 s11, s2, s7
	;; [unrolled: 1-line block ×3, first 2 shown]
	s_mul_i32 s10, s3, s10
	s_add_u32 s12, s13, s12
	s_addc_u32 s11, 0, s11
	s_mul_hi_u32 s14, s3, s7
	s_add_u32 s10, s12, s10
	s_mul_i32 s7, s3, s7
	s_addc_u32 s10, s11, s18
	s_addc_u32 s11, s14, 0
	s_add_u32 s7, s10, s7
	s_addc_u32 s10, 0, s11
	s_mul_i32 s12, s29, s7
	s_add_u32 s11, s7, 1
	v_sub_co_u32 v1, s2, s2, s12
	s_mul_hi_u32 s12, s29, s7
	s_addc_u32 s13, s10, 0
	s_mul_i32 s14, s29, s10
	s_delay_alu instid0(VALU_DEP_1)
	v_sub_co_u32 v4, s18, v1, s29
	s_add_u32 s19, s7, 2
	s_addc_u32 s20, s10, 0
	s_add_i32 s12, s12, s14
	s_cmp_lg_u32 s2, 0
	v_readfirstlane_b32 s2, v4
	s_subb_u32 s3, s3, s12
	s_cmp_lg_u32 s18, 0
	s_subb_u32 s12, s3, 0
	s_delay_alu instid0(VALU_DEP_1) | instskip(SKIP_4) | instid1(SALU_CYCLE_1)
	s_cmp_ge_u32 s2, s29
	s_cselect_b32 s2, -1, 0
	s_cmp_eq_u32 s12, 0
	v_readfirstlane_b32 s12, v1
	s_cselect_b32 s2, s2, -1
	s_cmp_lg_u32 s2, 0
	s_cselect_b32 s2, s19, s11
	s_cselect_b32 s11, s20, s13
	s_cmp_ge_u32 s12, s29
	s_cselect_b32 s12, -1, 0
	s_cmp_eq_u32 s3, 0
	s_cselect_b32 s3, s12, -1
	s_delay_alu instid0(SALU_CYCLE_1) | instskip(SKIP_2) | instid1(SALU_CYCLE_1)
	s_cmp_lg_u32 s3, 0
	s_cselect_b32 s3, s11, s10
	s_cselect_b32 s2, s2, s7
	s_xor_b64 s[2:3], s[2:3], s[8:9]
	s_delay_alu instid0(SALU_CYCLE_1)
	s_sub_u32 s2, s2, s8
	s_subb_u32 s3, s3, s8
	s_cbranch_execnz .LBB21_5
.LBB21_4:
	v_cvt_f32_u32_e32 v1, s29
	s_sub_i32 s3, 0, s29
	s_delay_alu instid0(VALU_DEP_1) | instskip(SKIP_2) | instid1(VALU_DEP_1)
	v_rcp_iflag_f32_e32 v1, v1
	s_waitcnt_depctr 0xfff
	v_mul_f32_e32 v1, 0x4f7ffffe, v1
	v_cvt_u32_f32_e32 v1, v1
	s_delay_alu instid0(VALU_DEP_1) | instskip(NEXT) | instid1(VALU_DEP_1)
	v_readfirstlane_b32 s2, v1
	s_mul_i32 s3, s3, s2
	s_delay_alu instid0(SALU_CYCLE_1) | instskip(NEXT) | instid1(SALU_CYCLE_1)
	s_mul_hi_u32 s3, s2, s3
	s_add_i32 s2, s2, s3
	s_delay_alu instid0(SALU_CYCLE_1) | instskip(NEXT) | instid1(SALU_CYCLE_1)
	s_mul_hi_u32 s2, s6, s2
	s_mul_i32 s3, s2, s29
	s_delay_alu instid0(SALU_CYCLE_1)
	s_sub_i32 s3, s6, s3
	s_add_i32 s6, s2, 1
	s_sub_i32 s7, s3, s29
	s_cmp_ge_u32 s3, s29
	s_cselect_b32 s2, s6, s2
	s_cselect_b32 s3, s7, s3
	s_add_i32 s6, s2, 1
	s_cmp_ge_u32 s3, s29
	s_mov_b32 s3, 0
	s_cselect_b32 s2, s6, s2
.LBB21_5:
	v_mov_b32_e32 v13, 0
	s_add_u32 s2, s2, 1
	s_addc_u32 s3, s3, 0
	s_mul_hi_u32 s5, s5, s4
	s_mul_hi_u32 s6, s28, s2
	v_mov_b32_e32 v1, v13
	s_mul_i32 s3, s28, s3
	s_mul_i32 s5, s5, s2
	s_add_i32 s3, s6, s3
	s_mul_i32 s2, s28, s2
	v_mad_u64_u32 v[15:16], null, s4, s15, v[0:1]
	s_add_i32 s3, s3, s5
	s_mov_b32 s4, exec_lo
	s_lshl_b64 s[2:3], s[2:3], 1
	s_delay_alu instid0(VALU_DEP_1) | instid1(SALU_CYCLE_1)
	v_cmpx_gt_i64_e64 s[2:3], v[15:16]
	s_cbranch_execz .LBB21_56
; %bb.6:
	v_alignbit_b32 v19, v3, v2, 2
	v_mad_u64_u32 v[4:5], null, 0xcd9e8d57, v15, 0
	v_lshrrev_b32_e32 v20, 2, v3
	s_waitcnt vmcnt(0)
	v_dual_mov_b32 v9, v12 :: v_dual_add_nc_u32 v30, 0x8ff34781, v11
	v_mad_u64_u32 v[0:1], null, 0xd2511f53, v19, 0
	v_add_co_u32 v22, null, 0x9e3779b9, v11
	v_xor3_b32 v3, v11, v5, v20
	s_delay_alu instid0(VALU_DEP_4) | instskip(SKIP_2) | instid1(VALU_DEP_4)
	v_add_co_u32 v21, null, 0xbb67ae85, v9
	v_add_co_u32 v23, null, 0x3c6ef372, v11
	v_xor_b32_e32 v1, v1, v12
	v_mad_u64_u32 v[5:6], null, 0xd2511f53, v3, 0
	v_add_co_u32 v24, null, 0x76cf5d0a, v9
	s_delay_alu instid0(VALU_DEP_3) | instskip(SKIP_2) | instid1(VALU_DEP_3)
	v_xor_b32_e32 v1, v1, v16
	v_add_co_u32 v25, null, 0x32370b8f, v9
	v_add_co_u32 v26, null, 0xdaa66d2b, v11
	v_mad_u64_u32 v[7:8], null, 0xcd9e8d57, v1, 0
	v_xor3_b32 v3, v21, v6, v0
	v_add_co_u32 v27, null, 0x78dde6e4, v11
	v_add_co_u32 v28, null, 0xed9eba14, v9
	s_delay_alu instid0(VALU_DEP_3) | instskip(SKIP_3) | instid1(VALU_DEP_3)
	v_mad_u64_u32 v[0:1], null, 0xcd9e8d57, v3, 0
	v_xor3_b32 v6, v22, v8, v4
	v_dual_mov_b32 v40, v15 :: v_dual_and_b32 v29, 3, v2
	v_add_co_u32 v31, null, 0xa9066899, v9
	v_mad_u64_u32 v[3:4], null, 0xd2511f53, v6, 0
	v_xor3_b32 v1, v23, v1, v7
	v_add_co_u32 v32, null, 0x1715609d, v11
	v_add_co_u32 v34, null, 0xb54cda56, v11
	;; [unrolled: 1-line block ×3, first 2 shown]
	v_xor3_b32 v8, v24, v4, v5
	v_mad_u64_u32 v[4:5], null, 0xd2511f53, v1, 0
	s_load_b256 s[4:11], s[0:1], 0x30
	v_add_co_u32 v33, null, 0x5384540f, v11
	s_delay_alu instid0(VALU_DEP_3) | instskip(SKIP_1) | instid1(VALU_DEP_4)
	v_mad_u64_u32 v[6:7], null, 0xcd9e8d57, v8, 0
	v_add_co_u32 v37, null, 0x1fd5c5a3, v9
	v_xor3_b32 v3, v25, v5, v3
	v_add_co_u32 v35, null, 0xf1bbcdc8, v11
	v_add_co_u32 v38, null, 0xdb3d7428, v9
	v_xor3_b32 v5, v26, v7, v0
	s_delay_alu instid0(VALU_DEP_4) | instskip(SKIP_2) | instid1(VALU_DEP_2)
	v_mad_u64_u32 v[0:1], null, 0xcd9e8d57, v3, 0
	s_add_u32 s18, s0, 48
	s_load_b64 s[20:21], s[0:1], 0x148
	v_mad_u64_u32 v[7:8], null, 0xd2511f53, v5, 0
	s_clause 0x1
	s_load_b64 s[22:23], s[0:1], 0xf4
	s_load_b128 s[12:15], s[0:1], 0x138
	s_addc_u32 s19, s1, 0
	v_xor3_b32 v3, v27, v1, v6
	s_waitcnt lgkmcnt(0)
	s_add_i32 s26, s4, -1
	v_add_nc_u32_e32 v39, 0x96a522ad, v12
	s_cmp_gt_u32 s26, 1
	v_xor3_b32 v5, v28, v8, v4
	v_mad_u64_u32 v[1:2], null, 0xd2511f53, v3, 0
	s_cselect_b32 s11, -1, 0
	s_cmp_lg_u32 s4, 0
	s_delay_alu instid0(VALU_DEP_2) | instskip(SKIP_2) | instid1(VALU_DEP_2)
	v_mad_u64_u32 v[3:4], null, 0xcd9e8d57, v5, 0
	s_cselect_b32 s31, -1, 0
	s_add_u32 s24, s0, 0xf4
	v_xor3_b32 v2, v31, v2, v7
	s_addc_u32 s25, s1, 0
	s_min_u32 s0, s26, 15
	s_cmp_gt_u32 s4, 1
	s_delay_alu instid0(VALU_DEP_2) | instskip(SKIP_3) | instid1(VALU_DEP_2)
	v_xor3_b32 v0, v32, v4, v0
	v_mad_u64_u32 v[4:5], null, 0xcd9e8d57, v2, 0
	s_cselect_b32 s4, -1, 0
	s_add_i32 s0, s0, 1
	v_mad_u64_u32 v[6:7], null, 0xd2511f53, v0, 0
	s_and_b32 s33, s0, 3
	s_cmp_lg_u32 s26, 2
	s_delay_alu instid0(VALU_DEP_2) | instskip(SKIP_3) | instid1(VALU_DEP_3)
	v_xor3_b32 v2, v34, v5, v3
	s_cselect_b32 s34, -1, 0
	s_and_b32 s35, s0, 28
	v_mov_b32_e32 v41, v16
	v_xor3_b32 v5, v36, v7, v1
	v_mad_u64_u32 v[0:1], null, 0xd2511f53, v2, 0
	s_cmp_lg_u32 s33, 0
	s_mov_b32 s30, 0
	s_delay_alu instid0(VALU_DEP_2) | instskip(SKIP_1) | instid1(VALU_DEP_2)
	v_mad_u64_u32 v[2:3], null, 0xcd9e8d57, v5, 0
	s_cselect_b32 s36, -1, 0
	v_xor3_b32 v1, v37, v1, v6
	s_delay_alu instid0(VALU_DEP_2) | instskip(NEXT) | instid1(VALU_DEP_2)
	v_xor3_b32 v3, v33, v3, v4
	v_mad_u64_u32 v[4:5], null, 0xcd9e8d57, v1, 0
	s_delay_alu instid0(VALU_DEP_2) | instskip(NEXT) | instid1(VALU_DEP_2)
	v_mad_u64_u32 v[6:7], null, 0xd2511f53, v3, 0
	v_xor3_b32 v1, v35, v5, v2
	s_delay_alu instid0(VALU_DEP_2) | instskip(NEXT) | instid1(VALU_DEP_2)
	v_xor3_b32 v0, v38, v7, v0
	v_mad_u64_u32 v[7:8], null, 0xd2511f53, v1, 0
	s_delay_alu instid0(VALU_DEP_2) | instskip(NEXT) | instid1(VALU_DEP_2)
	v_mad_u64_u32 v[1:2], null, 0xcd9e8d57, v0, 0
	v_mov_b32_e32 v3, v7
	s_delay_alu instid0(VALU_DEP_2) | instskip(NEXT) | instid1(VALU_DEP_4)
	v_xor3_b32 v0, v2, v4, v30
	v_xor3_b32 v2, v8, v6, v39
	s_branch .LBB21_9
.LBB21_7:                               ;   in Loop: Header=BB21_9 Depth=1
	s_or_b32 exec_lo, exec_lo, s0
	s_delay_alu instid0(VALU_DEP_1) | instskip(SKIP_1) | instid1(VALU_DEP_2)
	v_add_co_u32 v2, vcc_lo, v8, s20
	v_add_co_ci_u32_e32 v0, vcc_lo, s21, v9, vcc_lo
	v_cvt_f64_u32_e32 v[2:3], v2
	s_delay_alu instid0(VALU_DEP_2) | instskip(NEXT) | instid1(VALU_DEP_1)
	v_cvt_f64_i32_e32 v[0:1], v0
	v_ldexp_f64 v[0:1], v[0:1], 32
	s_delay_alu instid0(VALU_DEP_1)
	v_add_f64 v[0:1], v[0:1], v[2:3]
	global_store_b64 v7, v[0:1], s[12:13]
.LBB21_8:                               ;   in Loop: Header=BB21_9 Depth=1
	s_or_b32 exec_lo, exec_lo, s37
	v_add_co_u32 v15, vcc_lo, v15, s29
	v_add_co_ci_u32_e32 v16, vcc_lo, 0, v16, vcc_lo
	v_mov_b32_e32 v7, v17
	v_dual_mov_b32 v0, v4 :: v_dual_mov_b32 v1, v5
	s_delay_alu instid0(VALU_DEP_3) | instskip(NEXT) | instid1(VALU_DEP_3)
	v_cmp_le_i64_e32 vcc_lo, s[2:3], v[15:16]
	v_dual_mov_b32 v2, v6 :: v_dual_mov_b32 v3, v7
	s_waitcnt_vscnt null, 0x0
	s_barrier
	buffer_gl0_inv
	s_or_b32 s30, vcc_lo, s30
	s_delay_alu instid0(SALU_CYCLE_1)
	s_and_not1_b32 exec_lo, exec_lo, s30
	s_cbranch_execz .LBB21_56
.LBB21_9:                               ; =>This Loop Header: Depth=1
                                        ;     Child Loop BB21_24 Depth 2
                                        ;     Child Loop BB21_29 Depth 2
	;; [unrolled: 1-line block ×4, first 2 shown]
	v_add_co_u32 v19, vcc_lo, v19, 1
	s_delay_alu instid0(VALU_DEP_1) | instskip(SKIP_2) | instid1(VALU_DEP_1)
	v_cndmask_b32_e64 v4, 0, 1, vcc_lo
	v_add_co_ci_u32_e32 v20, vcc_lo, 0, v20, vcc_lo
	s_mov_b32 s0, exec_lo
	v_cmp_eq_u32_e32 vcc_lo, 0, v20
	s_delay_alu instid0(VALU_DEP_3) | instskip(NEXT) | instid1(VALU_DEP_1)
	v_cndmask_b32_e32 v4, 0, v4, vcc_lo
	v_add_nc_u32_e32 v40, v4, v40
	s_delay_alu instid0(VALU_DEP_1) | instskip(SKIP_2) | instid1(VALU_DEP_2)
	v_cmp_eq_u32_e32 vcc_lo, 0, v40
	v_mad_u64_u32 v[6:7], null, 0xcd9e8d57, v40, 0
	v_cndmask_b32_e32 v4, 0, v4, vcc_lo
	v_xor3_b32 v9, v7, v11, v20
	s_delay_alu instid0(VALU_DEP_2) | instskip(SKIP_1) | instid1(VALU_DEP_3)
	v_add_nc_u32_e32 v41, v4, v41
	v_mad_u64_u32 v[4:5], null, 0xd2511f53, v19, 0
	v_mad_u64_u32 v[7:8], null, 0xd2511f53, v9, 0
	s_delay_alu instid0(VALU_DEP_2) | instskip(NEXT) | instid1(VALU_DEP_2)
	v_xor_b32_e32 v5, v5, v12
	v_xor3_b32 v8, v21, v8, v4
	s_delay_alu instid0(VALU_DEP_2) | instskip(NEXT) | instid1(VALU_DEP_1)
	v_xor_b32_e32 v5, v41, v5
	v_mad_u64_u32 v[9:10], null, 0xcd9e8d57, v5, 0
	s_delay_alu instid0(VALU_DEP_3) | instskip(NEXT) | instid1(VALU_DEP_2)
	v_mad_u64_u32 v[4:5], null, 0xcd9e8d57, v8, 0
	v_xor3_b32 v6, v22, v10, v6
	s_delay_alu instid0(VALU_DEP_2) | instskip(NEXT) | instid1(VALU_DEP_2)
	v_xor3_b32 v8, v23, v5, v9
	v_mad_u64_u32 v[17:18], null, 0xd2511f53, v6, 0
	s_delay_alu instid0(VALU_DEP_2) | instskip(NEXT) | instid1(VALU_DEP_2)
	v_mad_u64_u32 v[5:6], null, 0xd2511f53, v8, 0
	v_xor3_b32 v9, v24, v18, v7
	s_delay_alu instid0(VALU_DEP_2) | instskip(NEXT) | instid1(VALU_DEP_2)
	v_xor3_b32 v6, v25, v6, v17
	v_mad_u64_u32 v[7:8], null, 0xcd9e8d57, v9, 0
	s_delay_alu instid0(VALU_DEP_1) | instskip(NEXT) | instid1(VALU_DEP_3)
	v_xor3_b32 v4, v26, v8, v4
	v_mad_u64_u32 v[8:9], null, 0xcd9e8d57, v6, 0
	s_delay_alu instid0(VALU_DEP_2) | instskip(NEXT) | instid1(VALU_DEP_2)
	v_mad_u64_u32 v[17:18], null, 0xd2511f53, v4, 0
	v_xor3_b32 v6, v27, v9, v7
	s_delay_alu instid0(VALU_DEP_2) | instskip(NEXT) | instid1(VALU_DEP_2)
	v_xor3_b32 v9, v28, v18, v5
	v_mad_u64_u32 v[4:5], null, 0xd2511f53, v6, 0
	s_delay_alu instid0(VALU_DEP_2) | instskip(NEXT) | instid1(VALU_DEP_2)
	v_mad_u64_u32 v[6:7], null, 0xcd9e8d57, v9, 0
	v_xor3_b32 v5, v31, v5, v17
	s_delay_alu instid0(VALU_DEP_2) | instskip(NEXT) | instid1(VALU_DEP_2)
	;; [unrolled: 6-line block ×6, first 2 shown]
	v_xor3_b32 v4, v6, v7, v30
	v_mov_b32_e32 v6, v10
	v_cmpx_lt_i32_e32 1, v29
	s_xor_b32 s0, exec_lo, s0
	s_cbranch_execnz .LBB21_12
; %bb.10:                               ;   in Loop: Header=BB21_9 Depth=1
	s_and_not1_saveexec_b32 s0, s0
	s_cbranch_execnz .LBB21_17
.LBB21_11:                              ;   in Loop: Header=BB21_9 Depth=1
	s_or_b32 exec_lo, exec_lo, s0
	s_delay_alu instid0(SALU_CYCLE_1)
	s_mov_b32 s37, exec_lo
	v_cmpx_gt_i64_e64 s[16:17], v[15:16]
	s_cbranch_execnz .LBB21_20
	s_branch .LBB21_38
.LBB21_12:                              ;   in Loop: Header=BB21_9 Depth=1
	s_mov_b32 s1, exec_lo
	v_cmpx_lt_i32_e32 2, v29
	s_xor_b32 s1, exec_lo, s1
; %bb.13:                               ;   in Loop: Header=BB21_9 Depth=1
	v_dual_mov_b32 v7, v3 :: v_dual_mov_b32 v8, v4
	v_mov_b32_e32 v9, v5
	s_delay_alu instid0(VALU_DEP_2) | instskip(NEXT) | instid1(VALU_DEP_2)
	v_dual_mov_b32 v0, v7 :: v_dual_mov_b32 v1, v8
	v_dual_mov_b32 v2, v9 :: v_dual_mov_b32 v3, v10
; %bb.14:                               ;   in Loop: Header=BB21_9 Depth=1
	s_and_not1_saveexec_b32 s1, s1
; %bb.15:                               ;   in Loop: Header=BB21_9 Depth=1
	s_delay_alu instid0(VALU_DEP_1)
	v_dual_mov_b32 v0, v2 :: v_dual_mov_b32 v1, v3
	v_dual_mov_b32 v2, v4 :: v_dual_mov_b32 v3, v5
; %bb.16:                               ;   in Loop: Header=BB21_9 Depth=1
	s_or_b32 exec_lo, exec_lo, s1
	s_and_not1_saveexec_b32 s0, s0
	s_cbranch_execz .LBB21_11
.LBB21_17:                              ;   in Loop: Header=BB21_9 Depth=1
	s_mov_b32 s1, exec_lo
	v_cmpx_eq_u32_e32 1, v29
; %bb.18:                               ;   in Loop: Header=BB21_9 Depth=1
	v_dual_mov_b32 v0, v1 :: v_dual_mov_b32 v1, v2
	v_dual_mov_b32 v2, v3 :: v_dual_mov_b32 v3, v4
; %bb.19:                               ;   in Loop: Header=BB21_9 Depth=1
	s_or_b32 exec_lo, exec_lo, s1
	s_delay_alu instid0(SALU_CYCLE_1) | instskip(NEXT) | instid1(SALU_CYCLE_1)
	s_or_b32 exec_lo, exec_lo, s0
	s_mov_b32 s37, exec_lo
	v_cmpx_gt_i64_e64 s[16:17], v[15:16]
	s_cbranch_execz .LBB21_38
.LBB21_20:                              ;   in Loop: Header=BB21_9 Depth=1
	s_and_not1_b32 vcc_lo, exec_lo, s11
	s_cbranch_vccnz .LBB21_26
; %bb.21:                               ;   in Loop: Header=BB21_9 Depth=1
	v_mov_b32_e32 v7, 0
	s_and_not1_b32 vcc_lo, exec_lo, s31
	s_cbranch_vccnz .LBB21_30
; %bb.22:                               ;   in Loop: Header=BB21_9 Depth=1
	s_and_not1_b32 vcc_lo, exec_lo, s34
	s_mov_b32 s0, 0
	s_cbranch_vccnz .LBB21_27
; %bb.23:                               ;   in Loop: Header=BB21_9 Depth=1
	v_dual_mov_b32 v7, 0 :: v_dual_mov_b32 v8, v15
	s_mov_b32 s38, 0
	s_mov_b64 s[0:1], s[18:19]
	s_mov_b64 s[26:27], s[24:25]
.LBB21_24:                              ;   Parent Loop BB21_9 Depth=1
                                        ; =>  This Inner Loop Header: Depth=2
	s_clause 0x1
	s_load_b256 s[40:47], s[0:1], 0x4
	s_load_b128 s[48:51], s[0:1], 0x24
	s_load_b128 s[52:55], s[26:27], 0x0
	s_add_u32 s0, s0, 48
	s_addc_u32 s1, s1, 0
	s_add_i32 s38, s38, 4
	s_add_u32 s26, s26, 16
	s_addc_u32 s27, s27, 0
	s_cmp_lg_u32 s35, s38
	s_waitcnt lgkmcnt(0)
	v_mul_hi_u32 v9, s41, v8
	s_delay_alu instid0(VALU_DEP_1) | instskip(NEXT) | instid1(VALU_DEP_1)
	v_add_nc_u32_e32 v9, v8, v9
	v_lshrrev_b32_e32 v9, s42, v9
	s_delay_alu instid0(VALU_DEP_1) | instskip(SKIP_1) | instid1(VALU_DEP_2)
	v_mul_hi_u32 v10, s44, v9
	v_mul_lo_u32 v42, v9, s40
	v_add_nc_u32_e32 v10, v9, v10
	s_delay_alu instid0(VALU_DEP_2) | instskip(NEXT) | instid1(VALU_DEP_2)
	v_sub_nc_u32_e32 v42, v8, v42
	v_lshrrev_b32_e32 v10, s45, v10
	s_delay_alu instid0(VALU_DEP_2) | instskip(NEXT) | instid1(VALU_DEP_2)
	v_mul_lo_u32 v42, v42, s52
	v_mul_hi_u32 v14, s47, v10
	v_mul_lo_u32 v43, v10, s43
	s_delay_alu instid0(VALU_DEP_2) | instskip(NEXT) | instid1(VALU_DEP_2)
	v_add_nc_u32_e32 v14, v10, v14
	v_sub_nc_u32_e32 v9, v9, v43
	s_delay_alu instid0(VALU_DEP_2) | instskip(NEXT) | instid1(VALU_DEP_2)
	v_lshrrev_b32_e32 v14, s48, v14
	v_mul_lo_u32 v9, v9, s53
	s_delay_alu instid0(VALU_DEP_2) | instskip(NEXT) | instid1(VALU_DEP_2)
	v_mul_hi_u32 v18, s50, v14
	v_add3_u32 v7, v42, v7, v9
	s_delay_alu instid0(VALU_DEP_2) | instskip(NEXT) | instid1(VALU_DEP_1)
	v_add_nc_u32_e32 v18, v14, v18
	v_lshrrev_b32_e32 v8, s51, v18
	v_mul_lo_u32 v18, v14, s46
	s_delay_alu instid0(VALU_DEP_2) | instskip(NEXT) | instid1(VALU_DEP_2)
	v_mul_lo_u32 v44, v8, s49
	v_sub_nc_u32_e32 v10, v10, v18
	s_delay_alu instid0(VALU_DEP_2) | instskip(NEXT) | instid1(VALU_DEP_2)
	v_sub_nc_u32_e32 v14, v14, v44
	v_mul_lo_u32 v10, v10, s54
	s_delay_alu instid0(VALU_DEP_2) | instskip(NEXT) | instid1(VALU_DEP_1)
	v_mul_lo_u32 v14, v14, s55
	v_add3_u32 v7, v10, v7, v14
	s_cbranch_scc1 .LBB21_24
; %bb.25:                               ;   in Loop: Header=BB21_9 Depth=1
	s_mov_b32 s0, s35
	s_and_not1_b32 vcc_lo, exec_lo, s36
	s_cbranch_vccz .LBB21_28
	s_branch .LBB21_30
.LBB21_26:                              ;   in Loop: Header=BB21_9 Depth=1
                                        ; implicit-def: $vgpr7
	s_branch .LBB21_31
.LBB21_27:                              ;   in Loop: Header=BB21_9 Depth=1
	v_mov_b32_e32 v8, v15
	s_and_not1_b32 vcc_lo, exec_lo, s36
	s_cbranch_vccnz .LBB21_30
.LBB21_28:                              ;   in Loop: Header=BB21_9 Depth=1
	s_lshl_b32 s1, s0, 2
	s_mul_i32 s26, s0, 12
	s_add_u32 s0, s24, s1
	s_addc_u32 s1, s25, 0
	s_add_u32 s26, s18, s26
	s_addc_u32 s27, s19, 0
	s_mov_b32 s38, s33
	.p2align	6
.LBB21_29:                              ;   Parent Loop BB21_9 Depth=1
                                        ; =>  This Inner Loop Header: Depth=2
	s_clause 0x1
	s_load_b64 s[40:41], s[26:27], 0x4
	s_load_b32 s39, s[26:27], 0xc
	s_add_u32 s26, s26, 12
	s_addc_u32 s27, s27, 0
	s_waitcnt lgkmcnt(0)
	v_mul_hi_u32 v9, s41, v8
	s_load_b32 s41, s[0:1], 0x0
	s_add_u32 s0, s0, 4
	s_addc_u32 s1, s1, 0
	s_add_i32 s38, s38, -1
	s_delay_alu instid0(SALU_CYCLE_1) | instskip(NEXT) | instid1(VALU_DEP_1)
	s_cmp_lg_u32 s38, 0
	v_add_nc_u32_e32 v9, v8, v9
	s_delay_alu instid0(VALU_DEP_1) | instskip(NEXT) | instid1(VALU_DEP_1)
	v_lshrrev_b32_e32 v14, s39, v9
	v_mul_lo_u32 v9, v14, s40
	s_delay_alu instid0(VALU_DEP_1) | instskip(SKIP_1) | instid1(VALU_DEP_1)
	v_sub_nc_u32_e32 v8, v8, v9
	s_waitcnt lgkmcnt(0)
	v_mad_u64_u32 v[9:10], null, v8, s41, v[7:8]
	s_delay_alu instid0(VALU_DEP_1)
	v_dual_mov_b32 v8, v14 :: v_dual_mov_b32 v7, v9
	s_cbranch_scc1 .LBB21_29
.LBB21_30:                              ;   in Loop: Header=BB21_9 Depth=1
	s_cbranch_execnz .LBB21_33
.LBB21_31:                              ;   in Loop: Header=BB21_9 Depth=1
	v_mul_hi_u32 v7, v15, s6
	s_and_not1_b32 vcc_lo, exec_lo, s4
	s_delay_alu instid0(VALU_DEP_1) | instskip(NEXT) | instid1(VALU_DEP_1)
	v_add_nc_u32_e32 v7, v7, v15
	v_lshrrev_b32_e32 v8, s7, v7
	s_delay_alu instid0(VALU_DEP_1) | instskip(NEXT) | instid1(VALU_DEP_1)
	v_mul_lo_u32 v7, v8, s5
	v_sub_nc_u32_e32 v7, v15, v7
	s_delay_alu instid0(VALU_DEP_1)
	v_mul_lo_u32 v7, v7, s22
	s_cbranch_vccnz .LBB21_33
; %bb.32:                               ;   in Loop: Header=BB21_9 Depth=1
	v_mul_hi_u32 v9, s9, v8
	s_delay_alu instid0(VALU_DEP_1) | instskip(NEXT) | instid1(VALU_DEP_1)
	v_add_nc_u32_e32 v9, v8, v9
	v_lshrrev_b32_e32 v9, s10, v9
	s_delay_alu instid0(VALU_DEP_1) | instskip(NEXT) | instid1(VALU_DEP_1)
	v_mul_lo_u32 v9, v9, s8
	v_sub_nc_u32_e32 v10, v8, v9
	s_delay_alu instid0(VALU_DEP_1) | instskip(NEXT) | instid1(VALU_DEP_1)
	v_mad_u64_u32 v[8:9], null, v10, s23, v[7:8]
	v_mov_b32_e32 v7, v8
.LBB21_33:                              ;   in Loop: Header=BB21_9 Depth=1
	v_or_b32_e32 v14, s15, v0
                                        ; implicit-def: $vgpr8_vgpr9
	s_mov_b32 s0, exec_lo
	s_delay_alu instid0(VALU_DEP_1)
	v_cmpx_ne_u64_e32 0, v[13:14]
	s_xor_b32 s1, exec_lo, s0
	s_cbranch_execz .LBB21_35
; %bb.34:                               ;   in Loop: Header=BB21_9 Depth=1
	v_cvt_f32_u32_e32 v8, s14
	v_cvt_f32_u32_e32 v9, s15
	s_sub_u32 s0, 0, s14
	s_subb_u32 s26, 0, s15
	s_delay_alu instid0(VALU_DEP_1) | instskip(NEXT) | instid1(VALU_DEP_1)
	v_fmac_f32_e32 v8, 0x4f800000, v9
	v_rcp_f32_e32 v8, v8
	s_waitcnt_depctr 0xfff
	v_mul_f32_e32 v8, 0x5f7ffffc, v8
	s_delay_alu instid0(VALU_DEP_1) | instskip(NEXT) | instid1(VALU_DEP_1)
	v_mul_f32_e32 v9, 0x2f800000, v8
	v_trunc_f32_e32 v9, v9
	s_delay_alu instid0(VALU_DEP_1) | instskip(SKIP_1) | instid1(VALU_DEP_2)
	v_fmac_f32_e32 v8, 0xcf800000, v9
	v_cvt_u32_f32_e32 v9, v9
	v_cvt_u32_f32_e32 v8, v8
	s_delay_alu instid0(VALU_DEP_2) | instskip(NEXT) | instid1(VALU_DEP_2)
	v_mul_lo_u32 v10, s0, v9
	v_mul_hi_u32 v14, s0, v8
	v_mul_lo_u32 v18, s26, v8
	s_delay_alu instid0(VALU_DEP_2) | instskip(SKIP_1) | instid1(VALU_DEP_2)
	v_add_nc_u32_e32 v10, v14, v10
	v_mul_lo_u32 v14, s0, v8
	v_add_nc_u32_e32 v10, v10, v18
	s_delay_alu instid0(VALU_DEP_2) | instskip(NEXT) | instid1(VALU_DEP_2)
	v_mul_hi_u32 v18, v8, v14
	v_mul_lo_u32 v42, v8, v10
	v_mul_hi_u32 v43, v8, v10
	v_mul_hi_u32 v44, v9, v14
	v_mul_lo_u32 v14, v9, v14
	v_mul_hi_u32 v45, v9, v10
	v_mul_lo_u32 v10, v9, v10
	v_add_co_u32 v18, vcc_lo, v18, v42
	v_add_co_ci_u32_e32 v42, vcc_lo, 0, v43, vcc_lo
	s_delay_alu instid0(VALU_DEP_2) | instskip(NEXT) | instid1(VALU_DEP_2)
	v_add_co_u32 v14, vcc_lo, v18, v14
	v_add_co_ci_u32_e32 v14, vcc_lo, v42, v44, vcc_lo
	v_add_co_ci_u32_e32 v18, vcc_lo, 0, v45, vcc_lo
	s_delay_alu instid0(VALU_DEP_2) | instskip(NEXT) | instid1(VALU_DEP_2)
	v_add_co_u32 v10, vcc_lo, v14, v10
	v_add_co_ci_u32_e32 v14, vcc_lo, 0, v18, vcc_lo
	s_delay_alu instid0(VALU_DEP_2) | instskip(NEXT) | instid1(VALU_DEP_2)
	v_add_co_u32 v8, vcc_lo, v8, v10
	v_add_co_ci_u32_e32 v9, vcc_lo, v9, v14, vcc_lo
	s_delay_alu instid0(VALU_DEP_2) | instskip(SKIP_1) | instid1(VALU_DEP_3)
	v_mul_hi_u32 v10, s0, v8
	v_mul_lo_u32 v18, s26, v8
	v_mul_lo_u32 v14, s0, v9
	s_delay_alu instid0(VALU_DEP_1) | instskip(SKIP_1) | instid1(VALU_DEP_2)
	v_add_nc_u32_e32 v10, v10, v14
	v_mul_lo_u32 v14, s0, v8
	v_add_nc_u32_e32 v10, v10, v18
	s_delay_alu instid0(VALU_DEP_2) | instskip(NEXT) | instid1(VALU_DEP_2)
	v_mul_hi_u32 v18, v8, v14
	v_mul_lo_u32 v42, v8, v10
	v_mul_hi_u32 v43, v8, v10
	v_mul_hi_u32 v44, v9, v14
	v_mul_lo_u32 v14, v9, v14
	v_mul_hi_u32 v45, v9, v10
	v_mul_lo_u32 v10, v9, v10
	v_add_co_u32 v18, vcc_lo, v18, v42
	v_add_co_ci_u32_e32 v42, vcc_lo, 0, v43, vcc_lo
	s_delay_alu instid0(VALU_DEP_2) | instskip(NEXT) | instid1(VALU_DEP_2)
	v_add_co_u32 v14, vcc_lo, v18, v14
	v_add_co_ci_u32_e32 v14, vcc_lo, v42, v44, vcc_lo
	v_add_co_ci_u32_e32 v18, vcc_lo, 0, v45, vcc_lo
	s_delay_alu instid0(VALU_DEP_2) | instskip(NEXT) | instid1(VALU_DEP_2)
	v_add_co_u32 v10, vcc_lo, v14, v10
	v_add_co_ci_u32_e32 v14, vcc_lo, 0, v18, vcc_lo
	s_delay_alu instid0(VALU_DEP_2) | instskip(NEXT) | instid1(VALU_DEP_2)
	v_add_co_u32 v10, vcc_lo, v8, v10
	v_add_co_ci_u32_e32 v14, vcc_lo, v9, v14, vcc_lo
	s_delay_alu instid0(VALU_DEP_2) | instskip(SKIP_1) | instid1(VALU_DEP_3)
	v_mul_hi_u32 v18, v1, v10
	v_mad_u64_u32 v[42:43], null, v0, v10, 0
	v_mad_u64_u32 v[8:9], null, v1, v14, 0
	;; [unrolled: 1-line block ×3, first 2 shown]
	s_delay_alu instid0(VALU_DEP_2) | instskip(NEXT) | instid1(VALU_DEP_3)
	v_add_co_u32 v8, vcc_lo, v18, v8
	v_add_co_ci_u32_e32 v9, vcc_lo, 0, v9, vcc_lo
	s_delay_alu instid0(VALU_DEP_2) | instskip(NEXT) | instid1(VALU_DEP_2)
	v_add_co_u32 v8, vcc_lo, v8, v42
	v_add_co_ci_u32_e32 v8, vcc_lo, v9, v43, vcc_lo
	v_add_co_ci_u32_e32 v9, vcc_lo, 0, v45, vcc_lo
	s_delay_alu instid0(VALU_DEP_2) | instskip(NEXT) | instid1(VALU_DEP_2)
	v_add_co_u32 v10, vcc_lo, v8, v44
	v_add_co_ci_u32_e32 v14, vcc_lo, 0, v9, vcc_lo
	s_delay_alu instid0(VALU_DEP_2) | instskip(SKIP_1) | instid1(VALU_DEP_3)
	v_mul_lo_u32 v18, s15, v10
	v_mad_u64_u32 v[8:9], null, s14, v10, 0
	v_mul_lo_u32 v10, s14, v14
	s_delay_alu instid0(VALU_DEP_2) | instskip(NEXT) | instid1(VALU_DEP_2)
	v_sub_co_u32 v8, vcc_lo, v1, v8
	v_add3_u32 v9, v9, v10, v18
	s_delay_alu instid0(VALU_DEP_1) | instskip(NEXT) | instid1(VALU_DEP_1)
	v_sub_nc_u32_e32 v10, v0, v9
	v_subrev_co_ci_u32_e64 v10, s0, s15, v10, vcc_lo
	v_sub_co_ci_u32_e32 v0, vcc_lo, v0, v9, vcc_lo
	v_sub_co_u32 v9, vcc_lo, v8, s14
	s_delay_alu instid0(VALU_DEP_1) | instskip(SKIP_3) | instid1(VALU_DEP_3)
	v_subrev_co_ci_u32_e64 v14, s0, 0, v10, vcc_lo
	v_cmp_le_u32_e64 s0, s14, v8
	v_subrev_co_ci_u32_e32 v10, vcc_lo, s15, v10, vcc_lo
	v_cmp_le_u32_e32 vcc_lo, s15, v0
	v_cndmask_b32_e64 v18, 0, -1, s0
	v_cmp_le_u32_e64 s0, s14, v9
	v_cndmask_b32_e64 v44, 0, -1, vcc_lo
	v_cmp_eq_u32_e32 vcc_lo, s15, v14
	s_delay_alu instid0(VALU_DEP_3) | instskip(SKIP_1) | instid1(VALU_DEP_1)
	v_cndmask_b32_e64 v42, 0, -1, s0
	v_cmp_le_u32_e64 s0, s15, v14
	v_cndmask_b32_e64 v43, 0, -1, s0
	v_cmp_eq_u32_e64 s0, s15, v0
	s_delay_alu instid0(VALU_DEP_2) | instskip(SKIP_2) | instid1(VALU_DEP_3)
	v_cndmask_b32_e32 v42, v43, v42, vcc_lo
	v_sub_co_u32 v43, vcc_lo, v9, s14
	v_subrev_co_ci_u32_e32 v10, vcc_lo, 0, v10, vcc_lo
	v_cmp_ne_u32_e32 vcc_lo, 0, v42
	v_cndmask_b32_e64 v18, v44, v18, s0
	s_delay_alu instid0(VALU_DEP_3) | instskip(SKIP_1) | instid1(VALU_DEP_3)
	v_cndmask_b32_e32 v10, v14, v10, vcc_lo
	v_cndmask_b32_e32 v14, v9, v43, vcc_lo
	v_cmp_ne_u32_e32 vcc_lo, 0, v18
	s_delay_alu instid0(VALU_DEP_3) | instskip(NEXT) | instid1(VALU_DEP_3)
	v_cndmask_b32_e32 v9, v0, v10, vcc_lo
	v_cndmask_b32_e32 v8, v8, v14, vcc_lo
.LBB21_35:                              ;   in Loop: Header=BB21_9 Depth=1
	s_and_not1_saveexec_b32 s0, s1
	s_cbranch_execz .LBB21_37
; %bb.36:                               ;   in Loop: Header=BB21_9 Depth=1
	v_cvt_f32_u32_e32 v0, s14
	s_sub_i32 s1, 0, s14
	v_mov_b32_e32 v9, v13
	s_delay_alu instid0(VALU_DEP_2) | instskip(SKIP_2) | instid1(VALU_DEP_1)
	v_rcp_iflag_f32_e32 v0, v0
	s_waitcnt_depctr 0xfff
	v_mul_f32_e32 v0, 0x4f7ffffe, v0
	v_cvt_u32_f32_e32 v0, v0
	s_delay_alu instid0(VALU_DEP_1) | instskip(NEXT) | instid1(VALU_DEP_1)
	v_mul_lo_u32 v8, s1, v0
	v_mul_hi_u32 v8, v0, v8
	s_delay_alu instid0(VALU_DEP_1) | instskip(NEXT) | instid1(VALU_DEP_1)
	v_add_nc_u32_e32 v0, v0, v8
	v_mul_hi_u32 v0, v1, v0
	s_delay_alu instid0(VALU_DEP_1) | instskip(NEXT) | instid1(VALU_DEP_1)
	v_mul_lo_u32 v0, v0, s14
	v_sub_nc_u32_e32 v0, v1, v0
	s_delay_alu instid0(VALU_DEP_1) | instskip(SKIP_1) | instid1(VALU_DEP_2)
	v_subrev_nc_u32_e32 v1, s14, v0
	v_cmp_le_u32_e32 vcc_lo, s14, v0
	v_cndmask_b32_e32 v0, v0, v1, vcc_lo
	s_delay_alu instid0(VALU_DEP_1) | instskip(SKIP_1) | instid1(VALU_DEP_2)
	v_subrev_nc_u32_e32 v1, s14, v0
	v_cmp_le_u32_e32 vcc_lo, s14, v0
	v_cndmask_b32_e32 v8, v0, v1, vcc_lo
.LBB21_37:                              ;   in Loop: Header=BB21_9 Depth=1
	s_or_b32 exec_lo, exec_lo, s0
	s_delay_alu instid0(VALU_DEP_1) | instskip(SKIP_1) | instid1(VALU_DEP_2)
	v_add_co_u32 v8, vcc_lo, v8, s20
	v_add_co_ci_u32_e32 v0, vcc_lo, s21, v9, vcc_lo
	v_cvt_f64_u32_e32 v[8:9], v8
	s_delay_alu instid0(VALU_DEP_2) | instskip(NEXT) | instid1(VALU_DEP_1)
	v_cvt_f64_i32_e32 v[0:1], v0
	v_ldexp_f64 v[0:1], v[0:1], 32
	s_delay_alu instid0(VALU_DEP_1)
	v_add_f64 v[0:1], v[0:1], v[8:9]
	global_store_b64 v7, v[0:1], s[12:13]
.LBB21_38:                              ;   in Loop: Header=BB21_9 Depth=1
	s_or_b32 exec_lo, exec_lo, s37
	v_add_co_u32 v0, vcc_lo, v15, s28
	v_add_co_ci_u32_e32 v1, vcc_lo, 0, v16, vcc_lo
	s_mov_b32 s37, exec_lo
	s_delay_alu instid0(VALU_DEP_1)
	v_cmpx_gt_i64_e64 s[16:17], v[0:1]
	s_cbranch_execz .LBB21_8
; %bb.39:                               ;   in Loop: Header=BB21_9 Depth=1
	s_and_not1_b32 vcc_lo, exec_lo, s11
	s_cbranch_vccnz .LBB21_45
; %bb.40:                               ;   in Loop: Header=BB21_9 Depth=1
	v_mov_b32_e32 v7, 0
	s_and_not1_b32 vcc_lo, exec_lo, s31
	s_cbranch_vccnz .LBB21_49
; %bb.41:                               ;   in Loop: Header=BB21_9 Depth=1
	s_and_not1_b32 vcc_lo, exec_lo, s34
	s_mov_b32 s0, 0
	s_cbranch_vccnz .LBB21_46
; %bb.42:                               ;   in Loop: Header=BB21_9 Depth=1
	v_mov_b32_e32 v7, 0
	v_mov_b32_e32 v1, v0
	s_mov_b32 s38, 0
	s_mov_b64 s[0:1], s[18:19]
	s_mov_b64 s[26:27], s[24:25]
.LBB21_43:                              ;   Parent Loop BB21_9 Depth=1
                                        ; =>  This Inner Loop Header: Depth=2
	s_clause 0x1
	s_load_b256 s[40:47], s[0:1], 0x4
	s_load_b128 s[48:51], s[0:1], 0x24
	s_load_b128 s[52:55], s[26:27], 0x0
	s_add_u32 s0, s0, 48
	s_addc_u32 s1, s1, 0
	s_add_i32 s38, s38, 4
	s_add_u32 s26, s26, 16
	s_addc_u32 s27, s27, 0
	s_cmp_eq_u32 s35, s38
	s_waitcnt lgkmcnt(0)
	v_mul_hi_u32 v8, s41, v1
	s_delay_alu instid0(VALU_DEP_1) | instskip(NEXT) | instid1(VALU_DEP_1)
	v_add_nc_u32_e32 v8, v1, v8
	v_lshrrev_b32_e32 v8, s42, v8
	s_delay_alu instid0(VALU_DEP_1) | instskip(SKIP_1) | instid1(VALU_DEP_2)
	v_mul_hi_u32 v9, s44, v8
	v_mul_lo_u32 v18, v8, s40
	v_add_nc_u32_e32 v9, v8, v9
	s_delay_alu instid0(VALU_DEP_2) | instskip(NEXT) | instid1(VALU_DEP_2)
	v_sub_nc_u32_e32 v18, v1, v18
	v_lshrrev_b32_e32 v9, s45, v9
	s_delay_alu instid0(VALU_DEP_2) | instskip(NEXT) | instid1(VALU_DEP_2)
	v_mul_lo_u32 v18, v18, s52
	v_mul_hi_u32 v10, s47, v9
	v_mul_lo_u32 v42, v9, s43
	s_delay_alu instid0(VALU_DEP_2) | instskip(NEXT) | instid1(VALU_DEP_2)
	v_add_nc_u32_e32 v10, v9, v10
	v_sub_nc_u32_e32 v8, v8, v42
	s_delay_alu instid0(VALU_DEP_2) | instskip(NEXT) | instid1(VALU_DEP_2)
	v_lshrrev_b32_e32 v10, s48, v10
	v_mul_lo_u32 v8, v8, s53
	s_delay_alu instid0(VALU_DEP_2) | instskip(NEXT) | instid1(VALU_DEP_2)
	v_mul_hi_u32 v14, s50, v10
	v_add3_u32 v7, v18, v7, v8
	s_delay_alu instid0(VALU_DEP_2) | instskip(NEXT) | instid1(VALU_DEP_1)
	v_add_nc_u32_e32 v14, v10, v14
	v_lshrrev_b32_e32 v1, s51, v14
	v_mul_lo_u32 v14, v10, s46
	s_delay_alu instid0(VALU_DEP_2) | instskip(NEXT) | instid1(VALU_DEP_2)
	v_mul_lo_u32 v43, v1, s49
	v_sub_nc_u32_e32 v9, v9, v14
	s_delay_alu instid0(VALU_DEP_2) | instskip(NEXT) | instid1(VALU_DEP_2)
	v_sub_nc_u32_e32 v10, v10, v43
	v_mul_lo_u32 v9, v9, s54
	s_delay_alu instid0(VALU_DEP_2) | instskip(NEXT) | instid1(VALU_DEP_1)
	v_mul_lo_u32 v10, v10, s55
	v_add3_u32 v7, v9, v7, v10
	s_cbranch_scc0 .LBB21_43
; %bb.44:                               ;   in Loop: Header=BB21_9 Depth=1
	s_mov_b32 s0, s35
	s_and_not1_b32 vcc_lo, exec_lo, s36
	s_cbranch_vccz .LBB21_47
	s_branch .LBB21_49
.LBB21_45:                              ;   in Loop: Header=BB21_9 Depth=1
                                        ; implicit-def: $vgpr7
	s_branch .LBB21_50
.LBB21_46:                              ;   in Loop: Header=BB21_9 Depth=1
	v_mov_b32_e32 v1, v0
	s_and_not1_b32 vcc_lo, exec_lo, s36
	s_cbranch_vccnz .LBB21_49
.LBB21_47:                              ;   in Loop: Header=BB21_9 Depth=1
	s_lshl_b32 s1, s0, 2
	s_mul_i32 s26, s0, 12
	s_add_u32 s0, s24, s1
	s_addc_u32 s1, s25, 0
	s_add_u32 s26, s18, s26
	s_addc_u32 s27, s19, 0
	s_mov_b32 s38, s33
	.p2align	6
.LBB21_48:                              ;   Parent Loop BB21_9 Depth=1
                                        ; =>  This Inner Loop Header: Depth=2
	s_clause 0x1
	s_load_b64 s[40:41], s[26:27], 0x4
	s_load_b32 s39, s[26:27], 0xc
	s_add_u32 s26, s26, 12
	s_addc_u32 s27, s27, 0
	s_waitcnt lgkmcnt(0)
	v_mul_hi_u32 v8, s41, v1
	s_load_b32 s41, s[0:1], 0x0
	s_add_u32 s0, s0, 4
	s_addc_u32 s1, s1, 0
	s_add_i32 s38, s38, -1
	s_delay_alu instid0(SALU_CYCLE_1) | instskip(NEXT) | instid1(VALU_DEP_1)
	s_cmp_lg_u32 s38, 0
	v_add_nc_u32_e32 v8, v1, v8
	s_delay_alu instid0(VALU_DEP_1) | instskip(NEXT) | instid1(VALU_DEP_1)
	v_lshrrev_b32_e32 v10, s39, v8
	v_mul_lo_u32 v8, v10, s40
	s_delay_alu instid0(VALU_DEP_1) | instskip(SKIP_1) | instid1(VALU_DEP_1)
	v_sub_nc_u32_e32 v1, v1, v8
	s_waitcnt lgkmcnt(0)
	v_mad_u64_u32 v[8:9], null, v1, s41, v[7:8]
	v_mov_b32_e32 v1, v10
	s_delay_alu instid0(VALU_DEP_2)
	v_mov_b32_e32 v7, v8
	s_cbranch_scc1 .LBB21_48
.LBB21_49:                              ;   in Loop: Header=BB21_9 Depth=1
	s_cbranch_execnz .LBB21_52
.LBB21_50:                              ;   in Loop: Header=BB21_9 Depth=1
	v_mul_hi_u32 v1, v0, s6
	s_and_not1_b32 vcc_lo, exec_lo, s4
	s_delay_alu instid0(VALU_DEP_1) | instskip(NEXT) | instid1(VALU_DEP_1)
	v_add_nc_u32_e32 v1, v1, v0
	v_lshrrev_b32_e32 v1, s7, v1
	s_delay_alu instid0(VALU_DEP_1) | instskip(NEXT) | instid1(VALU_DEP_1)
	v_mul_lo_u32 v7, v1, s5
	v_sub_nc_u32_e32 v0, v0, v7
	s_delay_alu instid0(VALU_DEP_1)
	v_mul_lo_u32 v7, v0, s22
	s_cbranch_vccnz .LBB21_52
; %bb.51:                               ;   in Loop: Header=BB21_9 Depth=1
	v_mul_hi_u32 v0, s9, v1
	s_delay_alu instid0(VALU_DEP_1) | instskip(NEXT) | instid1(VALU_DEP_1)
	v_add_nc_u32_e32 v0, v1, v0
	v_lshrrev_b32_e32 v0, s10, v0
	s_delay_alu instid0(VALU_DEP_1) | instskip(NEXT) | instid1(VALU_DEP_1)
	v_mul_lo_u32 v0, v0, s8
	v_sub_nc_u32_e32 v8, v1, v0
	s_delay_alu instid0(VALU_DEP_1) | instskip(NEXT) | instid1(VALU_DEP_1)
	v_mad_u64_u32 v[0:1], null, v8, s23, v[7:8]
	v_mov_b32_e32 v7, v0
.LBB21_52:                              ;   in Loop: Header=BB21_9 Depth=1
	v_or_b32_e32 v14, s15, v2
                                        ; implicit-def: $vgpr8_vgpr9
	s_mov_b32 s0, exec_lo
	s_delay_alu instid0(VALU_DEP_1)
	v_cmpx_ne_u64_e32 0, v[13:14]
	s_xor_b32 s1, exec_lo, s0
	s_cbranch_execz .LBB21_54
; %bb.53:                               ;   in Loop: Header=BB21_9 Depth=1
	v_cvt_f32_u32_e32 v0, s14
	v_cvt_f32_u32_e32 v1, s15
	s_sub_u32 s0, 0, s14
	s_subb_u32 s26, 0, s15
	s_delay_alu instid0(VALU_DEP_1) | instskip(NEXT) | instid1(VALU_DEP_1)
	v_fmac_f32_e32 v0, 0x4f800000, v1
	v_rcp_f32_e32 v0, v0
	s_waitcnt_depctr 0xfff
	v_mul_f32_e32 v0, 0x5f7ffffc, v0
	s_delay_alu instid0(VALU_DEP_1) | instskip(NEXT) | instid1(VALU_DEP_1)
	v_mul_f32_e32 v1, 0x2f800000, v0
	v_trunc_f32_e32 v1, v1
	s_delay_alu instid0(VALU_DEP_1) | instskip(SKIP_1) | instid1(VALU_DEP_2)
	v_fmac_f32_e32 v0, 0xcf800000, v1
	v_cvt_u32_f32_e32 v1, v1
	v_cvt_u32_f32_e32 v0, v0
	s_delay_alu instid0(VALU_DEP_2) | instskip(NEXT) | instid1(VALU_DEP_2)
	v_mul_lo_u32 v8, s0, v1
	v_mul_hi_u32 v9, s0, v0
	v_mul_lo_u32 v10, s26, v0
	s_delay_alu instid0(VALU_DEP_2) | instskip(SKIP_1) | instid1(VALU_DEP_2)
	v_add_nc_u32_e32 v8, v9, v8
	v_mul_lo_u32 v9, s0, v0
	v_add_nc_u32_e32 v8, v8, v10
	s_delay_alu instid0(VALU_DEP_2) | instskip(NEXT) | instid1(VALU_DEP_2)
	v_mul_hi_u32 v10, v0, v9
	v_mul_lo_u32 v14, v0, v8
	v_mul_hi_u32 v18, v0, v8
	v_mul_hi_u32 v42, v1, v9
	v_mul_lo_u32 v9, v1, v9
	v_mul_hi_u32 v43, v1, v8
	v_mul_lo_u32 v8, v1, v8
	v_add_co_u32 v10, vcc_lo, v10, v14
	v_add_co_ci_u32_e32 v14, vcc_lo, 0, v18, vcc_lo
	s_delay_alu instid0(VALU_DEP_2) | instskip(NEXT) | instid1(VALU_DEP_2)
	v_add_co_u32 v9, vcc_lo, v10, v9
	v_add_co_ci_u32_e32 v9, vcc_lo, v14, v42, vcc_lo
	v_add_co_ci_u32_e32 v10, vcc_lo, 0, v43, vcc_lo
	s_delay_alu instid0(VALU_DEP_2) | instskip(NEXT) | instid1(VALU_DEP_2)
	v_add_co_u32 v8, vcc_lo, v9, v8
	v_add_co_ci_u32_e32 v9, vcc_lo, 0, v10, vcc_lo
	s_delay_alu instid0(VALU_DEP_2) | instskip(NEXT) | instid1(VALU_DEP_2)
	v_add_co_u32 v0, vcc_lo, v0, v8
	v_add_co_ci_u32_e32 v1, vcc_lo, v1, v9, vcc_lo
	s_delay_alu instid0(VALU_DEP_2) | instskip(SKIP_1) | instid1(VALU_DEP_3)
	v_mul_hi_u32 v8, s0, v0
	v_mul_lo_u32 v10, s26, v0
	v_mul_lo_u32 v9, s0, v1
	s_delay_alu instid0(VALU_DEP_1) | instskip(SKIP_1) | instid1(VALU_DEP_2)
	v_add_nc_u32_e32 v8, v8, v9
	v_mul_lo_u32 v9, s0, v0
	v_add_nc_u32_e32 v8, v8, v10
	s_delay_alu instid0(VALU_DEP_2) | instskip(NEXT) | instid1(VALU_DEP_2)
	v_mul_hi_u32 v10, v0, v9
	v_mul_lo_u32 v14, v0, v8
	v_mul_hi_u32 v18, v0, v8
	v_mul_hi_u32 v42, v1, v9
	v_mul_lo_u32 v9, v1, v9
	v_mul_hi_u32 v43, v1, v8
	v_mul_lo_u32 v8, v1, v8
	v_add_co_u32 v10, vcc_lo, v10, v14
	v_add_co_ci_u32_e32 v14, vcc_lo, 0, v18, vcc_lo
	s_delay_alu instid0(VALU_DEP_2) | instskip(NEXT) | instid1(VALU_DEP_2)
	v_add_co_u32 v9, vcc_lo, v10, v9
	v_add_co_ci_u32_e32 v9, vcc_lo, v14, v42, vcc_lo
	v_add_co_ci_u32_e32 v10, vcc_lo, 0, v43, vcc_lo
	s_delay_alu instid0(VALU_DEP_2) | instskip(NEXT) | instid1(VALU_DEP_2)
	v_add_co_u32 v8, vcc_lo, v9, v8
	v_add_co_ci_u32_e32 v9, vcc_lo, 0, v10, vcc_lo
	s_delay_alu instid0(VALU_DEP_2) | instskip(NEXT) | instid1(VALU_DEP_2)
	v_add_co_u32 v10, vcc_lo, v0, v8
	v_add_co_ci_u32_e32 v14, vcc_lo, v1, v9, vcc_lo
	s_delay_alu instid0(VALU_DEP_2) | instskip(SKIP_1) | instid1(VALU_DEP_3)
	v_mul_hi_u32 v18, v3, v10
	v_mad_u64_u32 v[8:9], null, v2, v10, 0
	v_mad_u64_u32 v[0:1], null, v3, v14, 0
	;; [unrolled: 1-line block ×3, first 2 shown]
	s_delay_alu instid0(VALU_DEP_2) | instskip(NEXT) | instid1(VALU_DEP_3)
	v_add_co_u32 v0, vcc_lo, v18, v0
	v_add_co_ci_u32_e32 v1, vcc_lo, 0, v1, vcc_lo
	s_delay_alu instid0(VALU_DEP_2) | instskip(NEXT) | instid1(VALU_DEP_2)
	v_add_co_u32 v0, vcc_lo, v0, v8
	v_add_co_ci_u32_e32 v0, vcc_lo, v1, v9, vcc_lo
	v_add_co_ci_u32_e32 v1, vcc_lo, 0, v43, vcc_lo
	s_delay_alu instid0(VALU_DEP_2) | instskip(NEXT) | instid1(VALU_DEP_2)
	v_add_co_u32 v8, vcc_lo, v0, v42
	v_add_co_ci_u32_e32 v9, vcc_lo, 0, v1, vcc_lo
	s_delay_alu instid0(VALU_DEP_2) | instskip(SKIP_1) | instid1(VALU_DEP_3)
	v_mul_lo_u32 v10, s15, v8
	v_mad_u64_u32 v[0:1], null, s14, v8, 0
	v_mul_lo_u32 v8, s14, v9
	s_delay_alu instid0(VALU_DEP_2) | instskip(NEXT) | instid1(VALU_DEP_2)
	v_sub_co_u32 v0, vcc_lo, v3, v0
	v_add3_u32 v1, v1, v8, v10
	s_delay_alu instid0(VALU_DEP_1) | instskip(NEXT) | instid1(VALU_DEP_1)
	v_sub_nc_u32_e32 v8, v2, v1
	v_subrev_co_ci_u32_e64 v3, s0, s15, v8, vcc_lo
	v_sub_co_ci_u32_e32 v1, vcc_lo, v2, v1, vcc_lo
	v_sub_co_u32 v2, vcc_lo, v0, s14
	s_delay_alu instid0(VALU_DEP_1) | instskip(SKIP_3) | instid1(VALU_DEP_3)
	v_subrev_co_ci_u32_e64 v8, s0, 0, v3, vcc_lo
	v_cmp_le_u32_e64 s0, s14, v0
	v_subrev_co_ci_u32_e32 v3, vcc_lo, s15, v3, vcc_lo
	v_cmp_le_u32_e32 vcc_lo, s15, v1
	v_cndmask_b32_e64 v9, 0, -1, s0
	v_cmp_le_u32_e64 s0, s14, v2
	v_cndmask_b32_e64 v18, 0, -1, vcc_lo
	v_cmp_eq_u32_e32 vcc_lo, s15, v8
	s_delay_alu instid0(VALU_DEP_3) | instskip(SKIP_1) | instid1(VALU_DEP_1)
	v_cndmask_b32_e64 v10, 0, -1, s0
	v_cmp_le_u32_e64 s0, s15, v8
	v_cndmask_b32_e64 v14, 0, -1, s0
	v_cmp_eq_u32_e64 s0, s15, v1
	s_delay_alu instid0(VALU_DEP_2) | instskip(SKIP_2) | instid1(VALU_DEP_3)
	v_cndmask_b32_e32 v10, v14, v10, vcc_lo
	v_sub_co_u32 v14, vcc_lo, v2, s14
	v_subrev_co_ci_u32_e32 v3, vcc_lo, 0, v3, vcc_lo
	v_cmp_ne_u32_e32 vcc_lo, 0, v10
	v_cndmask_b32_e64 v9, v18, v9, s0
	s_delay_alu instid0(VALU_DEP_3) | instskip(NEXT) | instid1(VALU_DEP_2)
	v_dual_cndmask_b32 v3, v8, v3 :: v_dual_cndmask_b32 v2, v2, v14
	v_cmp_ne_u32_e32 vcc_lo, 0, v9
	s_delay_alu instid0(VALU_DEP_2)
	v_dual_cndmask_b32 v9, v1, v3 :: v_dual_cndmask_b32 v8, v0, v2
                                        ; implicit-def: $vgpr0_vgpr1_vgpr2_vgpr3
.LBB21_54:                              ;   in Loop: Header=BB21_9 Depth=1
	s_and_not1_saveexec_b32 s0, s1
	s_cbranch_execz .LBB21_7
; %bb.55:                               ;   in Loop: Header=BB21_9 Depth=1
	v_cvt_f32_u32_e32 v0, s14
	s_sub_i32 s1, 0, s14
	v_mov_b32_e32 v9, v13
	s_delay_alu instid0(VALU_DEP_2) | instskip(SKIP_2) | instid1(VALU_DEP_1)
	v_rcp_iflag_f32_e32 v0, v0
	s_waitcnt_depctr 0xfff
	v_mul_f32_e32 v0, 0x4f7ffffe, v0
	v_cvt_u32_f32_e32 v0, v0
	s_delay_alu instid0(VALU_DEP_1) | instskip(NEXT) | instid1(VALU_DEP_1)
	v_mul_lo_u32 v1, s1, v0
	v_mul_hi_u32 v1, v0, v1
	s_delay_alu instid0(VALU_DEP_1) | instskip(NEXT) | instid1(VALU_DEP_1)
	v_add_nc_u32_e32 v0, v0, v1
	v_mul_hi_u32 v0, v3, v0
	s_delay_alu instid0(VALU_DEP_1) | instskip(NEXT) | instid1(VALU_DEP_1)
	v_mul_lo_u32 v0, v0, s14
	v_sub_nc_u32_e32 v0, v3, v0
	s_delay_alu instid0(VALU_DEP_1) | instskip(SKIP_1) | instid1(VALU_DEP_2)
	v_subrev_nc_u32_e32 v1, s14, v0
	v_cmp_le_u32_e32 vcc_lo, s14, v0
	v_cndmask_b32_e32 v0, v0, v1, vcc_lo
	s_delay_alu instid0(VALU_DEP_1) | instskip(SKIP_1) | instid1(VALU_DEP_2)
	v_subrev_nc_u32_e32 v1, s14, v0
	v_cmp_le_u32_e32 vcc_lo, s14, v0
	v_cndmask_b32_e32 v8, v0, v1, vcc_lo
	s_branch .LBB21_7
.LBB21_56:
	s_endpgm
.LBB21_57:
                                        ; implicit-def: $sgpr2_sgpr3
	s_branch .LBB21_4
	.section	.rodata,"a",@progbits
	.p2align	6, 0x0
	.amdhsa_kernel _ZN2at6native12_GLOBAL__N_143distribution_elementwise_grid_stride_kernelImLi2EZZZNS0_9templates4cuda21random_from_to_kernelIPNS_17CUDAGeneratorImplEEEvRNS_18TensorIteratorBaseEmlT_ENKUlvE_clEvENKUlvE4_clEvEUlP25hiprandStatePhilox4_32_10E_ZNS1_27distribution_nullary_kernelIdm15HIP_vector_typeIyLj2EES7_SF_ZZZNS5_IS7_EEvS9_mlSA_ENKSB_clEvENKSC_clEvEUlmE_EEvS9_T2_RKT3_T4_EUlimE0_EEvlNS_15PhiloxCudaStateET1_SK_
		.amdhsa_group_segment_fixed_size 0
		.amdhsa_private_segment_fixed_size 0
		.amdhsa_kernarg_size 592
		.amdhsa_user_sgpr_count 15
		.amdhsa_user_sgpr_dispatch_ptr 0
		.amdhsa_user_sgpr_queue_ptr 0
		.amdhsa_user_sgpr_kernarg_segment_ptr 1
		.amdhsa_user_sgpr_dispatch_id 0
		.amdhsa_user_sgpr_private_segment_size 0
		.amdhsa_wavefront_size32 1
		.amdhsa_uses_dynamic_stack 0
		.amdhsa_enable_private_segment 0
		.amdhsa_system_sgpr_workgroup_id_x 1
		.amdhsa_system_sgpr_workgroup_id_y 0
		.amdhsa_system_sgpr_workgroup_id_z 0
		.amdhsa_system_sgpr_workgroup_info 0
		.amdhsa_system_vgpr_workitem_id 0
		.amdhsa_next_free_vgpr 46
		.amdhsa_next_free_sgpr 56
		.amdhsa_reserve_vcc 1
		.amdhsa_float_round_mode_32 0
		.amdhsa_float_round_mode_16_64 0
		.amdhsa_float_denorm_mode_32 3
		.amdhsa_float_denorm_mode_16_64 3
		.amdhsa_dx10_clamp 1
		.amdhsa_ieee_mode 1
		.amdhsa_fp16_overflow 0
		.amdhsa_workgroup_processor_mode 1
		.amdhsa_memory_ordered 1
		.amdhsa_forward_progress 0
		.amdhsa_shared_vgpr_count 0
		.amdhsa_exception_fp_ieee_invalid_op 0
		.amdhsa_exception_fp_denorm_src 0
		.amdhsa_exception_fp_ieee_div_zero 0
		.amdhsa_exception_fp_ieee_overflow 0
		.amdhsa_exception_fp_ieee_underflow 0
		.amdhsa_exception_fp_ieee_inexact 0
		.amdhsa_exception_int_div_zero 0
	.end_amdhsa_kernel
	.section	.text._ZN2at6native12_GLOBAL__N_143distribution_elementwise_grid_stride_kernelImLi2EZZZNS0_9templates4cuda21random_from_to_kernelIPNS_17CUDAGeneratorImplEEEvRNS_18TensorIteratorBaseEmlT_ENKUlvE_clEvENKUlvE4_clEvEUlP25hiprandStatePhilox4_32_10E_ZNS1_27distribution_nullary_kernelIdm15HIP_vector_typeIyLj2EES7_SF_ZZZNS5_IS7_EEvS9_mlSA_ENKSB_clEvENKSC_clEvEUlmE_EEvS9_T2_RKT3_T4_EUlimE0_EEvlNS_15PhiloxCudaStateET1_SK_,"axG",@progbits,_ZN2at6native12_GLOBAL__N_143distribution_elementwise_grid_stride_kernelImLi2EZZZNS0_9templates4cuda21random_from_to_kernelIPNS_17CUDAGeneratorImplEEEvRNS_18TensorIteratorBaseEmlT_ENKUlvE_clEvENKUlvE4_clEvEUlP25hiprandStatePhilox4_32_10E_ZNS1_27distribution_nullary_kernelIdm15HIP_vector_typeIyLj2EES7_SF_ZZZNS5_IS7_EEvS9_mlSA_ENKSB_clEvENKSC_clEvEUlmE_EEvS9_T2_RKT3_T4_EUlimE0_EEvlNS_15PhiloxCudaStateET1_SK_,comdat
.Lfunc_end21:
	.size	_ZN2at6native12_GLOBAL__N_143distribution_elementwise_grid_stride_kernelImLi2EZZZNS0_9templates4cuda21random_from_to_kernelIPNS_17CUDAGeneratorImplEEEvRNS_18TensorIteratorBaseEmlT_ENKUlvE_clEvENKUlvE4_clEvEUlP25hiprandStatePhilox4_32_10E_ZNS1_27distribution_nullary_kernelIdm15HIP_vector_typeIyLj2EES7_SF_ZZZNS5_IS7_EEvS9_mlSA_ENKSB_clEvENKSC_clEvEUlmE_EEvS9_T2_RKT3_T4_EUlimE0_EEvlNS_15PhiloxCudaStateET1_SK_, .Lfunc_end21-_ZN2at6native12_GLOBAL__N_143distribution_elementwise_grid_stride_kernelImLi2EZZZNS0_9templates4cuda21random_from_to_kernelIPNS_17CUDAGeneratorImplEEEvRNS_18TensorIteratorBaseEmlT_ENKUlvE_clEvENKUlvE4_clEvEUlP25hiprandStatePhilox4_32_10E_ZNS1_27distribution_nullary_kernelIdm15HIP_vector_typeIyLj2EES7_SF_ZZZNS5_IS7_EEvS9_mlSA_ENKSB_clEvENKSC_clEvEUlmE_EEvS9_T2_RKT3_T4_EUlimE0_EEvlNS_15PhiloxCudaStateET1_SK_
                                        ; -- End function
	.section	.AMDGPU.csdata,"",@progbits
; Kernel info:
; codeLenInByte = 5712
; NumSgprs: 58
; NumVgprs: 46
; ScratchSize: 0
; MemoryBound: 0
; FloatMode: 240
; IeeeMode: 1
; LDSByteSize: 0 bytes/workgroup (compile time only)
; SGPRBlocks: 7
; VGPRBlocks: 5
; NumSGPRsForWavesPerEU: 58
; NumVGPRsForWavesPerEU: 46
; Occupancy: 16
; WaveLimiterHint : 1
; COMPUTE_PGM_RSRC2:SCRATCH_EN: 0
; COMPUTE_PGM_RSRC2:USER_SGPR: 15
; COMPUTE_PGM_RSRC2:TRAP_HANDLER: 0
; COMPUTE_PGM_RSRC2:TGID_X_EN: 1
; COMPUTE_PGM_RSRC2:TGID_Y_EN: 0
; COMPUTE_PGM_RSRC2:TGID_Z_EN: 0
; COMPUTE_PGM_RSRC2:TIDIG_COMP_CNT: 0
	.section	.text._ZN2at6native12_GLOBAL__N_143distribution_elementwise_grid_stride_kernelIjLi4EZZZNS0_9templates4cuda21random_from_to_kernelIPNS_17CUDAGeneratorImplEEEvRNS_18TensorIteratorBaseEmlT_ENKUlvE_clEvENKUlvE4_clEvEUlP25hiprandStatePhilox4_32_10E0_ZNS1_27distribution_nullary_kernelIdj15HIP_vector_typeIjLj4EES7_SF_ZZZNS5_IS7_EEvS9_mlSA_ENKSB_clEvENKSC_clEvEUljE_EEvS9_T2_RKT3_T4_EUlijE_EEvlNS_15PhiloxCudaStateET1_SK_,"axG",@progbits,_ZN2at6native12_GLOBAL__N_143distribution_elementwise_grid_stride_kernelIjLi4EZZZNS0_9templates4cuda21random_from_to_kernelIPNS_17CUDAGeneratorImplEEEvRNS_18TensorIteratorBaseEmlT_ENKUlvE_clEvENKUlvE4_clEvEUlP25hiprandStatePhilox4_32_10E0_ZNS1_27distribution_nullary_kernelIdj15HIP_vector_typeIjLj4EES7_SF_ZZZNS5_IS7_EEvS9_mlSA_ENKSB_clEvENKSC_clEvEUljE_EEvS9_T2_RKT3_T4_EUlijE_EEvlNS_15PhiloxCudaStateET1_SK_,comdat
	.globl	_ZN2at6native12_GLOBAL__N_143distribution_elementwise_grid_stride_kernelIjLi4EZZZNS0_9templates4cuda21random_from_to_kernelIPNS_17CUDAGeneratorImplEEEvRNS_18TensorIteratorBaseEmlT_ENKUlvE_clEvENKUlvE4_clEvEUlP25hiprandStatePhilox4_32_10E0_ZNS1_27distribution_nullary_kernelIdj15HIP_vector_typeIjLj4EES7_SF_ZZZNS5_IS7_EEvS9_mlSA_ENKSB_clEvENKSC_clEvEUljE_EEvS9_T2_RKT3_T4_EUlijE_EEvlNS_15PhiloxCudaStateET1_SK_ ; -- Begin function _ZN2at6native12_GLOBAL__N_143distribution_elementwise_grid_stride_kernelIjLi4EZZZNS0_9templates4cuda21random_from_to_kernelIPNS_17CUDAGeneratorImplEEEvRNS_18TensorIteratorBaseEmlT_ENKUlvE_clEvENKUlvE4_clEvEUlP25hiprandStatePhilox4_32_10E0_ZNS1_27distribution_nullary_kernelIdj15HIP_vector_typeIjLj4EES7_SF_ZZZNS5_IS7_EEvS9_mlSA_ENKSB_clEvENKSC_clEvEUljE_EEvS9_T2_RKT3_T4_EUlijE_EEvlNS_15PhiloxCudaStateET1_SK_
	.p2align	8
	.type	_ZN2at6native12_GLOBAL__N_143distribution_elementwise_grid_stride_kernelIjLi4EZZZNS0_9templates4cuda21random_from_to_kernelIPNS_17CUDAGeneratorImplEEEvRNS_18TensorIteratorBaseEmlT_ENKUlvE_clEvENKUlvE4_clEvEUlP25hiprandStatePhilox4_32_10E0_ZNS1_27distribution_nullary_kernelIdj15HIP_vector_typeIjLj4EES7_SF_ZZZNS5_IS7_EEvS9_mlSA_ENKSB_clEvENKSC_clEvEUljE_EEvS9_T2_RKT3_T4_EUlijE_EEvlNS_15PhiloxCudaStateET1_SK_,@function
_ZN2at6native12_GLOBAL__N_143distribution_elementwise_grid_stride_kernelIjLi4EZZZNS0_9templates4cuda21random_from_to_kernelIPNS_17CUDAGeneratorImplEEEvRNS_18TensorIteratorBaseEmlT_ENKUlvE_clEvENKUlvE4_clEvEUlP25hiprandStatePhilox4_32_10E0_ZNS1_27distribution_nullary_kernelIdj15HIP_vector_typeIjLj4EES7_SF_ZZZNS5_IS7_EEvS9_mlSA_ENKSB_clEvENKSC_clEvEUljE_EEvS9_T2_RKT3_T4_EUlijE_EEvlNS_15PhiloxCudaStateET1_SK_: ; @_ZN2at6native12_GLOBAL__N_143distribution_elementwise_grid_stride_kernelIjLi4EZZZNS0_9templates4cuda21random_from_to_kernelIPNS_17CUDAGeneratorImplEEEvRNS_18TensorIteratorBaseEmlT_ENKUlvE_clEvENKUlvE4_clEvEUlP25hiprandStatePhilox4_32_10E0_ZNS1_27distribution_nullary_kernelIdj15HIP_vector_typeIjLj4EES7_SF_ZZZNS5_IS7_EEvS9_mlSA_ENKSB_clEvENKSC_clEvEUljE_EEvS9_T2_RKT3_T4_EUlijE_EEvlNS_15PhiloxCudaStateET1_SK_
; %bb.0:
	s_clause 0x2
	s_load_b64 s[8:9], s[0:1], 0x10
	s_load_b128 s[4:7], s[0:1], 0x0
	s_load_b32 s2, s[0:1], 0x20
	s_waitcnt lgkmcnt(0)
	v_dual_mov_b32 v2, s8 :: v_dual_mov_b32 v3, s9
	v_dual_mov_b32 v14, s7 :: v_dual_mov_b32 v13, s6
	s_bitcmp0_b32 s2, 0
	s_mov_b32 s2, 0
	s_cbranch_scc1 .LBB22_2
; %bb.1:
	v_dual_mov_b32 v1, s8 :: v_dual_mov_b32 v2, s9
	v_dual_mov_b32 v4, s6 :: v_dual_mov_b32 v5, s7
	s_load_b64 s[6:7], s[0:1], 0x18
	flat_load_b64 v[2:3], v[1:2]
	flat_load_b64 v[13:14], v[4:5]
	s_waitcnt vmcnt(1) lgkmcnt(0)
	v_add_co_u32 v2, vcc_lo, v2, s6
	v_add_co_ci_u32_e32 v3, vcc_lo, s7, v3, vcc_lo
.LBB22_2:
	s_clause 0x1
	s_load_b32 s3, s[0:1], 0x5c
	s_load_b32 s16, s[0:1], 0x50
	s_waitcnt lgkmcnt(0)
	s_and_b32 s14, s3, 0xffff
	s_add_u32 s6, s4, -1
	s_mul_i32 s10, s16, s14
	s_addc_u32 s3, s5, -1
	s_lshl_b32 s11, s10, 2
	s_cmp_lg_u64 s[2:3], 0
	s_cbranch_scc0 .LBB22_35
; %bb.3:
	v_cvt_f32_ubyte0_e32 v1, 0
	v_cvt_f32_u32_e32 v4, s11
	s_sub_u32 s8, 0, s11
	s_subb_u32 s9, 0, 0
	s_delay_alu instid0(VALU_DEP_1) | instskip(NEXT) | instid1(VALU_DEP_1)
	v_fmamk_f32 v1, v1, 0x4f800000, v4
	v_rcp_f32_e32 v1, v1
	s_waitcnt_depctr 0xfff
	v_mul_f32_e32 v1, 0x5f7ffffc, v1
	s_delay_alu instid0(VALU_DEP_1) | instskip(NEXT) | instid1(VALU_DEP_1)
	v_mul_f32_e32 v4, 0x2f800000, v1
	v_trunc_f32_e32 v4, v4
	s_delay_alu instid0(VALU_DEP_1) | instskip(SKIP_1) | instid1(VALU_DEP_2)
	v_fmamk_f32 v1, v4, 0xcf800000, v1
	v_cvt_u32_f32_e32 v4, v4
	v_cvt_u32_f32_e32 v1, v1
	s_delay_alu instid0(VALU_DEP_2) | instskip(NEXT) | instid1(VALU_DEP_2)
	v_readfirstlane_b32 s2, v4
	v_readfirstlane_b32 s7, v1
	s_delay_alu instid0(VALU_DEP_2) | instskip(NEXT) | instid1(VALU_DEP_1)
	s_mul_i32 s12, s8, s2
	s_mul_hi_u32 s17, s8, s7
	s_mul_i32 s13, s9, s7
	s_add_i32 s12, s17, s12
	s_mul_i32 s18, s8, s7
	s_add_i32 s12, s12, s13
	s_mul_hi_u32 s17, s7, s18
	s_mul_hi_u32 s19, s2, s18
	s_mul_i32 s13, s2, s18
	s_mul_hi_u32 s18, s7, s12
	s_mul_i32 s7, s7, s12
	s_mul_hi_u32 s20, s2, s12
	s_add_u32 s7, s17, s7
	s_addc_u32 s17, 0, s18
	s_add_u32 s7, s7, s13
	s_mul_i32 s12, s2, s12
	s_addc_u32 s7, s17, s19
	s_addc_u32 s13, s20, 0
	s_add_u32 s7, s7, s12
	s_addc_u32 s12, 0, s13
	v_add_co_u32 v1, s7, v1, s7
	s_delay_alu instid0(VALU_DEP_1) | instskip(SKIP_1) | instid1(VALU_DEP_1)
	s_cmp_lg_u32 s7, 0
	s_addc_u32 s2, s2, s12
	v_readfirstlane_b32 s7, v1
	s_mul_i32 s12, s8, s2
	s_delay_alu instid0(VALU_DEP_1)
	s_mul_hi_u32 s13, s8, s7
	s_mul_i32 s9, s9, s7
	s_add_i32 s12, s13, s12
	s_mul_i32 s8, s8, s7
	s_add_i32 s12, s12, s9
	s_mul_hi_u32 s13, s2, s8
	s_mul_i32 s17, s2, s8
	s_mul_hi_u32 s8, s7, s8
	s_mul_hi_u32 s18, s7, s12
	s_mul_i32 s7, s7, s12
	s_mul_hi_u32 s9, s2, s12
	s_add_u32 s7, s8, s7
	s_addc_u32 s8, 0, s18
	s_add_u32 s7, s7, s17
	s_mul_i32 s12, s2, s12
	s_addc_u32 s7, s8, s13
	s_addc_u32 s8, s9, 0
	s_add_u32 s7, s7, s12
	s_addc_u32 s8, 0, s8
	v_add_co_u32 v1, s7, v1, s7
	s_delay_alu instid0(VALU_DEP_1) | instskip(SKIP_2) | instid1(VALU_DEP_1)
	s_cmp_lg_u32 s7, 0
	s_addc_u32 s7, s2, s8
	s_ashr_i32 s8, s3, 31
	v_readfirstlane_b32 s12, v1
	s_add_u32 s2, s6, s8
	s_mov_b32 s9, s8
	s_addc_u32 s3, s3, s8
	s_delay_alu instid0(SALU_CYCLE_1) | instskip(NEXT) | instid1(SALU_CYCLE_1)
	s_xor_b64 s[2:3], s[2:3], s[8:9]
	s_mul_i32 s17, s2, s7
	s_mul_hi_u32 s18, s2, s12
	s_mul_hi_u32 s13, s2, s7
	;; [unrolled: 1-line block ×3, first 2 shown]
	s_mul_i32 s12, s3, s12
	s_add_u32 s17, s18, s17
	s_addc_u32 s13, 0, s13
	s_mul_hi_u32 s19, s3, s7
	s_add_u32 s12, s17, s12
	s_mul_i32 s7, s3, s7
	s_addc_u32 s12, s13, s20
	s_addc_u32 s13, s19, 0
	s_add_u32 s7, s12, s7
	s_addc_u32 s12, 0, s13
	s_mul_i32 s17, s11, s7
	s_add_u32 s13, s7, 1
	v_sub_co_u32 v1, s2, s2, s17
	s_mul_hi_u32 s17, s11, s7
	s_addc_u32 s18, s12, 0
	s_mul_i32 s19, s11, s12
	s_delay_alu instid0(VALU_DEP_1)
	v_sub_co_u32 v4, s20, v1, s11
	s_add_u32 s21, s7, 2
	s_addc_u32 s22, s12, 0
	s_add_i32 s17, s17, s19
	s_cmp_lg_u32 s2, 0
	v_readfirstlane_b32 s2, v4
	s_subb_u32 s3, s3, s17
	s_cmp_lg_u32 s20, 0
	s_subb_u32 s17, s3, 0
	s_delay_alu instid0(VALU_DEP_1) | instskip(SKIP_4) | instid1(SALU_CYCLE_1)
	s_cmp_ge_u32 s2, s11
	s_cselect_b32 s2, -1, 0
	s_cmp_eq_u32 s17, 0
	v_readfirstlane_b32 s17, v1
	s_cselect_b32 s2, s2, -1
	s_cmp_lg_u32 s2, 0
	s_cselect_b32 s2, s21, s13
	s_cselect_b32 s13, s22, s18
	s_cmp_ge_u32 s17, s11
	s_cselect_b32 s17, -1, 0
	s_cmp_eq_u32 s3, 0
	s_cselect_b32 s3, s17, -1
	s_delay_alu instid0(SALU_CYCLE_1) | instskip(SKIP_2) | instid1(SALU_CYCLE_1)
	s_cmp_lg_u32 s3, 0
	s_cselect_b32 s3, s13, s12
	s_cselect_b32 s2, s2, s7
	s_xor_b64 s[2:3], s[2:3], s[8:9]
	s_delay_alu instid0(SALU_CYCLE_1)
	s_sub_u32 s2, s2, s8
	s_subb_u32 s3, s3, s8
	s_cbranch_execnz .LBB22_5
.LBB22_4:
	v_cvt_f32_u32_e32 v1, s11
	s_sub_i32 s3, 0, s11
	s_delay_alu instid0(VALU_DEP_1) | instskip(SKIP_2) | instid1(VALU_DEP_1)
	v_rcp_iflag_f32_e32 v1, v1
	s_waitcnt_depctr 0xfff
	v_mul_f32_e32 v1, 0x4f7ffffe, v1
	v_cvt_u32_f32_e32 v1, v1
	s_delay_alu instid0(VALU_DEP_1) | instskip(NEXT) | instid1(VALU_DEP_1)
	v_readfirstlane_b32 s2, v1
	s_mul_i32 s3, s3, s2
	s_delay_alu instid0(SALU_CYCLE_1) | instskip(NEXT) | instid1(SALU_CYCLE_1)
	s_mul_hi_u32 s3, s2, s3
	s_add_i32 s2, s2, s3
	s_delay_alu instid0(SALU_CYCLE_1) | instskip(NEXT) | instid1(SALU_CYCLE_1)
	s_mul_hi_u32 s2, s6, s2
	s_mul_i32 s3, s2, s11
	s_delay_alu instid0(SALU_CYCLE_1)
	s_sub_i32 s3, s6, s3
	s_add_i32 s6, s2, 1
	s_sub_i32 s7, s3, s11
	s_cmp_ge_u32 s3, s11
	s_cselect_b32 s2, s6, s2
	s_cselect_b32 s3, s7, s3
	s_add_i32 s6, s2, 1
	s_cmp_ge_u32 s3, s11
	s_mov_b32 s3, 0
	s_cselect_b32 s2, s6, s2
.LBB22_5:
	v_mov_b32_e32 v1, 0
	s_add_u32 s2, s2, 1
	s_addc_u32 s3, s3, 0
	s_mul_hi_u32 s6, s10, s2
	s_mul_i32 s3, s10, s3
	v_mad_u64_u32 v[15:16], null, s14, s15, v[0:1]
	s_mul_hi_u32 s7, s16, s14
	s_add_i32 s3, s6, s3
	s_mul_i32 s7, s7, s2
	s_mul_i32 s2, s10, s2
	s_add_i32 s3, s3, s7
	s_delay_alu instid0(SALU_CYCLE_1)
	s_lshl_b64 s[6:7], s[2:3], 2
	s_mov_b32 s2, exec_lo
	v_cmpx_gt_i64_e64 s[6:7], v[15:16]
	s_cbranch_execz .LBB22_34
; %bb.6:
	v_alignbit_b32 v19, v3, v2, 2
	v_mad_u64_u32 v[6:7], null, 0xcd9e8d57, v15, 0
	v_lshrrev_b32_e32 v20, 2, v3
	s_waitcnt vmcnt(0)
	v_dual_mov_b32 v11, v14 :: v_dual_add_nc_u32 v32, 0x8ff34781, v13
	v_mad_u64_u32 v[4:5], null, 0xd2511f53, v19, 0
	v_add_co_u32 v22, null, 0x9e3779b9, v13
	s_delay_alu instid0(VALU_DEP_3) | instskip(SKIP_1) | instid1(VALU_DEP_4)
	v_add_co_u32 v21, null, 0xbb67ae85, v11
	v_add_co_u32 v23, null, 0x3c6ef372, v13
	v_xor_b32_e32 v3, v5, v14
	v_xor3_b32 v5, v13, v7, v20
	v_add_co_u32 v24, null, 0x76cf5d0a, v11
	v_add_co_u32 v25, null, 0x32370b8f, v11
	s_delay_alu instid0(VALU_DEP_4) | instskip(NEXT) | instid1(VALU_DEP_4)
	v_xor_b32_e32 v3, v3, v16
	v_mad_u64_u32 v[7:8], null, 0xd2511f53, v5, 0
	v_add_co_u32 v26, null, 0xdaa66d2b, v13
	s_delay_alu instid0(VALU_DEP_3) | instskip(SKIP_1) | instid1(VALU_DEP_4)
	v_mad_u64_u32 v[9:10], null, 0xcd9e8d57, v3, 0
	v_add_co_u32 v27, null, 0x78dde6e4, v13
	v_xor3_b32 v5, v21, v8, v4
	v_add_co_u32 v28, null, 0xed9eba14, v11
	v_add_co_u32 v29, null, 0xa9066899, v11
	v_xor3_b32 v8, v22, v10, v6
	s_delay_alu instid0(VALU_DEP_4) | instskip(SKIP_1) | instid1(VALU_DEP_3)
	v_mad_u64_u32 v[3:4], null, 0xcd9e8d57, v5, 0
	v_add_co_u32 v30, null, 0x1715609d, v13
	v_mad_u64_u32 v[5:6], null, 0xd2511f53, v8, 0
	v_and_b32_e32 v31, 3, v2
	v_add_co_u32 v35, null, 0xb54cda56, v13
	v_xor3_b32 v4, v23, v4, v9
	v_add_co_u32 v36, null, 0x646e171e, v11
	v_xor3_b32 v10, v24, v6, v7
	v_add_co_u32 v34, null, 0x5384540f, v13
	s_delay_alu instid0(VALU_DEP_4) | instskip(NEXT) | instid1(VALU_DEP_3)
	v_mad_u64_u32 v[6:7], null, 0xd2511f53, v4, 0
	v_mad_u64_u32 v[8:9], null, 0xcd9e8d57, v10, 0
	v_add_co_u32 v38, null, 0x1fd5c5a3, v11
	s_clause 0x1
	s_load_b64 s[8:9], s[0:1], 0x30
	s_load_b32 s17, s[0:1], 0x38
	v_add_co_u32 v37, null, 0xf1bbcdc8, v13
	s_delay_alu instid0(VALU_DEP_4) | instskip(NEXT) | instid1(VALU_DEP_4)
	v_xor3_b32 v5, v25, v7, v5
	v_xor3_b32 v7, v26, v9, v3
	v_add_co_u32 v40, null, 0xdb3d7428, v11
	s_load_b128 s[0:3], s[0:1], 0x40
	s_delay_alu instid0(VALU_DEP_3) | instskip(NEXT) | instid1(VALU_DEP_3)
	v_mad_u64_u32 v[3:4], null, 0xcd9e8d57, v5, 0
	v_mad_u64_u32 v[9:10], null, 0xd2511f53, v7, 0
	s_mul_i32 s18, s16, 3
	s_lshl_b32 s19, s16, 1
	s_add_i32 s20, s15, s16
	s_add_i32 s18, s15, s18
	s_delay_alu instid0(VALU_DEP_2) | instskip(SKIP_1) | instid1(VALU_DEP_3)
	v_xor3_b32 v7, v27, v4, v8
	v_mad_u64_u32 v[11:12], null, s20, s14, v[0:1]
	v_xor3_b32 v8, v28, v10, v6
	v_mad_u64_u32 v[17:18], null, s18, s14, v[0:1]
	s_delay_alu instid0(VALU_DEP_4) | instskip(NEXT) | instid1(VALU_DEP_3)
	v_mad_u64_u32 v[4:5], null, 0xd2511f53, v7, 0
	v_mad_u64_u32 v[6:7], null, 0xcd9e8d57, v8, 0
	v_add_nc_u32_e32 v33, 0x96a522ad, v14
	s_waitcnt lgkmcnt(0)
	v_mul_lo_u32 v44, s17, v11
	v_mul_lo_u32 v42, s17, v17
	v_mov_b32_e32 v39, v15
	v_xor3_b32 v5, v29, v5, v9
	v_mov_b32_e32 v45, v16
	v_xor3_b32 v9, v30, v7, v3
	s_mov_b32 s12, 0
	s_lshl_b32 s13, s10, 1
	v_mad_u64_u32 v[2:3], null, 0xcd9e8d57, v5, 0
	s_delay_alu instid0(VALU_DEP_2) | instskip(NEXT) | instid1(VALU_DEP_2)
	v_mad_u64_u32 v[7:8], null, 0xd2511f53, v9, 0
	v_xor3_b32 v9, v35, v3, v6
	v_mad_u64_u32 v[5:6], null, s15, s14, v[0:1]
	s_delay_alu instid0(VALU_DEP_3) | instskip(SKIP_1) | instid1(VALU_DEP_3)
	v_xor3_b32 v10, v36, v8, v4
	s_add_i32 s15, s15, s19
	v_mad_u64_u32 v[3:4], null, 0xd2511f53, v9, 0
	s_delay_alu instid0(VALU_DEP_2) | instskip(NEXT) | instid1(VALU_DEP_4)
	v_mad_u64_u32 v[8:9], null, 0xcd9e8d57, v10, 0
	v_mul_lo_u32 v41, s17, v5
	s_delay_alu instid0(VALU_DEP_3) | instskip(NEXT) | instid1(VALU_DEP_3)
	v_xor3_b32 v4, v38, v4, v7
	v_xor3_b32 v2, v34, v9, v2
	s_delay_alu instid0(VALU_DEP_2) | instskip(NEXT) | instid1(VALU_DEP_2)
	v_mad_u64_u32 v[6:7], null, 0xcd9e8d57, v4, 0
	v_mad_u64_u32 v[9:10], null, 0xd2511f53, v2, 0
	s_delay_alu instid0(VALU_DEP_2) | instskip(NEXT) | instid1(VALU_DEP_2)
	v_xor3_b32 v4, v37, v7, v8
	v_xor3_b32 v10, v40, v10, v3
	v_mad_u64_u32 v[2:3], null, s15, s14, v[0:1]
	s_delay_alu instid0(VALU_DEP_3) | instskip(NEXT) | instid1(VALU_DEP_3)
	v_mad_u64_u32 v[7:8], null, 0xd2511f53, v4, 0
	v_mad_u64_u32 v[3:4], null, 0xcd9e8d57, v10, 0
	s_mul_i32 s15, s16, s17
	s_mov_b32 s16, 0
	s_delay_alu instid0(VALU_DEP_3) | instskip(SKIP_1) | instid1(VALU_DEP_3)
	v_mul_lo_u32 v43, s17, v2
	s_mul_i32 s15, s15, s14
	v_mov_b32_e32 v5, v7
	s_mul_i32 s14, s10, 3
	s_delay_alu instid0(VALU_DEP_3)
	v_xor3_b32 v2, v4, v6, v32
	v_xor3_b32 v4, v8, v9, v33
	s_lshl_b32 s15, s15, 2
	s_branch .LBB22_9
.LBB22_7:                               ;   in Loop: Header=BB22_9 Depth=1
	s_or_b32 exec_lo, exec_lo, s18
	s_delay_alu instid0(VALU_DEP_1) | instskip(SKIP_1) | instid1(VALU_DEP_2)
	v_add_co_u32 v0, vcc_lo, v0, s2
	v_add_co_ci_u32_e32 v2, vcc_lo, s3, v1, vcc_lo
	v_cvt_f64_u32_e32 v[4:5], v0
	v_add_nc_u32_e32 v0, s16, v42
	s_delay_alu instid0(VALU_DEP_3) | instskip(NEXT) | instid1(VALU_DEP_1)
	v_cvt_f64_i32_e32 v[2:3], v2
	v_ldexp_f64 v[2:3], v[2:3], 32
	s_delay_alu instid0(VALU_DEP_1) | instskip(NEXT) | instid1(VALU_DEP_4)
	v_add_f64 v[2:3], v[2:3], v[4:5]
	v_ashrrev_i32_e32 v5, 31, v0
	v_add_co_u32 v4, vcc_lo, s8, v0
	s_delay_alu instid0(VALU_DEP_2)
	v_add_co_ci_u32_e32 v5, vcc_lo, s9, v5, vcc_lo
	global_store_b64 v[4:5], v[2:3], off
.LBB22_8:                               ;   in Loop: Header=BB22_9 Depth=1
	s_or_b32 exec_lo, exec_lo, s17
	v_add_co_u32 v15, vcc_lo, v15, s11
	v_add_co_ci_u32_e32 v16, vcc_lo, 0, v16, vcc_lo
	v_mov_b32_e32 v9, v17
	v_dual_mov_b32 v2, v6 :: v_dual_mov_b32 v3, v7
	s_delay_alu instid0(VALU_DEP_3) | instskip(NEXT) | instid1(VALU_DEP_3)
	v_cmp_le_i64_e32 vcc_lo, s[6:7], v[15:16]
	v_dual_mov_b32 v4, v8 :: v_dual_mov_b32 v5, v9
	s_add_i32 s16, s16, s15
	s_waitcnt_vscnt null, 0x0
	s_barrier
	s_or_b32 s12, vcc_lo, s12
	buffer_gl0_inv
	s_and_not1_b32 exec_lo, exec_lo, s12
	s_cbranch_execz .LBB22_34
.LBB22_9:                               ; =>This Inner Loop Header: Depth=1
	v_add_co_u32 v19, vcc_lo, v19, 1
	s_delay_alu instid0(VALU_DEP_1) | instskip(SKIP_1) | instid1(VALU_DEP_3)
	v_cndmask_b32_e64 v0, 0, 1, vcc_lo
	v_add_co_ci_u32_e32 v20, vcc_lo, 0, v20, vcc_lo
	v_mad_u64_u32 v[6:7], null, 0xd2511f53, v19, 0
	s_mov_b32 s17, exec_lo
	s_delay_alu instid0(VALU_DEP_2) | instskip(SKIP_1) | instid1(VALU_DEP_1)
	v_cmp_eq_u32_e32 vcc_lo, 0, v20
	v_cndmask_b32_e32 v0, 0, v0, vcc_lo
	v_add_nc_u32_e32 v39, v0, v39
	s_delay_alu instid0(VALU_DEP_1) | instskip(SKIP_2) | instid1(VALU_DEP_2)
	v_cmp_eq_u32_e32 vcc_lo, 0, v39
	v_cndmask_b32_e32 v0, 0, v0, vcc_lo
	v_mad_u64_u32 v[8:9], null, 0xcd9e8d57, v39, 0
	v_add_nc_u32_e32 v45, v0, v45
	v_xor_b32_e32 v0, v7, v14
	s_delay_alu instid0(VALU_DEP_3) | instskip(NEXT) | instid1(VALU_DEP_2)
	v_xor3_b32 v7, v9, v13, v20
	v_xor_b32_e32 v0, v45, v0
	s_delay_alu instid0(VALU_DEP_2) | instskip(NEXT) | instid1(VALU_DEP_2)
	v_mad_u64_u32 v[9:10], null, 0xd2511f53, v7, 0
	v_mad_u64_u32 v[11:12], null, 0xcd9e8d57, v0, 0
	s_delay_alu instid0(VALU_DEP_2) | instskip(NEXT) | instid1(VALU_DEP_2)
	v_xor3_b32 v0, v21, v10, v6
	v_xor3_b32 v8, v22, v12, v8
	s_delay_alu instid0(VALU_DEP_2) | instskip(NEXT) | instid1(VALU_DEP_2)
	v_mad_u64_u32 v[6:7], null, 0xcd9e8d57, v0, 0
	v_mad_u64_u32 v[17:18], null, 0xd2511f53, v8, 0
	s_delay_alu instid0(VALU_DEP_2) | instskip(NEXT) | instid1(VALU_DEP_2)
	v_xor3_b32 v0, v23, v7, v11
	v_xor3_b32 v11, v24, v18, v9
	;; [unrolled: 6-line block ×9, first 2 shown]
	s_delay_alu instid0(VALU_DEP_2)
	v_mov_b32_e32 v8, v12
	v_cmpx_lt_i32_e32 1, v31
	s_xor_b32 s17, exec_lo, s17
	s_cbranch_execnz .LBB22_12
; %bb.10:                               ;   in Loop: Header=BB22_9 Depth=1
	s_and_not1_saveexec_b32 s17, s17
	s_cbranch_execnz .LBB22_17
.LBB22_11:                              ;   in Loop: Header=BB22_9 Depth=1
	s_or_b32 exec_lo, exec_lo, s17
	s_delay_alu instid0(SALU_CYCLE_1)
	s_mov_b32 s17, exec_lo
	v_cmpx_gt_i64_e64 s[4:5], v[15:16]
	s_cbranch_execnz .LBB22_20
	s_branch .LBB22_23
.LBB22_12:                              ;   in Loop: Header=BB22_9 Depth=1
	s_mov_b32 s18, exec_lo
	v_cmpx_lt_i32_e32 2, v31
	s_xor_b32 s18, exec_lo, s18
; %bb.13:                               ;   in Loop: Header=BB22_9 Depth=1
	v_dual_mov_b32 v9, v5 :: v_dual_mov_b32 v10, v6
	v_mov_b32_e32 v11, v7
	s_delay_alu instid0(VALU_DEP_2) | instskip(NEXT) | instid1(VALU_DEP_2)
	v_dual_mov_b32 v2, v9 :: v_dual_mov_b32 v3, v10
	v_dual_mov_b32 v4, v11 :: v_dual_mov_b32 v5, v12
; %bb.14:                               ;   in Loop: Header=BB22_9 Depth=1
	s_and_not1_saveexec_b32 s18, s18
; %bb.15:                               ;   in Loop: Header=BB22_9 Depth=1
	s_delay_alu instid0(VALU_DEP_1)
	v_dual_mov_b32 v2, v4 :: v_dual_mov_b32 v3, v5
	v_dual_mov_b32 v4, v6 :: v_dual_mov_b32 v5, v7
; %bb.16:                               ;   in Loop: Header=BB22_9 Depth=1
	s_or_b32 exec_lo, exec_lo, s18
	s_and_not1_saveexec_b32 s17, s17
	s_cbranch_execz .LBB22_11
.LBB22_17:                              ;   in Loop: Header=BB22_9 Depth=1
	s_mov_b32 s18, exec_lo
	v_cmpx_eq_u32_e32 1, v31
; %bb.18:                               ;   in Loop: Header=BB22_9 Depth=1
	v_dual_mov_b32 v2, v3 :: v_dual_mov_b32 v3, v4
	v_dual_mov_b32 v4, v5 :: v_dual_mov_b32 v5, v6
; %bb.19:                               ;   in Loop: Header=BB22_9 Depth=1
	s_or_b32 exec_lo, exec_lo, s18
	s_delay_alu instid0(SALU_CYCLE_1) | instskip(NEXT) | instid1(SALU_CYCLE_1)
	s_or_b32 exec_lo, exec_lo, s17
	s_mov_b32 s17, exec_lo
	v_cmpx_gt_i64_e64 s[4:5], v[15:16]
	s_cbranch_execz .LBB22_23
.LBB22_20:                              ;   in Loop: Header=BB22_9 Depth=1
	v_mov_b32_e32 v0, v2
	s_mov_b32 s18, exec_lo
	s_delay_alu instid0(VALU_DEP_1)
	v_cmpx_le_u64_e64 s[0:1], v[0:1]
	s_cbranch_execz .LBB22_22
; %bb.21:                               ;   in Loop: Header=BB22_9 Depth=1
	v_cvt_f32_u32_e32 v2, s0
	s_sub_i32 s19, 0, s0
	s_delay_alu instid0(VALU_DEP_1) | instskip(SKIP_2) | instid1(VALU_DEP_1)
	v_rcp_iflag_f32_e32 v2, v2
	s_waitcnt_depctr 0xfff
	v_mul_f32_e32 v2, 0x4f7ffffe, v2
	v_cvt_u32_f32_e32 v2, v2
	s_delay_alu instid0(VALU_DEP_1) | instskip(NEXT) | instid1(VALU_DEP_1)
	v_mul_lo_u32 v9, s19, v2
	v_mul_hi_u32 v9, v2, v9
	s_delay_alu instid0(VALU_DEP_1) | instskip(NEXT) | instid1(VALU_DEP_1)
	v_add_nc_u32_e32 v2, v2, v9
	v_mul_hi_u32 v2, v0, v2
	s_delay_alu instid0(VALU_DEP_1) | instskip(NEXT) | instid1(VALU_DEP_1)
	v_mul_lo_u32 v2, v2, s0
	v_sub_nc_u32_e32 v0, v0, v2
	s_delay_alu instid0(VALU_DEP_1) | instskip(SKIP_1) | instid1(VALU_DEP_2)
	v_subrev_nc_u32_e32 v2, s0, v0
	v_cmp_le_u32_e32 vcc_lo, s0, v0
	v_cndmask_b32_e32 v0, v0, v2, vcc_lo
	s_delay_alu instid0(VALU_DEP_1) | instskip(SKIP_1) | instid1(VALU_DEP_2)
	v_subrev_nc_u32_e32 v2, s0, v0
	v_cmp_le_u32_e32 vcc_lo, s0, v0
	v_cndmask_b32_e32 v0, v0, v2, vcc_lo
.LBB22_22:                              ;   in Loop: Header=BB22_9 Depth=1
	s_or_b32 exec_lo, exec_lo, s18
	s_delay_alu instid0(VALU_DEP_1) | instskip(SKIP_1) | instid1(VALU_DEP_2)
	v_add_co_u32 v0, vcc_lo, v0, s2
	v_add_co_ci_u32_e32 v2, vcc_lo, s3, v1, vcc_lo
	v_cvt_f64_u32_e32 v[11:12], v0
	v_add_nc_u32_e32 v0, s16, v41
	s_delay_alu instid0(VALU_DEP_3) | instskip(NEXT) | instid1(VALU_DEP_2)
	v_cvt_f64_i32_e32 v[9:10], v2
	v_ashrrev_i32_e32 v2, 31, v0
	s_delay_alu instid0(VALU_DEP_2) | instskip(NEXT) | instid1(VALU_DEP_1)
	v_ldexp_f64 v[9:10], v[9:10], 32
	v_add_f64 v[9:10], v[9:10], v[11:12]
	v_add_co_u32 v11, vcc_lo, s8, v0
	s_delay_alu instid0(VALU_DEP_4)
	v_add_co_ci_u32_e32 v12, vcc_lo, s9, v2, vcc_lo
	global_store_b64 v[11:12], v[9:10], off
.LBB22_23:                              ;   in Loop: Header=BB22_9 Depth=1
	s_or_b32 exec_lo, exec_lo, s17
	v_add_co_u32 v9, vcc_lo, s10, v15
	v_add_co_ci_u32_e32 v10, vcc_lo, 0, v16, vcc_lo
	s_mov_b32 s17, exec_lo
	s_delay_alu instid0(VALU_DEP_1)
	v_cmpx_gt_i64_e64 s[4:5], v[9:10]
	s_cbranch_execz .LBB22_27
; %bb.24:                               ;   in Loop: Header=BB22_9 Depth=1
	v_mov_b32_e32 v0, v3
	s_mov_b32 s18, exec_lo
	s_delay_alu instid0(VALU_DEP_1)
	v_cmpx_le_u64_e64 s[0:1], v[0:1]
	s_cbranch_execz .LBB22_26
; %bb.25:                               ;   in Loop: Header=BB22_9 Depth=1
	v_cvt_f32_u32_e32 v2, s0
	s_sub_i32 s19, 0, s0
	s_delay_alu instid0(VALU_DEP_1) | instskip(SKIP_2) | instid1(VALU_DEP_1)
	v_rcp_iflag_f32_e32 v2, v2
	s_waitcnt_depctr 0xfff
	v_mul_f32_e32 v2, 0x4f7ffffe, v2
	v_cvt_u32_f32_e32 v2, v2
	s_delay_alu instid0(VALU_DEP_1) | instskip(NEXT) | instid1(VALU_DEP_1)
	v_mul_lo_u32 v3, s19, v2
	v_mul_hi_u32 v3, v2, v3
	s_delay_alu instid0(VALU_DEP_1) | instskip(NEXT) | instid1(VALU_DEP_1)
	v_add_nc_u32_e32 v2, v2, v3
	v_mul_hi_u32 v2, v0, v2
	s_delay_alu instid0(VALU_DEP_1) | instskip(NEXT) | instid1(VALU_DEP_1)
	v_mul_lo_u32 v2, v2, s0
	v_sub_nc_u32_e32 v0, v0, v2
	s_delay_alu instid0(VALU_DEP_1) | instskip(SKIP_1) | instid1(VALU_DEP_2)
	v_subrev_nc_u32_e32 v2, s0, v0
	v_cmp_le_u32_e32 vcc_lo, s0, v0
	v_cndmask_b32_e32 v0, v0, v2, vcc_lo
	s_delay_alu instid0(VALU_DEP_1) | instskip(SKIP_1) | instid1(VALU_DEP_2)
	v_subrev_nc_u32_e32 v2, s0, v0
	v_cmp_le_u32_e32 vcc_lo, s0, v0
	v_cndmask_b32_e32 v0, v0, v2, vcc_lo
.LBB22_26:                              ;   in Loop: Header=BB22_9 Depth=1
	s_or_b32 exec_lo, exec_lo, s18
	s_delay_alu instid0(VALU_DEP_1) | instskip(SKIP_1) | instid1(VALU_DEP_2)
	v_add_co_u32 v0, vcc_lo, v0, s2
	v_add_co_ci_u32_e32 v2, vcc_lo, s3, v1, vcc_lo
	v_cvt_f64_u32_e32 v[9:10], v0
	v_add_nc_u32_e32 v0, s16, v44
	s_delay_alu instid0(VALU_DEP_3) | instskip(NEXT) | instid1(VALU_DEP_1)
	v_cvt_f64_i32_e32 v[2:3], v2
	v_ldexp_f64 v[2:3], v[2:3], 32
	s_delay_alu instid0(VALU_DEP_1) | instskip(NEXT) | instid1(VALU_DEP_4)
	v_add_f64 v[2:3], v[2:3], v[9:10]
	v_ashrrev_i32_e32 v10, 31, v0
	v_add_co_u32 v9, vcc_lo, s8, v0
	s_delay_alu instid0(VALU_DEP_2)
	v_add_co_ci_u32_e32 v10, vcc_lo, s9, v10, vcc_lo
	global_store_b64 v[9:10], v[2:3], off
.LBB22_27:                              ;   in Loop: Header=BB22_9 Depth=1
	s_or_b32 exec_lo, exec_lo, s17
	v_add_co_u32 v2, vcc_lo, s13, v15
	v_add_co_ci_u32_e32 v3, vcc_lo, 0, v16, vcc_lo
	s_mov_b32 s17, exec_lo
	s_delay_alu instid0(VALU_DEP_1)
	v_cmpx_gt_i64_e64 s[4:5], v[2:3]
	s_cbranch_execz .LBB22_31
; %bb.28:                               ;   in Loop: Header=BB22_9 Depth=1
	v_mov_b32_e32 v0, v4
	s_mov_b32 s18, exec_lo
	s_delay_alu instid0(VALU_DEP_1)
	v_cmpx_le_u64_e64 s[0:1], v[0:1]
	s_cbranch_execz .LBB22_30
; %bb.29:                               ;   in Loop: Header=BB22_9 Depth=1
	v_cvt_f32_u32_e32 v2, s0
	s_sub_i32 s19, 0, s0
	s_delay_alu instid0(VALU_DEP_1) | instskip(SKIP_2) | instid1(VALU_DEP_1)
	v_rcp_iflag_f32_e32 v2, v2
	s_waitcnt_depctr 0xfff
	v_mul_f32_e32 v2, 0x4f7ffffe, v2
	v_cvt_u32_f32_e32 v2, v2
	s_delay_alu instid0(VALU_DEP_1) | instskip(NEXT) | instid1(VALU_DEP_1)
	v_mul_lo_u32 v3, s19, v2
	v_mul_hi_u32 v3, v2, v3
	s_delay_alu instid0(VALU_DEP_1) | instskip(NEXT) | instid1(VALU_DEP_1)
	v_add_nc_u32_e32 v2, v2, v3
	v_mul_hi_u32 v2, v0, v2
	s_delay_alu instid0(VALU_DEP_1) | instskip(NEXT) | instid1(VALU_DEP_1)
	v_mul_lo_u32 v2, v2, s0
	v_sub_nc_u32_e32 v0, v0, v2
	s_delay_alu instid0(VALU_DEP_1) | instskip(SKIP_1) | instid1(VALU_DEP_2)
	v_subrev_nc_u32_e32 v2, s0, v0
	v_cmp_le_u32_e32 vcc_lo, s0, v0
	v_cndmask_b32_e32 v0, v0, v2, vcc_lo
	s_delay_alu instid0(VALU_DEP_1) | instskip(SKIP_1) | instid1(VALU_DEP_2)
	v_subrev_nc_u32_e32 v2, s0, v0
	v_cmp_le_u32_e32 vcc_lo, s0, v0
	v_cndmask_b32_e32 v0, v0, v2, vcc_lo
.LBB22_30:                              ;   in Loop: Header=BB22_9 Depth=1
	s_or_b32 exec_lo, exec_lo, s18
	s_delay_alu instid0(VALU_DEP_1) | instskip(SKIP_1) | instid1(VALU_DEP_2)
	v_add_co_u32 v0, vcc_lo, v0, s2
	v_add_co_ci_u32_e32 v2, vcc_lo, s3, v1, vcc_lo
	v_cvt_f64_u32_e32 v[9:10], v0
	v_add_nc_u32_e32 v0, s16, v43
	s_delay_alu instid0(VALU_DEP_3) | instskip(NEXT) | instid1(VALU_DEP_2)
	v_cvt_f64_i32_e32 v[2:3], v2
	v_ashrrev_i32_e32 v4, 31, v0
	s_delay_alu instid0(VALU_DEP_2) | instskip(NEXT) | instid1(VALU_DEP_1)
	v_ldexp_f64 v[2:3], v[2:3], 32
	v_add_f64 v[2:3], v[2:3], v[9:10]
	v_add_co_u32 v9, vcc_lo, s8, v0
	s_delay_alu instid0(VALU_DEP_4)
	v_add_co_ci_u32_e32 v10, vcc_lo, s9, v4, vcc_lo
	global_store_b64 v[9:10], v[2:3], off
.LBB22_31:                              ;   in Loop: Header=BB22_9 Depth=1
	s_or_b32 exec_lo, exec_lo, s17
	v_add_co_u32 v2, vcc_lo, s14, v15
	v_add_co_ci_u32_e32 v3, vcc_lo, 0, v16, vcc_lo
	s_mov_b32 s17, exec_lo
	s_delay_alu instid0(VALU_DEP_1)
	v_cmpx_gt_i64_e64 s[4:5], v[2:3]
	s_cbranch_execz .LBB22_8
; %bb.32:                               ;   in Loop: Header=BB22_9 Depth=1
	v_mov_b32_e32 v0, v5
	s_mov_b32 s18, exec_lo
	s_delay_alu instid0(VALU_DEP_1)
	v_cmpx_le_u64_e64 s[0:1], v[0:1]
	s_cbranch_execz .LBB22_7
; %bb.33:                               ;   in Loop: Header=BB22_9 Depth=1
	v_cvt_f32_u32_e32 v2, s0
	s_sub_i32 s19, 0, s0
	s_delay_alu instid0(VALU_DEP_1) | instskip(SKIP_2) | instid1(VALU_DEP_1)
	v_rcp_iflag_f32_e32 v2, v2
	s_waitcnt_depctr 0xfff
	v_mul_f32_e32 v2, 0x4f7ffffe, v2
	v_cvt_u32_f32_e32 v2, v2
	s_delay_alu instid0(VALU_DEP_1) | instskip(NEXT) | instid1(VALU_DEP_1)
	v_mul_lo_u32 v3, s19, v2
	v_mul_hi_u32 v3, v2, v3
	s_delay_alu instid0(VALU_DEP_1) | instskip(NEXT) | instid1(VALU_DEP_1)
	v_add_nc_u32_e32 v2, v2, v3
	v_mul_hi_u32 v2, v0, v2
	s_delay_alu instid0(VALU_DEP_1) | instskip(NEXT) | instid1(VALU_DEP_1)
	v_mul_lo_u32 v2, v2, s0
	v_sub_nc_u32_e32 v0, v0, v2
	s_delay_alu instid0(VALU_DEP_1) | instskip(SKIP_1) | instid1(VALU_DEP_2)
	v_subrev_nc_u32_e32 v2, s0, v0
	v_cmp_le_u32_e32 vcc_lo, s0, v0
	v_cndmask_b32_e32 v0, v0, v2, vcc_lo
	s_delay_alu instid0(VALU_DEP_1) | instskip(SKIP_1) | instid1(VALU_DEP_2)
	v_subrev_nc_u32_e32 v2, s0, v0
	v_cmp_le_u32_e32 vcc_lo, s0, v0
	v_cndmask_b32_e32 v0, v0, v2, vcc_lo
	s_branch .LBB22_7
.LBB22_34:
	s_endpgm
.LBB22_35:
                                        ; implicit-def: $sgpr2_sgpr3
	s_branch .LBB22_4
	.section	.rodata,"a",@progbits
	.p2align	6, 0x0
	.amdhsa_kernel _ZN2at6native12_GLOBAL__N_143distribution_elementwise_grid_stride_kernelIjLi4EZZZNS0_9templates4cuda21random_from_to_kernelIPNS_17CUDAGeneratorImplEEEvRNS_18TensorIteratorBaseEmlT_ENKUlvE_clEvENKUlvE4_clEvEUlP25hiprandStatePhilox4_32_10E0_ZNS1_27distribution_nullary_kernelIdj15HIP_vector_typeIjLj4EES7_SF_ZZZNS5_IS7_EEvS9_mlSA_ENKSB_clEvENKSC_clEvEUljE_EEvS9_T2_RKT3_T4_EUlijE_EEvlNS_15PhiloxCudaStateET1_SK_
		.amdhsa_group_segment_fixed_size 0
		.amdhsa_private_segment_fixed_size 0
		.amdhsa_kernarg_size 336
		.amdhsa_user_sgpr_count 15
		.amdhsa_user_sgpr_dispatch_ptr 0
		.amdhsa_user_sgpr_queue_ptr 0
		.amdhsa_user_sgpr_kernarg_segment_ptr 1
		.amdhsa_user_sgpr_dispatch_id 0
		.amdhsa_user_sgpr_private_segment_size 0
		.amdhsa_wavefront_size32 1
		.amdhsa_uses_dynamic_stack 0
		.amdhsa_enable_private_segment 0
		.amdhsa_system_sgpr_workgroup_id_x 1
		.amdhsa_system_sgpr_workgroup_id_y 0
		.amdhsa_system_sgpr_workgroup_id_z 0
		.amdhsa_system_sgpr_workgroup_info 0
		.amdhsa_system_vgpr_workitem_id 0
		.amdhsa_next_free_vgpr 46
		.amdhsa_next_free_sgpr 23
		.amdhsa_reserve_vcc 1
		.amdhsa_float_round_mode_32 0
		.amdhsa_float_round_mode_16_64 0
		.amdhsa_float_denorm_mode_32 3
		.amdhsa_float_denorm_mode_16_64 3
		.amdhsa_dx10_clamp 1
		.amdhsa_ieee_mode 1
		.amdhsa_fp16_overflow 0
		.amdhsa_workgroup_processor_mode 1
		.amdhsa_memory_ordered 1
		.amdhsa_forward_progress 0
		.amdhsa_shared_vgpr_count 0
		.amdhsa_exception_fp_ieee_invalid_op 0
		.amdhsa_exception_fp_denorm_src 0
		.amdhsa_exception_fp_ieee_div_zero 0
		.amdhsa_exception_fp_ieee_overflow 0
		.amdhsa_exception_fp_ieee_underflow 0
		.amdhsa_exception_fp_ieee_inexact 0
		.amdhsa_exception_int_div_zero 0
	.end_amdhsa_kernel
	.section	.text._ZN2at6native12_GLOBAL__N_143distribution_elementwise_grid_stride_kernelIjLi4EZZZNS0_9templates4cuda21random_from_to_kernelIPNS_17CUDAGeneratorImplEEEvRNS_18TensorIteratorBaseEmlT_ENKUlvE_clEvENKUlvE4_clEvEUlP25hiprandStatePhilox4_32_10E0_ZNS1_27distribution_nullary_kernelIdj15HIP_vector_typeIjLj4EES7_SF_ZZZNS5_IS7_EEvS9_mlSA_ENKSB_clEvENKSC_clEvEUljE_EEvS9_T2_RKT3_T4_EUlijE_EEvlNS_15PhiloxCudaStateET1_SK_,"axG",@progbits,_ZN2at6native12_GLOBAL__N_143distribution_elementwise_grid_stride_kernelIjLi4EZZZNS0_9templates4cuda21random_from_to_kernelIPNS_17CUDAGeneratorImplEEEvRNS_18TensorIteratorBaseEmlT_ENKUlvE_clEvENKUlvE4_clEvEUlP25hiprandStatePhilox4_32_10E0_ZNS1_27distribution_nullary_kernelIdj15HIP_vector_typeIjLj4EES7_SF_ZZZNS5_IS7_EEvS9_mlSA_ENKSB_clEvENKSC_clEvEUljE_EEvS9_T2_RKT3_T4_EUlijE_EEvlNS_15PhiloxCudaStateET1_SK_,comdat
.Lfunc_end22:
	.size	_ZN2at6native12_GLOBAL__N_143distribution_elementwise_grid_stride_kernelIjLi4EZZZNS0_9templates4cuda21random_from_to_kernelIPNS_17CUDAGeneratorImplEEEvRNS_18TensorIteratorBaseEmlT_ENKUlvE_clEvENKUlvE4_clEvEUlP25hiprandStatePhilox4_32_10E0_ZNS1_27distribution_nullary_kernelIdj15HIP_vector_typeIjLj4EES7_SF_ZZZNS5_IS7_EEvS9_mlSA_ENKSB_clEvENKSC_clEvEUljE_EEvS9_T2_RKT3_T4_EUlijE_EEvlNS_15PhiloxCudaStateET1_SK_, .Lfunc_end22-_ZN2at6native12_GLOBAL__N_143distribution_elementwise_grid_stride_kernelIjLi4EZZZNS0_9templates4cuda21random_from_to_kernelIPNS_17CUDAGeneratorImplEEEvRNS_18TensorIteratorBaseEmlT_ENKUlvE_clEvENKUlvE4_clEvEUlP25hiprandStatePhilox4_32_10E0_ZNS1_27distribution_nullary_kernelIdj15HIP_vector_typeIjLj4EES7_SF_ZZZNS5_IS7_EEvS9_mlSA_ENKSB_clEvENKSC_clEvEUljE_EEvS9_T2_RKT3_T4_EUlijE_EEvlNS_15PhiloxCudaStateET1_SK_
                                        ; -- End function
	.section	.AMDGPU.csdata,"",@progbits
; Kernel info:
; codeLenInByte = 3584
; NumSgprs: 25
; NumVgprs: 46
; ScratchSize: 0
; MemoryBound: 0
; FloatMode: 240
; IeeeMode: 1
; LDSByteSize: 0 bytes/workgroup (compile time only)
; SGPRBlocks: 3
; VGPRBlocks: 5
; NumSGPRsForWavesPerEU: 25
; NumVGPRsForWavesPerEU: 46
; Occupancy: 16
; WaveLimiterHint : 0
; COMPUTE_PGM_RSRC2:SCRATCH_EN: 0
; COMPUTE_PGM_RSRC2:USER_SGPR: 15
; COMPUTE_PGM_RSRC2:TRAP_HANDLER: 0
; COMPUTE_PGM_RSRC2:TGID_X_EN: 1
; COMPUTE_PGM_RSRC2:TGID_Y_EN: 0
; COMPUTE_PGM_RSRC2:TGID_Z_EN: 0
; COMPUTE_PGM_RSRC2:TIDIG_COMP_CNT: 0
	.section	.text._ZN2at6native12_GLOBAL__N_143distribution_elementwise_grid_stride_kernelIjLi4EZZZNS0_9templates4cuda21random_from_to_kernelIPNS_17CUDAGeneratorImplEEEvRNS_18TensorIteratorBaseEmlT_ENKUlvE_clEvENKUlvE4_clEvEUlP25hiprandStatePhilox4_32_10E0_ZNS1_27distribution_nullary_kernelIdj15HIP_vector_typeIjLj4EES7_SF_ZZZNS5_IS7_EEvS9_mlSA_ENKSB_clEvENKSC_clEvEUljE_EEvS9_T2_RKT3_T4_EUlijE0_EEvlNS_15PhiloxCudaStateET1_SK_,"axG",@progbits,_ZN2at6native12_GLOBAL__N_143distribution_elementwise_grid_stride_kernelIjLi4EZZZNS0_9templates4cuda21random_from_to_kernelIPNS_17CUDAGeneratorImplEEEvRNS_18TensorIteratorBaseEmlT_ENKUlvE_clEvENKUlvE4_clEvEUlP25hiprandStatePhilox4_32_10E0_ZNS1_27distribution_nullary_kernelIdj15HIP_vector_typeIjLj4EES7_SF_ZZZNS5_IS7_EEvS9_mlSA_ENKSB_clEvENKSC_clEvEUljE_EEvS9_T2_RKT3_T4_EUlijE0_EEvlNS_15PhiloxCudaStateET1_SK_,comdat
	.globl	_ZN2at6native12_GLOBAL__N_143distribution_elementwise_grid_stride_kernelIjLi4EZZZNS0_9templates4cuda21random_from_to_kernelIPNS_17CUDAGeneratorImplEEEvRNS_18TensorIteratorBaseEmlT_ENKUlvE_clEvENKUlvE4_clEvEUlP25hiprandStatePhilox4_32_10E0_ZNS1_27distribution_nullary_kernelIdj15HIP_vector_typeIjLj4EES7_SF_ZZZNS5_IS7_EEvS9_mlSA_ENKSB_clEvENKSC_clEvEUljE_EEvS9_T2_RKT3_T4_EUlijE0_EEvlNS_15PhiloxCudaStateET1_SK_ ; -- Begin function _ZN2at6native12_GLOBAL__N_143distribution_elementwise_grid_stride_kernelIjLi4EZZZNS0_9templates4cuda21random_from_to_kernelIPNS_17CUDAGeneratorImplEEEvRNS_18TensorIteratorBaseEmlT_ENKUlvE_clEvENKUlvE4_clEvEUlP25hiprandStatePhilox4_32_10E0_ZNS1_27distribution_nullary_kernelIdj15HIP_vector_typeIjLj4EES7_SF_ZZZNS5_IS7_EEvS9_mlSA_ENKSB_clEvENKSC_clEvEUljE_EEvS9_T2_RKT3_T4_EUlijE0_EEvlNS_15PhiloxCudaStateET1_SK_
	.p2align	8
	.type	_ZN2at6native12_GLOBAL__N_143distribution_elementwise_grid_stride_kernelIjLi4EZZZNS0_9templates4cuda21random_from_to_kernelIPNS_17CUDAGeneratorImplEEEvRNS_18TensorIteratorBaseEmlT_ENKUlvE_clEvENKUlvE4_clEvEUlP25hiprandStatePhilox4_32_10E0_ZNS1_27distribution_nullary_kernelIdj15HIP_vector_typeIjLj4EES7_SF_ZZZNS5_IS7_EEvS9_mlSA_ENKSB_clEvENKSC_clEvEUljE_EEvS9_T2_RKT3_T4_EUlijE0_EEvlNS_15PhiloxCudaStateET1_SK_,@function
_ZN2at6native12_GLOBAL__N_143distribution_elementwise_grid_stride_kernelIjLi4EZZZNS0_9templates4cuda21random_from_to_kernelIPNS_17CUDAGeneratorImplEEEvRNS_18TensorIteratorBaseEmlT_ENKUlvE_clEvENKUlvE4_clEvEUlP25hiprandStatePhilox4_32_10E0_ZNS1_27distribution_nullary_kernelIdj15HIP_vector_typeIjLj4EES7_SF_ZZZNS5_IS7_EEvS9_mlSA_ENKSB_clEvENKSC_clEvEUljE_EEvS9_T2_RKT3_T4_EUlijE0_EEvlNS_15PhiloxCudaStateET1_SK_: ; @_ZN2at6native12_GLOBAL__N_143distribution_elementwise_grid_stride_kernelIjLi4EZZZNS0_9templates4cuda21random_from_to_kernelIPNS_17CUDAGeneratorImplEEEvRNS_18TensorIteratorBaseEmlT_ENKUlvE_clEvENKUlvE4_clEvEUlP25hiprandStatePhilox4_32_10E0_ZNS1_27distribution_nullary_kernelIdj15HIP_vector_typeIjLj4EES7_SF_ZZZNS5_IS7_EEvS9_mlSA_ENKSB_clEvENKSC_clEvEUljE_EEvS9_T2_RKT3_T4_EUlijE0_EEvlNS_15PhiloxCudaStateET1_SK_
; %bb.0:
	s_clause 0x2
	s_load_b64 s[4:5], s[0:1], 0x10
	s_load_b128 s[16:19], s[0:1], 0x0
	s_load_b32 s2, s[0:1], 0x20
	s_waitcnt lgkmcnt(0)
	v_dual_mov_b32 v2, s4 :: v_dual_mov_b32 v3, s5
	v_dual_mov_b32 v13, s18 :: v_dual_mov_b32 v14, s19
	s_bitcmp0_b32 s2, 0
	s_mov_b32 s2, 0
	s_cbranch_scc1 .LBB23_2
; %bb.1:
	v_dual_mov_b32 v1, s4 :: v_dual_mov_b32 v2, s5
	v_dual_mov_b32 v4, s18 :: v_dual_mov_b32 v5, s19
	s_load_b64 s[4:5], s[0:1], 0x18
	flat_load_b64 v[2:3], v[1:2]
	flat_load_b64 v[13:14], v[4:5]
	s_waitcnt vmcnt(1) lgkmcnt(0)
	v_add_co_u32 v2, vcc_lo, v2, s4
	v_add_co_ci_u32_e32 v3, vcc_lo, s5, v3, vcc_lo
.LBB23_2:
	s_clause 0x1
	s_load_b32 s3, s[0:1], 0x15c
	s_load_b32 s4, s[0:1], 0x150
	s_waitcnt lgkmcnt(0)
	s_and_b32 s5, s3, 0xffff
	s_add_u32 s6, s16, -1
	s_mul_i32 s28, s4, s5
	s_addc_u32 s3, s17, -1
	s_lshl_b32 s29, s28, 2
	s_cmp_lg_u64 s[2:3], 0
	s_cbranch_scc0 .LBB23_87
; %bb.3:
	v_cvt_f32_ubyte0_e32 v1, 0
	v_cvt_f32_u32_e32 v4, s29
	s_sub_u32 s8, 0, s29
	s_subb_u32 s9, 0, 0
	s_delay_alu instid0(VALU_DEP_1) | instskip(NEXT) | instid1(VALU_DEP_1)
	v_fmamk_f32 v1, v1, 0x4f800000, v4
	v_rcp_f32_e32 v1, v1
	s_waitcnt_depctr 0xfff
	v_mul_f32_e32 v1, 0x5f7ffffc, v1
	s_delay_alu instid0(VALU_DEP_1) | instskip(NEXT) | instid1(VALU_DEP_1)
	v_mul_f32_e32 v4, 0x2f800000, v1
	v_trunc_f32_e32 v4, v4
	s_delay_alu instid0(VALU_DEP_1) | instskip(SKIP_1) | instid1(VALU_DEP_2)
	v_fmamk_f32 v1, v4, 0xcf800000, v1
	v_cvt_u32_f32_e32 v4, v4
	v_cvt_u32_f32_e32 v1, v1
	s_delay_alu instid0(VALU_DEP_2) | instskip(NEXT) | instid1(VALU_DEP_2)
	v_readfirstlane_b32 s2, v4
	v_readfirstlane_b32 s7, v1
	s_delay_alu instid0(VALU_DEP_2) | instskip(NEXT) | instid1(VALU_DEP_1)
	s_mul_i32 s10, s8, s2
	s_mul_hi_u32 s12, s8, s7
	s_mul_i32 s11, s9, s7
	s_add_i32 s10, s12, s10
	s_mul_i32 s13, s8, s7
	s_add_i32 s10, s10, s11
	s_mul_hi_u32 s12, s7, s13
	s_mul_hi_u32 s14, s2, s13
	s_mul_i32 s11, s2, s13
	s_mul_hi_u32 s13, s7, s10
	s_mul_i32 s7, s7, s10
	s_mul_hi_u32 s18, s2, s10
	s_add_u32 s7, s12, s7
	s_addc_u32 s12, 0, s13
	s_add_u32 s7, s7, s11
	s_mul_i32 s10, s2, s10
	s_addc_u32 s7, s12, s14
	s_addc_u32 s11, s18, 0
	s_add_u32 s7, s7, s10
	s_addc_u32 s10, 0, s11
	v_add_co_u32 v1, s7, v1, s7
	s_delay_alu instid0(VALU_DEP_1) | instskip(SKIP_1) | instid1(VALU_DEP_1)
	s_cmp_lg_u32 s7, 0
	s_addc_u32 s2, s2, s10
	v_readfirstlane_b32 s7, v1
	s_mul_i32 s10, s8, s2
	s_delay_alu instid0(VALU_DEP_1)
	s_mul_hi_u32 s11, s8, s7
	s_mul_i32 s9, s9, s7
	s_add_i32 s10, s11, s10
	s_mul_i32 s8, s8, s7
	s_add_i32 s10, s10, s9
	s_mul_hi_u32 s11, s2, s8
	s_mul_i32 s12, s2, s8
	s_mul_hi_u32 s8, s7, s8
	s_mul_hi_u32 s13, s7, s10
	s_mul_i32 s7, s7, s10
	s_mul_hi_u32 s9, s2, s10
	s_add_u32 s7, s8, s7
	s_addc_u32 s8, 0, s13
	s_add_u32 s7, s7, s12
	s_mul_i32 s10, s2, s10
	s_addc_u32 s7, s8, s11
	s_addc_u32 s8, s9, 0
	s_add_u32 s7, s7, s10
	s_addc_u32 s8, 0, s8
	v_add_co_u32 v1, s7, v1, s7
	s_delay_alu instid0(VALU_DEP_1) | instskip(SKIP_2) | instid1(VALU_DEP_1)
	s_cmp_lg_u32 s7, 0
	s_addc_u32 s7, s2, s8
	s_ashr_i32 s8, s3, 31
	v_readfirstlane_b32 s10, v1
	s_add_u32 s2, s6, s8
	s_mov_b32 s9, s8
	s_addc_u32 s3, s3, s8
	s_delay_alu instid0(SALU_CYCLE_1) | instskip(NEXT) | instid1(SALU_CYCLE_1)
	s_xor_b64 s[2:3], s[2:3], s[8:9]
	s_mul_i32 s12, s2, s7
	s_mul_hi_u32 s13, s2, s10
	s_mul_hi_u32 s11, s2, s7
	;; [unrolled: 1-line block ×3, first 2 shown]
	s_mul_i32 s10, s3, s10
	s_add_u32 s12, s13, s12
	s_addc_u32 s11, 0, s11
	s_mul_hi_u32 s14, s3, s7
	s_add_u32 s10, s12, s10
	s_mul_i32 s7, s3, s7
	s_addc_u32 s10, s11, s18
	s_addc_u32 s11, s14, 0
	s_add_u32 s7, s10, s7
	s_addc_u32 s10, 0, s11
	s_mul_i32 s12, s29, s7
	s_add_u32 s11, s7, 1
	v_sub_co_u32 v1, s2, s2, s12
	s_mul_hi_u32 s12, s29, s7
	s_addc_u32 s13, s10, 0
	s_mul_i32 s14, s29, s10
	s_delay_alu instid0(VALU_DEP_1)
	v_sub_co_u32 v4, s18, v1, s29
	s_add_u32 s19, s7, 2
	s_addc_u32 s20, s10, 0
	s_add_i32 s12, s12, s14
	s_cmp_lg_u32 s2, 0
	v_readfirstlane_b32 s2, v4
	s_subb_u32 s3, s3, s12
	s_cmp_lg_u32 s18, 0
	s_subb_u32 s12, s3, 0
	s_delay_alu instid0(VALU_DEP_1) | instskip(SKIP_4) | instid1(SALU_CYCLE_1)
	s_cmp_ge_u32 s2, s29
	s_cselect_b32 s2, -1, 0
	s_cmp_eq_u32 s12, 0
	v_readfirstlane_b32 s12, v1
	s_cselect_b32 s2, s2, -1
	s_cmp_lg_u32 s2, 0
	s_cselect_b32 s2, s19, s11
	s_cselect_b32 s11, s20, s13
	s_cmp_ge_u32 s12, s29
	s_cselect_b32 s12, -1, 0
	s_cmp_eq_u32 s3, 0
	s_cselect_b32 s3, s12, -1
	s_delay_alu instid0(SALU_CYCLE_1) | instskip(SKIP_2) | instid1(SALU_CYCLE_1)
	s_cmp_lg_u32 s3, 0
	s_cselect_b32 s3, s11, s10
	s_cselect_b32 s2, s2, s7
	s_xor_b64 s[2:3], s[2:3], s[8:9]
	s_delay_alu instid0(SALU_CYCLE_1)
	s_sub_u32 s2, s2, s8
	s_subb_u32 s3, s3, s8
	s_cbranch_execnz .LBB23_5
.LBB23_4:
	v_cvt_f32_u32_e32 v1, s29
	s_sub_i32 s3, 0, s29
	s_delay_alu instid0(VALU_DEP_1) | instskip(SKIP_2) | instid1(VALU_DEP_1)
	v_rcp_iflag_f32_e32 v1, v1
	s_waitcnt_depctr 0xfff
	v_mul_f32_e32 v1, 0x4f7ffffe, v1
	v_cvt_u32_f32_e32 v1, v1
	s_delay_alu instid0(VALU_DEP_1) | instskip(NEXT) | instid1(VALU_DEP_1)
	v_readfirstlane_b32 s2, v1
	s_mul_i32 s3, s3, s2
	s_delay_alu instid0(SALU_CYCLE_1) | instskip(NEXT) | instid1(SALU_CYCLE_1)
	s_mul_hi_u32 s3, s2, s3
	s_add_i32 s2, s2, s3
	s_delay_alu instid0(SALU_CYCLE_1) | instskip(NEXT) | instid1(SALU_CYCLE_1)
	s_mul_hi_u32 s2, s6, s2
	s_mul_i32 s3, s2, s29
	s_delay_alu instid0(SALU_CYCLE_1)
	s_sub_i32 s3, s6, s3
	s_add_i32 s6, s2, 1
	s_sub_i32 s7, s3, s29
	s_cmp_ge_u32 s3, s29
	s_cselect_b32 s2, s6, s2
	s_cselect_b32 s3, s7, s3
	s_add_i32 s6, s2, 1
	s_cmp_ge_u32 s3, s29
	s_mov_b32 s3, 0
	s_cselect_b32 s2, s6, s2
.LBB23_5:
	v_mov_b32_e32 v1, 0
	s_add_u32 s2, s2, 1
	s_addc_u32 s3, s3, 0
	s_mul_hi_u32 s6, s28, s2
	s_mul_i32 s3, s28, s3
	v_mad_u64_u32 v[15:16], null, s5, s15, v[0:1]
	s_mul_hi_u32 s4, s4, s5
	s_add_i32 s3, s6, s3
	s_mul_i32 s4, s4, s2
	s_mul_i32 s2, s28, s2
	s_add_i32 s3, s3, s4
	s_mov_b32 s4, exec_lo
	s_lshl_b64 s[2:3], s[2:3], 2
	s_delay_alu instid0(SALU_CYCLE_1)
	v_cmpx_gt_i64_e64 s[2:3], v[15:16]
	s_cbranch_execz .LBB23_86
; %bb.6:
	v_alignbit_b32 v19, v3, v2, 2
	v_mad_u64_u32 v[6:7], null, 0xcd9e8d57, v15, 0
	v_lshrrev_b32_e32 v20, 2, v3
	s_waitcnt vmcnt(0)
	v_dual_mov_b32 v11, v14 :: v_dual_add_nc_u32 v28, 0x8ff34781, v13
	v_mad_u64_u32 v[4:5], null, 0xd2511f53, v19, 0
	v_add_co_u32 v22, null, 0x9e3779b9, v13
	v_xor3_b32 v3, v13, v7, v20
	s_delay_alu instid0(VALU_DEP_4) | instskip(SKIP_2) | instid1(VALU_DEP_4)
	v_add_co_u32 v21, null, 0xbb67ae85, v11
	v_add_co_u32 v23, null, 0x3c6ef372, v13
	v_xor_b32_e32 v0, v5, v14
	v_mad_u64_u32 v[7:8], null, 0xd2511f53, v3, 0
	v_add_co_u32 v24, null, 0x76cf5d0a, v11
	s_delay_alu instid0(VALU_DEP_3) | instskip(SKIP_2) | instid1(VALU_DEP_3)
	v_xor_b32_e32 v0, v0, v16
	v_add_co_u32 v25, null, 0x32370b8f, v11
	v_add_co_u32 v26, null, 0xdaa66d2b, v13
	v_mad_u64_u32 v[9:10], null, 0xcd9e8d57, v0, 0
	v_xor3_b32 v0, v21, v8, v4
	v_dual_mov_b32 v38, v15 :: v_dual_and_b32 v27, 3, v2
	v_add_co_u32 v29, null, 0x78dde6e4, v13
	s_delay_alu instid0(VALU_DEP_3) | instskip(SKIP_3) | instid1(VALU_DEP_3)
	v_mad_u64_u32 v[3:4], null, 0xcd9e8d57, v0, 0
	v_xor3_b32 v8, v22, v10, v6
	v_add_co_u32 v31, null, 0xed9eba14, v11
	v_add_co_u32 v33, null, 0xa9066899, v11
	v_mad_u64_u32 v[5:6], null, 0xd2511f53, v8, 0
	v_xor3_b32 v0, v23, v4, v9
	v_add_co_u32 v34, null, 0x1715609d, v13
	v_add_co_u32 v35, null, 0xb54cda56, v13
	v_add_co_u32 v37, null, 0x646e171e, v11
	v_xor3_b32 v4, v24, v6, v7
	v_mad_u64_u32 v[6:7], null, 0xd2511f53, v0, 0
	s_load_b256 s[4:11], s[0:1], 0x30
	v_add_co_u32 v32, null, 0x5384540f, v13
	s_delay_alu instid0(VALU_DEP_3) | instskip(SKIP_1) | instid1(VALU_DEP_4)
	v_mad_u64_u32 v[8:9], null, 0xcd9e8d57, v4, 0
	v_add_co_u32 v39, null, 0x1fd5c5a3, v11
	v_xor3_b32 v0, v25, v7, v5
	v_add_co_u32 v36, null, 0xf1bbcdc8, v13
	v_add_co_u32 v40, null, 0xdb3d7428, v11
	v_xor3_b32 v7, v26, v9, v3
	s_delay_alu instid0(VALU_DEP_4) | instskip(SKIP_2) | instid1(VALU_DEP_2)
	v_mad_u64_u32 v[2:3], null, 0xcd9e8d57, v0, 0
	s_add_u32 s18, s0, 48
	s_load_b64 s[20:21], s[0:1], 0x148
	v_mad_u64_u32 v[4:5], null, 0xd2511f53, v7, 0
	s_clause 0x1
	s_load_b64 s[22:23], s[0:1], 0xf4
	s_load_b128 s[12:15], s[0:1], 0x138
	s_addc_u32 s19, s1, 0
	v_xor3_b32 v0, v29, v3, v8
	s_waitcnt lgkmcnt(0)
	s_add_i32 s24, s4, -1
	v_mov_b32_e32 v41, v16
	s_cmp_gt_u32 s24, 1
	v_xor3_b32 v3, v31, v5, v6
	v_mad_u64_u32 v[5:6], null, 0xd2511f53, v0, 0
	s_cselect_b32 s11, -1, 0
	s_cmp_lg_u32 s4, 0
	s_delay_alu instid0(VALU_DEP_2) | instskip(SKIP_2) | instid1(VALU_DEP_2)
	v_mad_u64_u32 v[7:8], null, 0xcd9e8d57, v3, 0
	s_cselect_b32 s31, -1, 0
	s_add_u32 s0, s0, 0xf4
	v_xor3_b32 v0, v33, v6, v4
	s_addc_u32 s1, s1, 0
	s_min_u32 s25, s24, 15
	s_cmp_gt_u32 s4, 1
	s_delay_alu instid0(VALU_DEP_2) | instskip(SKIP_3) | instid1(VALU_DEP_2)
	v_xor3_b32 v4, v34, v8, v2
	v_mad_u64_u32 v[2:3], null, 0xcd9e8d57, v0, 0
	s_cselect_b32 s4, -1, 0
	s_add_i32 s25, s25, 1
	v_mad_u64_u32 v[8:9], null, 0xd2511f53, v4, 0
	s_lshl_b32 s33, s28, 1
	s_and_b32 s34, s25, 3
	s_delay_alu instid0(VALU_DEP_2) | instskip(SKIP_3) | instid1(VALU_DEP_2)
	v_xor3_b32 v0, v35, v3, v7
	s_cmp_lg_u32 s24, 2
	s_mov_b32 s30, 0
	s_cselect_b32 s35, -1, 0
	v_xor3_b32 v7, v37, v9, v5
	v_mad_u64_u32 v[3:4], null, 0xd2511f53, v0, 0
	s_and_b32 s36, s25, 28
	s_cmp_lg_u32 s34, 0
	s_delay_alu instid0(VALU_DEP_2) | instskip(SKIP_2) | instid1(VALU_DEP_2)
	v_mad_u64_u32 v[5:6], null, 0xcd9e8d57, v7, 0
	s_mul_i32 s37, s28, 3
	s_cselect_b32 s38, -1, 0
	v_xor3_b32 v0, v39, v4, v8
	s_delay_alu instid0(VALU_DEP_2) | instskip(NEXT) | instid1(VALU_DEP_2)
	v_xor3_b32 v2, v32, v6, v2
	v_mad_u64_u32 v[6:7], null, 0xcd9e8d57, v0, 0
	s_delay_alu instid0(VALU_DEP_2) | instskip(NEXT) | instid1(VALU_DEP_2)
	v_mad_u64_u32 v[8:9], null, 0xd2511f53, v2, 0
	v_xor3_b32 v0, v36, v7, v5
	s_delay_alu instid0(VALU_DEP_2) | instskip(NEXT) | instid1(VALU_DEP_2)
	v_xor3_b32 v2, v40, v9, v3
	v_mad_u64_u32 v[9:10], null, 0xd2511f53, v0, 0
	v_add_nc_u32_e32 v30, 0x96a522ad, v14
	s_delay_alu instid0(VALU_DEP_3) | instskip(NEXT) | instid1(VALU_DEP_3)
	v_mad_u64_u32 v[3:4], null, 0xcd9e8d57, v2, 0
	v_mov_b32_e32 v5, v9
	s_delay_alu instid0(VALU_DEP_2) | instskip(NEXT) | instid1(VALU_DEP_4)
	v_xor3_b32 v2, v4, v6, v28
	v_xor3_b32 v4, v10, v8, v30
	s_branch .LBB23_9
.LBB23_7:                               ;   in Loop: Header=BB23_9 Depth=1
	s_or_b32 exec_lo, exec_lo, s24
	s_delay_alu instid0(VALU_DEP_1) | instskip(SKIP_1) | instid1(VALU_DEP_2)
	v_add_co_u32 v0, vcc_lo, v0, s20
	v_add_co_ci_u32_e32 v3, vcc_lo, s21, v1, vcc_lo
	v_cvt_f64_u32_e32 v[9:10], v0
	s_delay_alu instid0(VALU_DEP_2) | instskip(NEXT) | instid1(VALU_DEP_1)
	v_cvt_f64_i32_e32 v[3:4], v3
	v_ldexp_f64 v[3:4], v[3:4], 32
	s_delay_alu instid0(VALU_DEP_1)
	v_add_f64 v[3:4], v[3:4], v[9:10]
	global_store_b64 v2, v[3:4], s[12:13]
.LBB23_8:                               ;   in Loop: Header=BB23_9 Depth=1
	s_or_b32 exec_lo, exec_lo, s39
	v_add_co_u32 v15, vcc_lo, v15, s29
	v_add_co_ci_u32_e32 v16, vcc_lo, 0, v16, vcc_lo
	v_mov_b32_e32 v9, v17
	v_dual_mov_b32 v2, v6 :: v_dual_mov_b32 v3, v7
	s_delay_alu instid0(VALU_DEP_3) | instskip(NEXT) | instid1(VALU_DEP_3)
	v_cmp_le_i64_e32 vcc_lo, s[2:3], v[15:16]
	v_dual_mov_b32 v4, v8 :: v_dual_mov_b32 v5, v9
	s_waitcnt_vscnt null, 0x0
	s_barrier
	buffer_gl0_inv
	s_or_b32 s30, vcc_lo, s30
	s_delay_alu instid0(SALU_CYCLE_1)
	s_and_not1_b32 exec_lo, exec_lo, s30
	s_cbranch_execz .LBB23_86
.LBB23_9:                               ; =>This Loop Header: Depth=1
                                        ;     Child Loop BB23_24 Depth 2
                                        ;     Child Loop BB23_29 Depth 2
	;; [unrolled: 1-line block ×8, first 2 shown]
	v_add_co_u32 v19, vcc_lo, v19, 1
	s_delay_alu instid0(VALU_DEP_1) | instskip(SKIP_1) | instid1(VALU_DEP_3)
	v_cndmask_b32_e64 v0, 0, 1, vcc_lo
	v_add_co_ci_u32_e32 v20, vcc_lo, 0, v20, vcc_lo
	v_mad_u64_u32 v[6:7], null, 0xd2511f53, v19, 0
	s_mov_b32 s24, exec_lo
	s_delay_alu instid0(VALU_DEP_2) | instskip(SKIP_1) | instid1(VALU_DEP_1)
	v_cmp_eq_u32_e32 vcc_lo, 0, v20
	v_cndmask_b32_e32 v0, 0, v0, vcc_lo
	v_add_nc_u32_e32 v38, v0, v38
	s_delay_alu instid0(VALU_DEP_1) | instskip(SKIP_2) | instid1(VALU_DEP_1)
	v_cmp_eq_u32_e32 vcc_lo, 0, v38
	v_mad_u64_u32 v[8:9], null, 0xcd9e8d57, v38, 0
	v_cndmask_b32_e32 v0, 0, v0, vcc_lo
	v_add_nc_u32_e32 v41, v0, v41
	v_xor_b32_e32 v0, v7, v14
	s_delay_alu instid0(VALU_DEP_4) | instskip(NEXT) | instid1(VALU_DEP_2)
	v_xor3_b32 v7, v9, v13, v20
	v_xor_b32_e32 v0, v41, v0
	s_delay_alu instid0(VALU_DEP_2) | instskip(NEXT) | instid1(VALU_DEP_2)
	v_mad_u64_u32 v[9:10], null, 0xd2511f53, v7, 0
	v_mad_u64_u32 v[11:12], null, 0xcd9e8d57, v0, 0
	s_delay_alu instid0(VALU_DEP_2) | instskip(NEXT) | instid1(VALU_DEP_2)
	v_xor3_b32 v0, v21, v10, v6
	v_xor3_b32 v8, v22, v12, v8
	s_delay_alu instid0(VALU_DEP_2) | instskip(NEXT) | instid1(VALU_DEP_2)
	v_mad_u64_u32 v[6:7], null, 0xcd9e8d57, v0, 0
	v_mad_u64_u32 v[17:18], null, 0xd2511f53, v8, 0
	s_delay_alu instid0(VALU_DEP_2) | instskip(NEXT) | instid1(VALU_DEP_2)
	v_xor3_b32 v0, v23, v7, v11
	v_xor3_b32 v11, v24, v18, v9
	;; [unrolled: 6-line block ×9, first 2 shown]
	s_delay_alu instid0(VALU_DEP_2)
	v_mov_b32_e32 v8, v12
	v_cmpx_lt_i32_e32 1, v27
	s_xor_b32 s24, exec_lo, s24
	s_cbranch_execnz .LBB23_12
; %bb.10:                               ;   in Loop: Header=BB23_9 Depth=1
	s_and_not1_saveexec_b32 s24, s24
	s_cbranch_execnz .LBB23_17
.LBB23_11:                              ;   in Loop: Header=BB23_9 Depth=1
	s_or_b32 exec_lo, exec_lo, s24
	s_delay_alu instid0(SALU_CYCLE_1)
	s_mov_b32 s39, exec_lo
	v_cmpx_gt_i64_e64 s[16:17], v[15:16]
	s_cbranch_execnz .LBB23_20
	s_branch .LBB23_36
.LBB23_12:                              ;   in Loop: Header=BB23_9 Depth=1
	s_mov_b32 s25, exec_lo
	v_cmpx_lt_i32_e32 2, v27
	s_xor_b32 s25, exec_lo, s25
; %bb.13:                               ;   in Loop: Header=BB23_9 Depth=1
	v_dual_mov_b32 v9, v5 :: v_dual_mov_b32 v10, v6
	v_mov_b32_e32 v11, v7
	s_delay_alu instid0(VALU_DEP_2) | instskip(NEXT) | instid1(VALU_DEP_2)
	v_dual_mov_b32 v2, v9 :: v_dual_mov_b32 v3, v10
	v_dual_mov_b32 v4, v11 :: v_dual_mov_b32 v5, v12
; %bb.14:                               ;   in Loop: Header=BB23_9 Depth=1
	s_and_not1_saveexec_b32 s25, s25
; %bb.15:                               ;   in Loop: Header=BB23_9 Depth=1
	s_delay_alu instid0(VALU_DEP_1)
	v_dual_mov_b32 v2, v4 :: v_dual_mov_b32 v3, v5
	v_dual_mov_b32 v4, v6 :: v_dual_mov_b32 v5, v7
; %bb.16:                               ;   in Loop: Header=BB23_9 Depth=1
	s_or_b32 exec_lo, exec_lo, s25
	s_and_not1_saveexec_b32 s24, s24
	s_cbranch_execz .LBB23_11
.LBB23_17:                              ;   in Loop: Header=BB23_9 Depth=1
	s_mov_b32 s25, exec_lo
	v_cmpx_eq_u32_e32 1, v27
; %bb.18:                               ;   in Loop: Header=BB23_9 Depth=1
	v_dual_mov_b32 v2, v3 :: v_dual_mov_b32 v3, v4
	v_dual_mov_b32 v4, v5 :: v_dual_mov_b32 v5, v6
; %bb.19:                               ;   in Loop: Header=BB23_9 Depth=1
	s_or_b32 exec_lo, exec_lo, s25
	s_delay_alu instid0(SALU_CYCLE_1) | instskip(NEXT) | instid1(SALU_CYCLE_1)
	s_or_b32 exec_lo, exec_lo, s24
	s_mov_b32 s39, exec_lo
	v_cmpx_gt_i64_e64 s[16:17], v[15:16]
	s_cbranch_execz .LBB23_36
.LBB23_20:                              ;   in Loop: Header=BB23_9 Depth=1
	s_and_not1_b32 vcc_lo, exec_lo, s11
	s_cbranch_vccnz .LBB23_26
; %bb.21:                               ;   in Loop: Header=BB23_9 Depth=1
	v_mov_b32_e32 v9, 0
	s_and_not1_b32 vcc_lo, exec_lo, s31
	s_cbranch_vccnz .LBB23_30
; %bb.22:                               ;   in Loop: Header=BB23_9 Depth=1
	s_and_not1_b32 vcc_lo, exec_lo, s35
	s_mov_b32 s24, 0
	s_cbranch_vccnz .LBB23_27
; %bb.23:                               ;   in Loop: Header=BB23_9 Depth=1
	v_dual_mov_b32 v9, 0 :: v_dual_mov_b32 v0, v15
	s_mov_b32 s40, 0
	s_mov_b64 s[24:25], s[18:19]
	s_mov_b64 s[26:27], s[0:1]
.LBB23_24:                              ;   Parent Loop BB23_9 Depth=1
                                        ; =>  This Inner Loop Header: Depth=2
	s_clause 0x1
	s_load_b256 s[44:51], s[24:25], 0x4
	s_load_b128 s[52:55], s[24:25], 0x24
	s_load_b128 s[56:59], s[26:27], 0x0
	s_add_u32 s24, s24, 48
	s_addc_u32 s25, s25, 0
	s_add_i32 s40, s40, 4
	s_add_u32 s26, s26, 16
	s_addc_u32 s27, s27, 0
	s_cmp_lg_u32 s36, s40
	s_waitcnt lgkmcnt(0)
	v_mul_hi_u32 v10, s45, v0
	s_delay_alu instid0(VALU_DEP_1) | instskip(NEXT) | instid1(VALU_DEP_1)
	v_add_nc_u32_e32 v10, v0, v10
	v_lshrrev_b32_e32 v10, s46, v10
	s_delay_alu instid0(VALU_DEP_1) | instskip(SKIP_1) | instid1(VALU_DEP_2)
	v_mul_hi_u32 v11, s48, v10
	v_mul_lo_u32 v42, v10, s44
	v_add_nc_u32_e32 v11, v10, v11
	s_delay_alu instid0(VALU_DEP_2) | instskip(NEXT) | instid1(VALU_DEP_2)
	v_sub_nc_u32_e32 v42, v0, v42
	v_lshrrev_b32_e32 v11, s49, v11
	s_delay_alu instid0(VALU_DEP_2) | instskip(NEXT) | instid1(VALU_DEP_2)
	v_mul_lo_u32 v42, v42, s56
	v_mul_hi_u32 v12, s51, v11
	v_mul_lo_u32 v43, v11, s47
	s_delay_alu instid0(VALU_DEP_2) | instskip(NEXT) | instid1(VALU_DEP_2)
	v_add_nc_u32_e32 v12, v11, v12
	v_sub_nc_u32_e32 v10, v10, v43
	s_delay_alu instid0(VALU_DEP_2) | instskip(NEXT) | instid1(VALU_DEP_2)
	v_lshrrev_b32_e32 v12, s52, v12
	v_mul_lo_u32 v10, v10, s57
	s_delay_alu instid0(VALU_DEP_2) | instskip(NEXT) | instid1(VALU_DEP_2)
	v_mul_hi_u32 v18, s54, v12
	v_add3_u32 v9, v42, v9, v10
	s_delay_alu instid0(VALU_DEP_2) | instskip(NEXT) | instid1(VALU_DEP_1)
	v_add_nc_u32_e32 v18, v12, v18
	v_lshrrev_b32_e32 v0, s55, v18
	v_mul_lo_u32 v18, v12, s50
	s_delay_alu instid0(VALU_DEP_2) | instskip(NEXT) | instid1(VALU_DEP_2)
	v_mul_lo_u32 v44, v0, s53
	v_sub_nc_u32_e32 v11, v11, v18
	s_delay_alu instid0(VALU_DEP_2) | instskip(NEXT) | instid1(VALU_DEP_2)
	v_sub_nc_u32_e32 v12, v12, v44
	v_mul_lo_u32 v11, v11, s58
	s_delay_alu instid0(VALU_DEP_2) | instskip(NEXT) | instid1(VALU_DEP_1)
	v_mul_lo_u32 v12, v12, s59
	v_add3_u32 v9, v11, v9, v12
	s_cbranch_scc1 .LBB23_24
; %bb.25:                               ;   in Loop: Header=BB23_9 Depth=1
	s_mov_b32 s24, s36
	s_and_not1_b32 vcc_lo, exec_lo, s38
	s_cbranch_vccz .LBB23_28
	s_branch .LBB23_30
.LBB23_26:                              ;   in Loop: Header=BB23_9 Depth=1
                                        ; implicit-def: $vgpr9
	s_branch .LBB23_31
.LBB23_27:                              ;   in Loop: Header=BB23_9 Depth=1
	v_mov_b32_e32 v0, v15
	s_and_not1_b32 vcc_lo, exec_lo, s38
	s_cbranch_vccnz .LBB23_30
.LBB23_28:                              ;   in Loop: Header=BB23_9 Depth=1
	s_lshl_b32 s25, s24, 2
	s_mul_i32 s26, s24, 12
	s_add_u32 s24, s0, s25
	s_addc_u32 s25, s1, 0
	s_add_u32 s26, s18, s26
	s_addc_u32 s27, s19, 0
	s_mov_b32 s40, s34
	.p2align	6
.LBB23_29:                              ;   Parent Loop BB23_9 Depth=1
                                        ; =>  This Inner Loop Header: Depth=2
	s_clause 0x1
	s_load_b64 s[42:43], s[26:27], 0x4
	s_load_b32 s41, s[26:27], 0xc
	s_add_u32 s26, s26, 12
	s_addc_u32 s27, s27, 0
	s_waitcnt lgkmcnt(0)
	v_mul_hi_u32 v10, s43, v0
	s_load_b32 s43, s[24:25], 0x0
	s_add_u32 s24, s24, 4
	s_addc_u32 s25, s25, 0
	s_add_i32 s40, s40, -1
	s_delay_alu instid0(SALU_CYCLE_1) | instskip(NEXT) | instid1(VALU_DEP_1)
	s_cmp_lg_u32 s40, 0
	v_add_nc_u32_e32 v10, v0, v10
	s_delay_alu instid0(VALU_DEP_1) | instskip(NEXT) | instid1(VALU_DEP_1)
	v_lshrrev_b32_e32 v12, s41, v10
	v_mul_lo_u32 v10, v12, s42
	s_delay_alu instid0(VALU_DEP_1) | instskip(SKIP_1) | instid1(VALU_DEP_1)
	v_sub_nc_u32_e32 v0, v0, v10
	s_waitcnt lgkmcnt(0)
	v_mad_u64_u32 v[10:11], null, v0, s43, v[9:10]
	s_delay_alu instid0(VALU_DEP_1)
	v_dual_mov_b32 v0, v12 :: v_dual_mov_b32 v9, v10
	s_cbranch_scc1 .LBB23_29
.LBB23_30:                              ;   in Loop: Header=BB23_9 Depth=1
	s_cbranch_execnz .LBB23_33
.LBB23_31:                              ;   in Loop: Header=BB23_9 Depth=1
	v_mul_hi_u32 v0, v15, s6
	s_and_not1_b32 vcc_lo, exec_lo, s4
	s_delay_alu instid0(VALU_DEP_1) | instskip(NEXT) | instid1(VALU_DEP_1)
	v_add_nc_u32_e32 v0, v0, v15
	v_lshrrev_b32_e32 v0, s7, v0
	s_delay_alu instid0(VALU_DEP_1) | instskip(NEXT) | instid1(VALU_DEP_1)
	v_mul_lo_u32 v9, v0, s5
	v_sub_nc_u32_e32 v9, v15, v9
	s_delay_alu instid0(VALU_DEP_1)
	v_mul_lo_u32 v9, v9, s22
	s_cbranch_vccnz .LBB23_33
; %bb.32:                               ;   in Loop: Header=BB23_9 Depth=1
	v_mul_hi_u32 v10, s9, v0
	s_delay_alu instid0(VALU_DEP_1) | instskip(NEXT) | instid1(VALU_DEP_1)
	v_add_nc_u32_e32 v10, v0, v10
	v_lshrrev_b32_e32 v10, s10, v10
	s_delay_alu instid0(VALU_DEP_1) | instskip(NEXT) | instid1(VALU_DEP_1)
	v_mul_lo_u32 v10, v10, s8
	v_sub_nc_u32_e32 v0, v0, v10
	s_delay_alu instid0(VALU_DEP_1) | instskip(NEXT) | instid1(VALU_DEP_1)
	v_mad_u64_u32 v[10:11], null, v0, s23, v[9:10]
	v_mov_b32_e32 v9, v10
.LBB23_33:                              ;   in Loop: Header=BB23_9 Depth=1
	v_mov_b32_e32 v0, v2
	s_mov_b32 s24, exec_lo
	s_delay_alu instid0(VALU_DEP_1)
	v_cmpx_le_u64_e64 s[14:15], v[0:1]
	s_cbranch_execz .LBB23_35
; %bb.34:                               ;   in Loop: Header=BB23_9 Depth=1
	v_cvt_f32_u32_e32 v2, s14
	s_sub_i32 s25, 0, s14
	s_delay_alu instid0(VALU_DEP_1) | instskip(SKIP_2) | instid1(VALU_DEP_1)
	v_rcp_iflag_f32_e32 v2, v2
	s_waitcnt_depctr 0xfff
	v_mul_f32_e32 v2, 0x4f7ffffe, v2
	v_cvt_u32_f32_e32 v2, v2
	s_delay_alu instid0(VALU_DEP_1) | instskip(NEXT) | instid1(VALU_DEP_1)
	v_mul_lo_u32 v10, s25, v2
	v_mul_hi_u32 v10, v2, v10
	s_delay_alu instid0(VALU_DEP_1) | instskip(NEXT) | instid1(VALU_DEP_1)
	v_add_nc_u32_e32 v2, v2, v10
	v_mul_hi_u32 v2, v0, v2
	s_delay_alu instid0(VALU_DEP_1) | instskip(NEXT) | instid1(VALU_DEP_1)
	v_mul_lo_u32 v2, v2, s14
	v_sub_nc_u32_e32 v0, v0, v2
	s_delay_alu instid0(VALU_DEP_1) | instskip(SKIP_1) | instid1(VALU_DEP_2)
	v_subrev_nc_u32_e32 v2, s14, v0
	v_cmp_le_u32_e32 vcc_lo, s14, v0
	v_cndmask_b32_e32 v0, v0, v2, vcc_lo
	s_delay_alu instid0(VALU_DEP_1) | instskip(SKIP_1) | instid1(VALU_DEP_2)
	v_subrev_nc_u32_e32 v2, s14, v0
	v_cmp_le_u32_e32 vcc_lo, s14, v0
	v_cndmask_b32_e32 v0, v0, v2, vcc_lo
.LBB23_35:                              ;   in Loop: Header=BB23_9 Depth=1
	s_or_b32 exec_lo, exec_lo, s24
	s_delay_alu instid0(VALU_DEP_1) | instskip(SKIP_1) | instid1(VALU_DEP_2)
	v_add_co_u32 v0, vcc_lo, v0, s20
	v_add_co_ci_u32_e32 v2, vcc_lo, s21, v1, vcc_lo
	v_cvt_f64_u32_e32 v[42:43], v0
	s_delay_alu instid0(VALU_DEP_2) | instskip(NEXT) | instid1(VALU_DEP_1)
	v_cvt_f64_i32_e32 v[10:11], v2
	v_ldexp_f64 v[10:11], v[10:11], 32
	s_delay_alu instid0(VALU_DEP_1)
	v_add_f64 v[10:11], v[10:11], v[42:43]
	global_store_b64 v9, v[10:11], s[12:13]
.LBB23_36:                              ;   in Loop: Header=BB23_9 Depth=1
	s_or_b32 exec_lo, exec_lo, s39
	v_add_co_u32 v9, vcc_lo, v15, s28
	v_add_co_ci_u32_e32 v10, vcc_lo, 0, v16, vcc_lo
	s_mov_b32 s39, exec_lo
	s_delay_alu instid0(VALU_DEP_1)
	v_cmpx_gt_i64_e64 s[16:17], v[9:10]
	s_cbranch_execz .LBB23_53
; %bb.37:                               ;   in Loop: Header=BB23_9 Depth=1
	s_and_not1_b32 vcc_lo, exec_lo, s11
	s_cbranch_vccnz .LBB23_43
; %bb.38:                               ;   in Loop: Header=BB23_9 Depth=1
	v_mov_b32_e32 v2, 0
	s_and_not1_b32 vcc_lo, exec_lo, s31
	s_cbranch_vccnz .LBB23_47
; %bb.39:                               ;   in Loop: Header=BB23_9 Depth=1
	s_and_not1_b32 vcc_lo, exec_lo, s35
	s_mov_b32 s24, 0
	s_cbranch_vccnz .LBB23_44
; %bb.40:                               ;   in Loop: Header=BB23_9 Depth=1
	v_mov_b32_e32 v2, 0
	v_mov_b32_e32 v0, v9
	s_mov_b32 s40, 0
	s_mov_b64 s[24:25], s[18:19]
	s_mov_b64 s[26:27], s[0:1]
.LBB23_41:                              ;   Parent Loop BB23_9 Depth=1
                                        ; =>  This Inner Loop Header: Depth=2
	s_clause 0x1
	s_load_b256 s[44:51], s[24:25], 0x4
	s_load_b128 s[52:55], s[24:25], 0x24
	s_load_b128 s[56:59], s[26:27], 0x0
	s_add_u32 s24, s24, 48
	s_addc_u32 s25, s25, 0
	s_add_i32 s40, s40, 4
	s_add_u32 s26, s26, 16
	s_addc_u32 s27, s27, 0
	s_cmp_eq_u32 s36, s40
	s_waitcnt lgkmcnt(0)
	v_mul_hi_u32 v10, s45, v0
	s_delay_alu instid0(VALU_DEP_1) | instskip(NEXT) | instid1(VALU_DEP_1)
	v_add_nc_u32_e32 v10, v0, v10
	v_lshrrev_b32_e32 v10, s46, v10
	s_delay_alu instid0(VALU_DEP_1) | instskip(SKIP_1) | instid1(VALU_DEP_2)
	v_mul_hi_u32 v11, s48, v10
	v_mul_lo_u32 v42, v10, s44
	v_add_nc_u32_e32 v11, v10, v11
	s_delay_alu instid0(VALU_DEP_2) | instskip(NEXT) | instid1(VALU_DEP_2)
	v_sub_nc_u32_e32 v42, v0, v42
	v_lshrrev_b32_e32 v11, s49, v11
	s_delay_alu instid0(VALU_DEP_2) | instskip(NEXT) | instid1(VALU_DEP_2)
	v_mul_lo_u32 v42, v42, s56
	v_mul_hi_u32 v12, s51, v11
	v_mul_lo_u32 v43, v11, s47
	s_delay_alu instid0(VALU_DEP_2) | instskip(NEXT) | instid1(VALU_DEP_2)
	v_add_nc_u32_e32 v12, v11, v12
	v_sub_nc_u32_e32 v10, v10, v43
	s_delay_alu instid0(VALU_DEP_2) | instskip(NEXT) | instid1(VALU_DEP_2)
	v_lshrrev_b32_e32 v12, s52, v12
	v_mul_lo_u32 v10, v10, s57
	s_delay_alu instid0(VALU_DEP_2) | instskip(NEXT) | instid1(VALU_DEP_2)
	v_mul_hi_u32 v18, s54, v12
	v_add3_u32 v2, v42, v2, v10
	s_delay_alu instid0(VALU_DEP_2) | instskip(NEXT) | instid1(VALU_DEP_1)
	v_add_nc_u32_e32 v18, v12, v18
	v_lshrrev_b32_e32 v0, s55, v18
	v_mul_lo_u32 v18, v12, s50
	s_delay_alu instid0(VALU_DEP_2) | instskip(NEXT) | instid1(VALU_DEP_2)
	v_mul_lo_u32 v44, v0, s53
	v_sub_nc_u32_e32 v11, v11, v18
	s_delay_alu instid0(VALU_DEP_2) | instskip(NEXT) | instid1(VALU_DEP_2)
	v_sub_nc_u32_e32 v12, v12, v44
	v_mul_lo_u32 v11, v11, s58
	s_delay_alu instid0(VALU_DEP_2) | instskip(NEXT) | instid1(VALU_DEP_1)
	v_mul_lo_u32 v12, v12, s59
	v_add3_u32 v2, v11, v2, v12
	s_cbranch_scc0 .LBB23_41
; %bb.42:                               ;   in Loop: Header=BB23_9 Depth=1
	s_mov_b32 s24, s36
	s_and_not1_b32 vcc_lo, exec_lo, s38
	s_cbranch_vccz .LBB23_45
	s_branch .LBB23_47
.LBB23_43:                              ;   in Loop: Header=BB23_9 Depth=1
                                        ; implicit-def: $vgpr2
	s_branch .LBB23_48
.LBB23_44:                              ;   in Loop: Header=BB23_9 Depth=1
	v_mov_b32_e32 v0, v9
	s_and_not1_b32 vcc_lo, exec_lo, s38
	s_cbranch_vccnz .LBB23_47
.LBB23_45:                              ;   in Loop: Header=BB23_9 Depth=1
	s_lshl_b32 s25, s24, 2
	s_mul_i32 s26, s24, 12
	s_add_u32 s24, s0, s25
	s_addc_u32 s25, s1, 0
	s_add_u32 s26, s18, s26
	s_addc_u32 s27, s19, 0
	s_mov_b32 s40, s34
	.p2align	6
.LBB23_46:                              ;   Parent Loop BB23_9 Depth=1
                                        ; =>  This Inner Loop Header: Depth=2
	s_clause 0x1
	s_load_b64 s[42:43], s[26:27], 0x4
	s_load_b32 s41, s[26:27], 0xc
	s_add_u32 s26, s26, 12
	s_addc_u32 s27, s27, 0
	s_waitcnt lgkmcnt(0)
	v_mul_hi_u32 v10, s43, v0
	s_load_b32 s43, s[24:25], 0x0
	s_add_u32 s24, s24, 4
	s_addc_u32 s25, s25, 0
	s_add_i32 s40, s40, -1
	s_delay_alu instid0(SALU_CYCLE_1) | instskip(NEXT) | instid1(VALU_DEP_1)
	s_cmp_lg_u32 s40, 0
	v_add_nc_u32_e32 v10, v0, v10
	s_delay_alu instid0(VALU_DEP_1) | instskip(NEXT) | instid1(VALU_DEP_1)
	v_lshrrev_b32_e32 v12, s41, v10
	v_mul_lo_u32 v10, v12, s42
	s_delay_alu instid0(VALU_DEP_1) | instskip(SKIP_1) | instid1(VALU_DEP_1)
	v_sub_nc_u32_e32 v0, v0, v10
	s_waitcnt lgkmcnt(0)
	v_mad_u64_u32 v[10:11], null, v0, s43, v[2:3]
	v_mov_b32_e32 v0, v12
	s_delay_alu instid0(VALU_DEP_2)
	v_mov_b32_e32 v2, v10
	s_cbranch_scc1 .LBB23_46
.LBB23_47:                              ;   in Loop: Header=BB23_9 Depth=1
	s_cbranch_execnz .LBB23_50
.LBB23_48:                              ;   in Loop: Header=BB23_9 Depth=1
	v_mul_hi_u32 v0, v9, s6
	s_and_not1_b32 vcc_lo, exec_lo, s4
	s_delay_alu instid0(VALU_DEP_1) | instskip(NEXT) | instid1(VALU_DEP_1)
	v_add_nc_u32_e32 v0, v0, v9
	v_lshrrev_b32_e32 v0, s7, v0
	s_delay_alu instid0(VALU_DEP_1) | instskip(NEXT) | instid1(VALU_DEP_1)
	v_mul_lo_u32 v2, v0, s5
	v_sub_nc_u32_e32 v2, v9, v2
	s_delay_alu instid0(VALU_DEP_1)
	v_mul_lo_u32 v2, v2, s22
	s_cbranch_vccnz .LBB23_50
; %bb.49:                               ;   in Loop: Header=BB23_9 Depth=1
	v_mul_hi_u32 v9, s9, v0
	s_delay_alu instid0(VALU_DEP_1) | instskip(NEXT) | instid1(VALU_DEP_1)
	v_add_nc_u32_e32 v9, v0, v9
	v_lshrrev_b32_e32 v9, s10, v9
	s_delay_alu instid0(VALU_DEP_1) | instskip(NEXT) | instid1(VALU_DEP_1)
	v_mul_lo_u32 v9, v9, s8
	v_sub_nc_u32_e32 v0, v0, v9
	s_delay_alu instid0(VALU_DEP_1) | instskip(NEXT) | instid1(VALU_DEP_1)
	v_mad_u64_u32 v[9:10], null, v0, s23, v[2:3]
	v_mov_b32_e32 v2, v9
.LBB23_50:                              ;   in Loop: Header=BB23_9 Depth=1
	v_mov_b32_e32 v0, v3
	s_mov_b32 s24, exec_lo
	s_delay_alu instid0(VALU_DEP_1)
	v_cmpx_le_u64_e64 s[14:15], v[0:1]
	s_cbranch_execz .LBB23_52
; %bb.51:                               ;   in Loop: Header=BB23_9 Depth=1
	v_cvt_f32_u32_e32 v3, s14
	s_sub_i32 s25, 0, s14
	s_delay_alu instid0(VALU_DEP_1) | instskip(SKIP_2) | instid1(VALU_DEP_1)
	v_rcp_iflag_f32_e32 v3, v3
	s_waitcnt_depctr 0xfff
	v_mul_f32_e32 v3, 0x4f7ffffe, v3
	v_cvt_u32_f32_e32 v3, v3
	s_delay_alu instid0(VALU_DEP_1) | instskip(NEXT) | instid1(VALU_DEP_1)
	v_mul_lo_u32 v9, s25, v3
	v_mul_hi_u32 v9, v3, v9
	s_delay_alu instid0(VALU_DEP_1) | instskip(NEXT) | instid1(VALU_DEP_1)
	v_add_nc_u32_e32 v3, v3, v9
	v_mul_hi_u32 v3, v0, v3
	s_delay_alu instid0(VALU_DEP_1) | instskip(NEXT) | instid1(VALU_DEP_1)
	v_mul_lo_u32 v3, v3, s14
	v_sub_nc_u32_e32 v0, v0, v3
	s_delay_alu instid0(VALU_DEP_1) | instskip(SKIP_1) | instid1(VALU_DEP_2)
	v_subrev_nc_u32_e32 v3, s14, v0
	v_cmp_le_u32_e32 vcc_lo, s14, v0
	v_cndmask_b32_e32 v0, v0, v3, vcc_lo
	s_delay_alu instid0(VALU_DEP_1) | instskip(SKIP_1) | instid1(VALU_DEP_2)
	v_subrev_nc_u32_e32 v3, s14, v0
	v_cmp_le_u32_e32 vcc_lo, s14, v0
	v_cndmask_b32_e32 v0, v0, v3, vcc_lo
.LBB23_52:                              ;   in Loop: Header=BB23_9 Depth=1
	s_or_b32 exec_lo, exec_lo, s24
	s_delay_alu instid0(VALU_DEP_1) | instskip(SKIP_1) | instid1(VALU_DEP_2)
	v_add_co_u32 v0, vcc_lo, v0, s20
	v_add_co_ci_u32_e32 v3, vcc_lo, s21, v1, vcc_lo
	v_cvt_f64_u32_e32 v[11:12], v0
	s_delay_alu instid0(VALU_DEP_2) | instskip(NEXT) | instid1(VALU_DEP_1)
	v_cvt_f64_i32_e32 v[9:10], v3
	v_ldexp_f64 v[9:10], v[9:10], 32
	s_delay_alu instid0(VALU_DEP_1)
	v_add_f64 v[9:10], v[9:10], v[11:12]
	global_store_b64 v2, v[9:10], s[12:13]
.LBB23_53:                              ;   in Loop: Header=BB23_9 Depth=1
	s_or_b32 exec_lo, exec_lo, s39
	v_add_co_u32 v9, vcc_lo, v15, s33
	v_add_co_ci_u32_e32 v10, vcc_lo, 0, v16, vcc_lo
	s_mov_b32 s39, exec_lo
	s_delay_alu instid0(VALU_DEP_1)
	v_cmpx_gt_i64_e64 s[16:17], v[9:10]
	s_cbranch_execz .LBB23_70
; %bb.54:                               ;   in Loop: Header=BB23_9 Depth=1
	s_and_not1_b32 vcc_lo, exec_lo, s11
	s_cbranch_vccnz .LBB23_60
; %bb.55:                               ;   in Loop: Header=BB23_9 Depth=1
	v_mov_b32_e32 v2, 0
	s_and_not1_b32 vcc_lo, exec_lo, s31
	s_cbranch_vccnz .LBB23_64
; %bb.56:                               ;   in Loop: Header=BB23_9 Depth=1
	s_and_not1_b32 vcc_lo, exec_lo, s35
	s_mov_b32 s24, 0
	s_cbranch_vccnz .LBB23_61
; %bb.57:                               ;   in Loop: Header=BB23_9 Depth=1
	v_mov_b32_e32 v2, 0
	v_mov_b32_e32 v0, v9
	s_mov_b32 s40, 0
	s_mov_b64 s[24:25], s[18:19]
	s_mov_b64 s[26:27], s[0:1]
.LBB23_58:                              ;   Parent Loop BB23_9 Depth=1
                                        ; =>  This Inner Loop Header: Depth=2
	s_clause 0x1
	s_load_b256 s[44:51], s[24:25], 0x4
	s_load_b128 s[52:55], s[24:25], 0x24
	s_load_b128 s[56:59], s[26:27], 0x0
	s_add_u32 s24, s24, 48
	s_addc_u32 s25, s25, 0
	s_add_i32 s40, s40, 4
	s_add_u32 s26, s26, 16
	s_addc_u32 s27, s27, 0
	s_cmp_eq_u32 s36, s40
	s_waitcnt lgkmcnt(0)
	v_mul_hi_u32 v3, s45, v0
	s_delay_alu instid0(VALU_DEP_1) | instskip(NEXT) | instid1(VALU_DEP_1)
	v_add_nc_u32_e32 v3, v0, v3
	v_lshrrev_b32_e32 v3, s46, v3
	s_delay_alu instid0(VALU_DEP_1) | instskip(SKIP_1) | instid1(VALU_DEP_2)
	v_mul_hi_u32 v10, s48, v3
	v_mul_lo_u32 v18, v3, s44
	v_add_nc_u32_e32 v10, v3, v10
	s_delay_alu instid0(VALU_DEP_2) | instskip(NEXT) | instid1(VALU_DEP_2)
	v_sub_nc_u32_e32 v18, v0, v18
	v_lshrrev_b32_e32 v10, s49, v10
	s_delay_alu instid0(VALU_DEP_2) | instskip(NEXT) | instid1(VALU_DEP_2)
	v_mul_lo_u32 v18, v18, s56
	v_mul_hi_u32 v11, s51, v10
	v_mul_lo_u32 v42, v10, s47
	s_delay_alu instid0(VALU_DEP_2) | instskip(NEXT) | instid1(VALU_DEP_2)
	v_add_nc_u32_e32 v11, v10, v11
	v_sub_nc_u32_e32 v3, v3, v42
	s_delay_alu instid0(VALU_DEP_2) | instskip(NEXT) | instid1(VALU_DEP_2)
	v_lshrrev_b32_e32 v11, s52, v11
	v_mul_lo_u32 v3, v3, s57
	s_delay_alu instid0(VALU_DEP_2) | instskip(NEXT) | instid1(VALU_DEP_2)
	v_mul_hi_u32 v12, s54, v11
	v_add3_u32 v2, v18, v2, v3
	s_delay_alu instid0(VALU_DEP_2) | instskip(NEXT) | instid1(VALU_DEP_1)
	v_add_nc_u32_e32 v12, v11, v12
	v_lshrrev_b32_e32 v0, s55, v12
	v_mul_lo_u32 v12, v11, s50
	s_delay_alu instid0(VALU_DEP_2) | instskip(NEXT) | instid1(VALU_DEP_2)
	v_mul_lo_u32 v43, v0, s53
	v_sub_nc_u32_e32 v10, v10, v12
	s_delay_alu instid0(VALU_DEP_2) | instskip(NEXT) | instid1(VALU_DEP_2)
	v_sub_nc_u32_e32 v11, v11, v43
	v_mul_lo_u32 v10, v10, s58
	s_delay_alu instid0(VALU_DEP_2) | instskip(NEXT) | instid1(VALU_DEP_1)
	v_mul_lo_u32 v11, v11, s59
	v_add3_u32 v2, v10, v2, v11
	s_cbranch_scc0 .LBB23_58
; %bb.59:                               ;   in Loop: Header=BB23_9 Depth=1
	s_mov_b32 s24, s36
	s_and_not1_b32 vcc_lo, exec_lo, s38
	s_cbranch_vccz .LBB23_62
	s_branch .LBB23_64
.LBB23_60:                              ;   in Loop: Header=BB23_9 Depth=1
                                        ; implicit-def: $vgpr2
	s_branch .LBB23_65
.LBB23_61:                              ;   in Loop: Header=BB23_9 Depth=1
	v_mov_b32_e32 v0, v9
	s_and_not1_b32 vcc_lo, exec_lo, s38
	s_cbranch_vccnz .LBB23_64
.LBB23_62:                              ;   in Loop: Header=BB23_9 Depth=1
	s_lshl_b32 s25, s24, 2
	s_mul_i32 s26, s24, 12
	s_add_u32 s24, s0, s25
	s_addc_u32 s25, s1, 0
	s_add_u32 s26, s18, s26
	s_addc_u32 s27, s19, 0
	s_mov_b32 s40, s34
	.p2align	6
.LBB23_63:                              ;   Parent Loop BB23_9 Depth=1
                                        ; =>  This Inner Loop Header: Depth=2
	s_clause 0x1
	s_load_b64 s[42:43], s[26:27], 0x4
	s_load_b32 s41, s[26:27], 0xc
	s_add_u32 s26, s26, 12
	s_addc_u32 s27, s27, 0
	s_waitcnt lgkmcnt(0)
	v_mul_hi_u32 v3, s43, v0
	s_load_b32 s43, s[24:25], 0x0
	s_add_u32 s24, s24, 4
	s_addc_u32 s25, s25, 0
	s_add_i32 s40, s40, -1
	s_delay_alu instid0(SALU_CYCLE_1) | instskip(NEXT) | instid1(VALU_DEP_1)
	s_cmp_lg_u32 s40, 0
	v_add_nc_u32_e32 v3, v0, v3
	s_delay_alu instid0(VALU_DEP_1) | instskip(NEXT) | instid1(VALU_DEP_1)
	v_lshrrev_b32_e32 v3, s41, v3
	v_mul_lo_u32 v10, v3, s42
	s_delay_alu instid0(VALU_DEP_1) | instskip(SKIP_1) | instid1(VALU_DEP_1)
	v_sub_nc_u32_e32 v0, v0, v10
	s_waitcnt lgkmcnt(0)
	v_mad_u64_u32 v[10:11], null, v0, s43, v[2:3]
	v_mov_b32_e32 v0, v3
	s_delay_alu instid0(VALU_DEP_2)
	v_mov_b32_e32 v2, v10
	s_cbranch_scc1 .LBB23_63
.LBB23_64:                              ;   in Loop: Header=BB23_9 Depth=1
	s_cbranch_execnz .LBB23_67
.LBB23_65:                              ;   in Loop: Header=BB23_9 Depth=1
	v_mul_hi_u32 v0, v9, s6
	s_and_not1_b32 vcc_lo, exec_lo, s4
	s_delay_alu instid0(VALU_DEP_1) | instskip(NEXT) | instid1(VALU_DEP_1)
	v_add_nc_u32_e32 v0, v0, v9
	v_lshrrev_b32_e32 v0, s7, v0
	s_delay_alu instid0(VALU_DEP_1) | instskip(NEXT) | instid1(VALU_DEP_1)
	v_mul_lo_u32 v2, v0, s5
	v_sub_nc_u32_e32 v2, v9, v2
	s_delay_alu instid0(VALU_DEP_1)
	v_mul_lo_u32 v2, v2, s22
	s_cbranch_vccnz .LBB23_67
; %bb.66:                               ;   in Loop: Header=BB23_9 Depth=1
	v_mul_hi_u32 v3, s9, v0
	s_delay_alu instid0(VALU_DEP_1) | instskip(NEXT) | instid1(VALU_DEP_1)
	v_add_nc_u32_e32 v3, v0, v3
	v_lshrrev_b32_e32 v3, s10, v3
	s_delay_alu instid0(VALU_DEP_1) | instskip(NEXT) | instid1(VALU_DEP_1)
	v_mul_lo_u32 v3, v3, s8
	v_sub_nc_u32_e32 v0, v0, v3
	s_delay_alu instid0(VALU_DEP_1) | instskip(NEXT) | instid1(VALU_DEP_1)
	v_mad_u64_u32 v[9:10], null, v0, s23, v[2:3]
	v_mov_b32_e32 v2, v9
.LBB23_67:                              ;   in Loop: Header=BB23_9 Depth=1
	v_mov_b32_e32 v0, v4
	s_mov_b32 s24, exec_lo
	s_delay_alu instid0(VALU_DEP_1)
	v_cmpx_le_u64_e64 s[14:15], v[0:1]
	s_cbranch_execz .LBB23_69
; %bb.68:                               ;   in Loop: Header=BB23_9 Depth=1
	v_cvt_f32_u32_e32 v3, s14
	s_sub_i32 s25, 0, s14
	s_delay_alu instid0(VALU_DEP_1) | instskip(SKIP_2) | instid1(VALU_DEP_1)
	v_rcp_iflag_f32_e32 v3, v3
	s_waitcnt_depctr 0xfff
	v_mul_f32_e32 v3, 0x4f7ffffe, v3
	v_cvt_u32_f32_e32 v3, v3
	s_delay_alu instid0(VALU_DEP_1) | instskip(NEXT) | instid1(VALU_DEP_1)
	v_mul_lo_u32 v4, s25, v3
	v_mul_hi_u32 v4, v3, v4
	s_delay_alu instid0(VALU_DEP_1) | instskip(NEXT) | instid1(VALU_DEP_1)
	v_add_nc_u32_e32 v3, v3, v4
	v_mul_hi_u32 v3, v0, v3
	s_delay_alu instid0(VALU_DEP_1) | instskip(NEXT) | instid1(VALU_DEP_1)
	v_mul_lo_u32 v3, v3, s14
	v_sub_nc_u32_e32 v0, v0, v3
	s_delay_alu instid0(VALU_DEP_1) | instskip(SKIP_1) | instid1(VALU_DEP_2)
	v_subrev_nc_u32_e32 v3, s14, v0
	v_cmp_le_u32_e32 vcc_lo, s14, v0
	v_cndmask_b32_e32 v0, v0, v3, vcc_lo
	s_delay_alu instid0(VALU_DEP_1) | instskip(SKIP_1) | instid1(VALU_DEP_2)
	v_subrev_nc_u32_e32 v3, s14, v0
	v_cmp_le_u32_e32 vcc_lo, s14, v0
	v_cndmask_b32_e32 v0, v0, v3, vcc_lo
.LBB23_69:                              ;   in Loop: Header=BB23_9 Depth=1
	s_or_b32 exec_lo, exec_lo, s24
	s_delay_alu instid0(VALU_DEP_1) | instskip(SKIP_1) | instid1(VALU_DEP_2)
	v_add_co_u32 v0, vcc_lo, v0, s20
	v_add_co_ci_u32_e32 v3, vcc_lo, s21, v1, vcc_lo
	v_cvt_f64_u32_e32 v[9:10], v0
	s_delay_alu instid0(VALU_DEP_2) | instskip(NEXT) | instid1(VALU_DEP_1)
	v_cvt_f64_i32_e32 v[3:4], v3
	v_ldexp_f64 v[3:4], v[3:4], 32
	s_delay_alu instid0(VALU_DEP_1)
	v_add_f64 v[3:4], v[3:4], v[9:10]
	global_store_b64 v2, v[3:4], s[12:13]
.LBB23_70:                              ;   in Loop: Header=BB23_9 Depth=1
	s_or_b32 exec_lo, exec_lo, s39
	v_add_co_u32 v3, vcc_lo, v15, s37
	v_add_co_ci_u32_e32 v4, vcc_lo, 0, v16, vcc_lo
	s_mov_b32 s39, exec_lo
	s_delay_alu instid0(VALU_DEP_1)
	v_cmpx_gt_i64_e64 s[16:17], v[3:4]
	s_cbranch_execz .LBB23_8
; %bb.71:                               ;   in Loop: Header=BB23_9 Depth=1
	s_and_not1_b32 vcc_lo, exec_lo, s11
	s_cbranch_vccnz .LBB23_77
; %bb.72:                               ;   in Loop: Header=BB23_9 Depth=1
	v_mov_b32_e32 v2, 0
	s_and_not1_b32 vcc_lo, exec_lo, s31
	s_cbranch_vccnz .LBB23_81
; %bb.73:                               ;   in Loop: Header=BB23_9 Depth=1
	s_and_not1_b32 vcc_lo, exec_lo, s35
	s_mov_b32 s24, 0
	s_cbranch_vccnz .LBB23_78
; %bb.74:                               ;   in Loop: Header=BB23_9 Depth=1
	v_mov_b32_e32 v2, 0
	v_mov_b32_e32 v0, v3
	s_mov_b32 s40, 0
	s_mov_b64 s[24:25], s[18:19]
	s_mov_b64 s[26:27], s[0:1]
.LBB23_75:                              ;   Parent Loop BB23_9 Depth=1
                                        ; =>  This Inner Loop Header: Depth=2
	s_clause 0x1
	s_load_b256 s[44:51], s[24:25], 0x4
	s_load_b128 s[52:55], s[24:25], 0x24
	s_load_b128 s[56:59], s[26:27], 0x0
	s_add_u32 s24, s24, 48
	s_addc_u32 s25, s25, 0
	s_add_i32 s40, s40, 4
	s_add_u32 s26, s26, 16
	s_addc_u32 s27, s27, 0
	s_cmp_eq_u32 s36, s40
	s_waitcnt lgkmcnt(0)
	v_mul_hi_u32 v4, s45, v0
	s_delay_alu instid0(VALU_DEP_1) | instskip(NEXT) | instid1(VALU_DEP_1)
	v_add_nc_u32_e32 v4, v0, v4
	v_lshrrev_b32_e32 v4, s46, v4
	s_delay_alu instid0(VALU_DEP_1) | instskip(SKIP_1) | instid1(VALU_DEP_2)
	v_mul_hi_u32 v9, s48, v4
	v_mul_lo_u32 v12, v4, s44
	v_add_nc_u32_e32 v9, v4, v9
	s_delay_alu instid0(VALU_DEP_2) | instskip(NEXT) | instid1(VALU_DEP_2)
	v_sub_nc_u32_e32 v12, v0, v12
	v_lshrrev_b32_e32 v9, s49, v9
	s_delay_alu instid0(VALU_DEP_2) | instskip(NEXT) | instid1(VALU_DEP_2)
	v_mul_lo_u32 v12, v12, s56
	v_mul_hi_u32 v10, s51, v9
	v_mul_lo_u32 v18, v9, s47
	s_delay_alu instid0(VALU_DEP_2) | instskip(NEXT) | instid1(VALU_DEP_2)
	v_add_nc_u32_e32 v10, v9, v10
	v_sub_nc_u32_e32 v4, v4, v18
	s_delay_alu instid0(VALU_DEP_2) | instskip(NEXT) | instid1(VALU_DEP_2)
	v_lshrrev_b32_e32 v10, s52, v10
	v_mul_lo_u32 v4, v4, s57
	s_delay_alu instid0(VALU_DEP_2) | instskip(NEXT) | instid1(VALU_DEP_2)
	v_mul_hi_u32 v11, s54, v10
	v_add3_u32 v2, v12, v2, v4
	s_delay_alu instid0(VALU_DEP_2) | instskip(NEXT) | instid1(VALU_DEP_1)
	v_add_nc_u32_e32 v11, v10, v11
	v_lshrrev_b32_e32 v0, s55, v11
	v_mul_lo_u32 v11, v10, s50
	s_delay_alu instid0(VALU_DEP_2) | instskip(NEXT) | instid1(VALU_DEP_2)
	v_mul_lo_u32 v42, v0, s53
	v_sub_nc_u32_e32 v9, v9, v11
	s_delay_alu instid0(VALU_DEP_2) | instskip(NEXT) | instid1(VALU_DEP_2)
	v_sub_nc_u32_e32 v10, v10, v42
	v_mul_lo_u32 v9, v9, s58
	s_delay_alu instid0(VALU_DEP_2) | instskip(NEXT) | instid1(VALU_DEP_1)
	v_mul_lo_u32 v10, v10, s59
	v_add3_u32 v2, v9, v2, v10
	s_cbranch_scc0 .LBB23_75
; %bb.76:                               ;   in Loop: Header=BB23_9 Depth=1
	s_mov_b32 s24, s36
	s_and_not1_b32 vcc_lo, exec_lo, s38
	s_cbranch_vccz .LBB23_79
	s_branch .LBB23_81
.LBB23_77:                              ;   in Loop: Header=BB23_9 Depth=1
                                        ; implicit-def: $vgpr2
	s_branch .LBB23_82
.LBB23_78:                              ;   in Loop: Header=BB23_9 Depth=1
	v_mov_b32_e32 v0, v3
	s_and_not1_b32 vcc_lo, exec_lo, s38
	s_cbranch_vccnz .LBB23_81
.LBB23_79:                              ;   in Loop: Header=BB23_9 Depth=1
	s_lshl_b32 s25, s24, 2
	s_mul_i32 s26, s24, 12
	s_add_u32 s24, s0, s25
	s_addc_u32 s25, s1, 0
	s_add_u32 s26, s18, s26
	s_addc_u32 s27, s19, 0
	s_mov_b32 s40, s34
	.p2align	6
.LBB23_80:                              ;   Parent Loop BB23_9 Depth=1
                                        ; =>  This Inner Loop Header: Depth=2
	s_clause 0x1
	s_load_b64 s[42:43], s[26:27], 0x4
	s_load_b32 s41, s[26:27], 0xc
	s_add_u32 s26, s26, 12
	s_addc_u32 s27, s27, 0
	s_waitcnt lgkmcnt(0)
	v_mul_hi_u32 v4, s43, v0
	s_load_b32 s43, s[24:25], 0x0
	s_add_u32 s24, s24, 4
	s_addc_u32 s25, s25, 0
	s_add_i32 s40, s40, -1
	s_delay_alu instid0(SALU_CYCLE_1) | instskip(NEXT) | instid1(VALU_DEP_1)
	s_cmp_lg_u32 s40, 0
	v_add_nc_u32_e32 v4, v0, v4
	s_delay_alu instid0(VALU_DEP_1) | instskip(NEXT) | instid1(VALU_DEP_1)
	v_lshrrev_b32_e32 v4, s41, v4
	v_mul_lo_u32 v9, v4, s42
	s_delay_alu instid0(VALU_DEP_1) | instskip(SKIP_1) | instid1(VALU_DEP_1)
	v_sub_nc_u32_e32 v0, v0, v9
	s_waitcnt lgkmcnt(0)
	v_mad_u64_u32 v[9:10], null, v0, s43, v[2:3]
	v_mov_b32_e32 v0, v4
	s_delay_alu instid0(VALU_DEP_2)
	v_mov_b32_e32 v2, v9
	s_cbranch_scc1 .LBB23_80
.LBB23_81:                              ;   in Loop: Header=BB23_9 Depth=1
	s_cbranch_execnz .LBB23_84
.LBB23_82:                              ;   in Loop: Header=BB23_9 Depth=1
	v_mul_hi_u32 v0, v3, s6
	s_and_not1_b32 vcc_lo, exec_lo, s4
	s_delay_alu instid0(VALU_DEP_1) | instskip(NEXT) | instid1(VALU_DEP_1)
	v_add_nc_u32_e32 v0, v0, v3
	v_lshrrev_b32_e32 v0, s7, v0
	s_delay_alu instid0(VALU_DEP_1) | instskip(NEXT) | instid1(VALU_DEP_1)
	v_mul_lo_u32 v2, v0, s5
	v_sub_nc_u32_e32 v2, v3, v2
	s_delay_alu instid0(VALU_DEP_1)
	v_mul_lo_u32 v2, v2, s22
	s_cbranch_vccnz .LBB23_84
; %bb.83:                               ;   in Loop: Header=BB23_9 Depth=1
	v_mul_hi_u32 v3, s9, v0
	s_delay_alu instid0(VALU_DEP_1) | instskip(NEXT) | instid1(VALU_DEP_1)
	v_add_nc_u32_e32 v3, v0, v3
	v_lshrrev_b32_e32 v3, s10, v3
	s_delay_alu instid0(VALU_DEP_1) | instskip(NEXT) | instid1(VALU_DEP_1)
	v_mul_lo_u32 v3, v3, s8
	v_sub_nc_u32_e32 v0, v0, v3
	s_delay_alu instid0(VALU_DEP_1) | instskip(NEXT) | instid1(VALU_DEP_1)
	v_mad_u64_u32 v[3:4], null, v0, s23, v[2:3]
	v_mov_b32_e32 v2, v3
.LBB23_84:                              ;   in Loop: Header=BB23_9 Depth=1
	v_mov_b32_e32 v0, v5
	s_mov_b32 s24, exec_lo
	s_delay_alu instid0(VALU_DEP_1)
	v_cmpx_le_u64_e64 s[14:15], v[0:1]
	s_cbranch_execz .LBB23_7
; %bb.85:                               ;   in Loop: Header=BB23_9 Depth=1
	v_cvt_f32_u32_e32 v3, s14
	s_sub_i32 s25, 0, s14
	s_delay_alu instid0(VALU_DEP_1) | instskip(SKIP_2) | instid1(VALU_DEP_1)
	v_rcp_iflag_f32_e32 v3, v3
	s_waitcnt_depctr 0xfff
	v_mul_f32_e32 v3, 0x4f7ffffe, v3
	v_cvt_u32_f32_e32 v3, v3
	s_delay_alu instid0(VALU_DEP_1) | instskip(NEXT) | instid1(VALU_DEP_1)
	v_mul_lo_u32 v4, s25, v3
	v_mul_hi_u32 v4, v3, v4
	s_delay_alu instid0(VALU_DEP_1) | instskip(NEXT) | instid1(VALU_DEP_1)
	v_add_nc_u32_e32 v3, v3, v4
	v_mul_hi_u32 v3, v0, v3
	s_delay_alu instid0(VALU_DEP_1) | instskip(NEXT) | instid1(VALU_DEP_1)
	v_mul_lo_u32 v3, v3, s14
	v_sub_nc_u32_e32 v0, v0, v3
	s_delay_alu instid0(VALU_DEP_1) | instskip(SKIP_1) | instid1(VALU_DEP_2)
	v_subrev_nc_u32_e32 v3, s14, v0
	v_cmp_le_u32_e32 vcc_lo, s14, v0
	v_cndmask_b32_e32 v0, v0, v3, vcc_lo
	s_delay_alu instid0(VALU_DEP_1) | instskip(SKIP_1) | instid1(VALU_DEP_2)
	v_subrev_nc_u32_e32 v3, s14, v0
	v_cmp_le_u32_e32 vcc_lo, s14, v0
	v_cndmask_b32_e32 v0, v0, v3, vcc_lo
	s_branch .LBB23_7
.LBB23_86:
	s_endpgm
.LBB23_87:
                                        ; implicit-def: $sgpr2_sgpr3
	s_branch .LBB23_4
	.section	.rodata,"a",@progbits
	.p2align	6, 0x0
	.amdhsa_kernel _ZN2at6native12_GLOBAL__N_143distribution_elementwise_grid_stride_kernelIjLi4EZZZNS0_9templates4cuda21random_from_to_kernelIPNS_17CUDAGeneratorImplEEEvRNS_18TensorIteratorBaseEmlT_ENKUlvE_clEvENKUlvE4_clEvEUlP25hiprandStatePhilox4_32_10E0_ZNS1_27distribution_nullary_kernelIdj15HIP_vector_typeIjLj4EES7_SF_ZZZNS5_IS7_EEvS9_mlSA_ENKSB_clEvENKSC_clEvEUljE_EEvS9_T2_RKT3_T4_EUlijE0_EEvlNS_15PhiloxCudaStateET1_SK_
		.amdhsa_group_segment_fixed_size 0
		.amdhsa_private_segment_fixed_size 0
		.amdhsa_kernarg_size 592
		.amdhsa_user_sgpr_count 15
		.amdhsa_user_sgpr_dispatch_ptr 0
		.amdhsa_user_sgpr_queue_ptr 0
		.amdhsa_user_sgpr_kernarg_segment_ptr 1
		.amdhsa_user_sgpr_dispatch_id 0
		.amdhsa_user_sgpr_private_segment_size 0
		.amdhsa_wavefront_size32 1
		.amdhsa_uses_dynamic_stack 0
		.amdhsa_enable_private_segment 0
		.amdhsa_system_sgpr_workgroup_id_x 1
		.amdhsa_system_sgpr_workgroup_id_y 0
		.amdhsa_system_sgpr_workgroup_id_z 0
		.amdhsa_system_sgpr_workgroup_info 0
		.amdhsa_system_vgpr_workitem_id 0
		.amdhsa_next_free_vgpr 45
		.amdhsa_next_free_sgpr 60
		.amdhsa_reserve_vcc 1
		.amdhsa_float_round_mode_32 0
		.amdhsa_float_round_mode_16_64 0
		.amdhsa_float_denorm_mode_32 3
		.amdhsa_float_denorm_mode_16_64 3
		.amdhsa_dx10_clamp 1
		.amdhsa_ieee_mode 1
		.amdhsa_fp16_overflow 0
		.amdhsa_workgroup_processor_mode 1
		.amdhsa_memory_ordered 1
		.amdhsa_forward_progress 0
		.amdhsa_shared_vgpr_count 0
		.amdhsa_exception_fp_ieee_invalid_op 0
		.amdhsa_exception_fp_denorm_src 0
		.amdhsa_exception_fp_ieee_div_zero 0
		.amdhsa_exception_fp_ieee_overflow 0
		.amdhsa_exception_fp_ieee_underflow 0
		.amdhsa_exception_fp_ieee_inexact 0
		.amdhsa_exception_int_div_zero 0
	.end_amdhsa_kernel
	.section	.text._ZN2at6native12_GLOBAL__N_143distribution_elementwise_grid_stride_kernelIjLi4EZZZNS0_9templates4cuda21random_from_to_kernelIPNS_17CUDAGeneratorImplEEEvRNS_18TensorIteratorBaseEmlT_ENKUlvE_clEvENKUlvE4_clEvEUlP25hiprandStatePhilox4_32_10E0_ZNS1_27distribution_nullary_kernelIdj15HIP_vector_typeIjLj4EES7_SF_ZZZNS5_IS7_EEvS9_mlSA_ENKSB_clEvENKSC_clEvEUljE_EEvS9_T2_RKT3_T4_EUlijE0_EEvlNS_15PhiloxCudaStateET1_SK_,"axG",@progbits,_ZN2at6native12_GLOBAL__N_143distribution_elementwise_grid_stride_kernelIjLi4EZZZNS0_9templates4cuda21random_from_to_kernelIPNS_17CUDAGeneratorImplEEEvRNS_18TensorIteratorBaseEmlT_ENKUlvE_clEvENKUlvE4_clEvEUlP25hiprandStatePhilox4_32_10E0_ZNS1_27distribution_nullary_kernelIdj15HIP_vector_typeIjLj4EES7_SF_ZZZNS5_IS7_EEvS9_mlSA_ENKSB_clEvENKSC_clEvEUljE_EEvS9_T2_RKT3_T4_EUlijE0_EEvlNS_15PhiloxCudaStateET1_SK_,comdat
.Lfunc_end23:
	.size	_ZN2at6native12_GLOBAL__N_143distribution_elementwise_grid_stride_kernelIjLi4EZZZNS0_9templates4cuda21random_from_to_kernelIPNS_17CUDAGeneratorImplEEEvRNS_18TensorIteratorBaseEmlT_ENKUlvE_clEvENKUlvE4_clEvEUlP25hiprandStatePhilox4_32_10E0_ZNS1_27distribution_nullary_kernelIdj15HIP_vector_typeIjLj4EES7_SF_ZZZNS5_IS7_EEvS9_mlSA_ENKSB_clEvENKSC_clEvEUljE_EEvS9_T2_RKT3_T4_EUlijE0_EEvlNS_15PhiloxCudaStateET1_SK_, .Lfunc_end23-_ZN2at6native12_GLOBAL__N_143distribution_elementwise_grid_stride_kernelIjLi4EZZZNS0_9templates4cuda21random_from_to_kernelIPNS_17CUDAGeneratorImplEEEvRNS_18TensorIteratorBaseEmlT_ENKUlvE_clEvENKUlvE4_clEvEUlP25hiprandStatePhilox4_32_10E0_ZNS1_27distribution_nullary_kernelIdj15HIP_vector_typeIjLj4EES7_SF_ZZZNS5_IS7_EEvS9_mlSA_ENKSB_clEvENKSC_clEvEUljE_EEvS9_T2_RKT3_T4_EUlijE0_EEvlNS_15PhiloxCudaStateET1_SK_
                                        ; -- End function
	.section	.AMDGPU.csdata,"",@progbits
; Kernel info:
; codeLenInByte = 5908
; NumSgprs: 62
; NumVgprs: 45
; ScratchSize: 0
; MemoryBound: 0
; FloatMode: 240
; IeeeMode: 1
; LDSByteSize: 0 bytes/workgroup (compile time only)
; SGPRBlocks: 7
; VGPRBlocks: 5
; NumSGPRsForWavesPerEU: 62
; NumVGPRsForWavesPerEU: 45
; Occupancy: 16
; WaveLimiterHint : 1
; COMPUTE_PGM_RSRC2:SCRATCH_EN: 0
; COMPUTE_PGM_RSRC2:USER_SGPR: 15
; COMPUTE_PGM_RSRC2:TRAP_HANDLER: 0
; COMPUTE_PGM_RSRC2:TGID_X_EN: 1
; COMPUTE_PGM_RSRC2:TGID_Y_EN: 0
; COMPUTE_PGM_RSRC2:TGID_Z_EN: 0
; COMPUTE_PGM_RSRC2:TIDIG_COMP_CNT: 0
	.section	.text._ZN2at6native12_GLOBAL__N_143distribution_elementwise_grid_stride_kernelImLi2EZZZNS0_9templates4cuda21random_from_to_kernelIPNS_17CUDAGeneratorImplEEEvRNS_18TensorIteratorBaseEmlT_ENKUlvE_clEvENKUlvE5_clEvEUlP25hiprandStatePhilox4_32_10E_ZNS1_27distribution_nullary_kernelIfm15HIP_vector_typeIyLj2EES7_SF_ZZZNS5_IS7_EEvS9_mlSA_ENKSB_clEvENKSC_clEvEUlmE_EEvS9_T2_RKT3_T4_EUlimE_EEvlNS_15PhiloxCudaStateET1_SK_,"axG",@progbits,_ZN2at6native12_GLOBAL__N_143distribution_elementwise_grid_stride_kernelImLi2EZZZNS0_9templates4cuda21random_from_to_kernelIPNS_17CUDAGeneratorImplEEEvRNS_18TensorIteratorBaseEmlT_ENKUlvE_clEvENKUlvE5_clEvEUlP25hiprandStatePhilox4_32_10E_ZNS1_27distribution_nullary_kernelIfm15HIP_vector_typeIyLj2EES7_SF_ZZZNS5_IS7_EEvS9_mlSA_ENKSB_clEvENKSC_clEvEUlmE_EEvS9_T2_RKT3_T4_EUlimE_EEvlNS_15PhiloxCudaStateET1_SK_,comdat
	.globl	_ZN2at6native12_GLOBAL__N_143distribution_elementwise_grid_stride_kernelImLi2EZZZNS0_9templates4cuda21random_from_to_kernelIPNS_17CUDAGeneratorImplEEEvRNS_18TensorIteratorBaseEmlT_ENKUlvE_clEvENKUlvE5_clEvEUlP25hiprandStatePhilox4_32_10E_ZNS1_27distribution_nullary_kernelIfm15HIP_vector_typeIyLj2EES7_SF_ZZZNS5_IS7_EEvS9_mlSA_ENKSB_clEvENKSC_clEvEUlmE_EEvS9_T2_RKT3_T4_EUlimE_EEvlNS_15PhiloxCudaStateET1_SK_ ; -- Begin function _ZN2at6native12_GLOBAL__N_143distribution_elementwise_grid_stride_kernelImLi2EZZZNS0_9templates4cuda21random_from_to_kernelIPNS_17CUDAGeneratorImplEEEvRNS_18TensorIteratorBaseEmlT_ENKUlvE_clEvENKUlvE5_clEvEUlP25hiprandStatePhilox4_32_10E_ZNS1_27distribution_nullary_kernelIfm15HIP_vector_typeIyLj2EES7_SF_ZZZNS5_IS7_EEvS9_mlSA_ENKSB_clEvENKSC_clEvEUlmE_EEvS9_T2_RKT3_T4_EUlimE_EEvlNS_15PhiloxCudaStateET1_SK_
	.p2align	8
	.type	_ZN2at6native12_GLOBAL__N_143distribution_elementwise_grid_stride_kernelImLi2EZZZNS0_9templates4cuda21random_from_to_kernelIPNS_17CUDAGeneratorImplEEEvRNS_18TensorIteratorBaseEmlT_ENKUlvE_clEvENKUlvE5_clEvEUlP25hiprandStatePhilox4_32_10E_ZNS1_27distribution_nullary_kernelIfm15HIP_vector_typeIyLj2EES7_SF_ZZZNS5_IS7_EEvS9_mlSA_ENKSB_clEvENKSC_clEvEUlmE_EEvS9_T2_RKT3_T4_EUlimE_EEvlNS_15PhiloxCudaStateET1_SK_,@function
_ZN2at6native12_GLOBAL__N_143distribution_elementwise_grid_stride_kernelImLi2EZZZNS0_9templates4cuda21random_from_to_kernelIPNS_17CUDAGeneratorImplEEEvRNS_18TensorIteratorBaseEmlT_ENKUlvE_clEvENKUlvE5_clEvEUlP25hiprandStatePhilox4_32_10E_ZNS1_27distribution_nullary_kernelIfm15HIP_vector_typeIyLj2EES7_SF_ZZZNS5_IS7_EEvS9_mlSA_ENKSB_clEvENKSC_clEvEUlmE_EEvS9_T2_RKT3_T4_EUlimE_EEvlNS_15PhiloxCudaStateET1_SK_: ; @_ZN2at6native12_GLOBAL__N_143distribution_elementwise_grid_stride_kernelImLi2EZZZNS0_9templates4cuda21random_from_to_kernelIPNS_17CUDAGeneratorImplEEEvRNS_18TensorIteratorBaseEmlT_ENKUlvE_clEvENKUlvE5_clEvEUlP25hiprandStatePhilox4_32_10E_ZNS1_27distribution_nullary_kernelIfm15HIP_vector_typeIyLj2EES7_SF_ZZZNS5_IS7_EEvS9_mlSA_ENKSB_clEvENKSC_clEvEUlmE_EEvS9_T2_RKT3_T4_EUlimE_EEvlNS_15PhiloxCudaStateET1_SK_
; %bb.0:
	s_clause 0x2
	s_load_b64 s[8:9], s[0:1], 0x10
	s_load_b128 s[4:7], s[0:1], 0x0
	s_load_b32 s2, s[0:1], 0x20
	s_waitcnt lgkmcnt(0)
	v_dual_mov_b32 v2, s8 :: v_dual_mov_b32 v3, s9
	v_dual_mov_b32 v9, s7 :: v_dual_mov_b32 v8, s6
	s_bitcmp0_b32 s2, 0
	s_mov_b32 s2, 0
	s_cbranch_scc1 .LBB24_2
; %bb.1:
	v_dual_mov_b32 v1, s8 :: v_dual_mov_b32 v2, s9
	v_dual_mov_b32 v4, s6 :: v_dual_mov_b32 v5, s7
	s_load_b64 s[6:7], s[0:1], 0x18
	flat_load_b64 v[2:3], v[1:2]
	flat_load_b64 v[8:9], v[4:5]
	s_waitcnt vmcnt(1) lgkmcnt(0)
	v_add_co_u32 v2, vcc_lo, v2, s6
	v_add_co_ci_u32_e32 v3, vcc_lo, s7, v3, vcc_lo
.LBB24_2:
	s_clause 0x1
	s_load_b32 s3, s[0:1], 0x5c
	s_load_b32 s16, s[0:1], 0x50
	s_waitcnt lgkmcnt(0)
	s_and_b32 s14, s3, 0xffff
	s_add_u32 s6, s4, -1
	s_mul_i32 s12, s16, s14
	s_addc_u32 s3, s5, -1
	s_lshl_b32 s13, s12, 1
	s_cmp_lg_u64 s[2:3], 0
	s_cbranch_scc0 .LBB24_31
; %bb.3:
	v_cvt_f32_ubyte0_e32 v1, 0
	v_cvt_f32_u32_e32 v4, s13
	s_sub_u32 s8, 0, s13
	s_subb_u32 s9, 0, 0
	s_delay_alu instid0(VALU_DEP_1) | instskip(NEXT) | instid1(VALU_DEP_1)
	v_fmamk_f32 v1, v1, 0x4f800000, v4
	v_rcp_f32_e32 v1, v1
	s_waitcnt_depctr 0xfff
	v_mul_f32_e32 v1, 0x5f7ffffc, v1
	s_delay_alu instid0(VALU_DEP_1) | instskip(NEXT) | instid1(VALU_DEP_1)
	v_mul_f32_e32 v4, 0x2f800000, v1
	v_trunc_f32_e32 v4, v4
	s_delay_alu instid0(VALU_DEP_1) | instskip(SKIP_1) | instid1(VALU_DEP_2)
	v_fmamk_f32 v1, v4, 0xcf800000, v1
	v_cvt_u32_f32_e32 v4, v4
	v_cvt_u32_f32_e32 v1, v1
	s_delay_alu instid0(VALU_DEP_2) | instskip(NEXT) | instid1(VALU_DEP_2)
	v_readfirstlane_b32 s2, v4
	v_readfirstlane_b32 s7, v1
	s_delay_alu instid0(VALU_DEP_2) | instskip(NEXT) | instid1(VALU_DEP_1)
	s_mul_i32 s10, s8, s2
	s_mul_hi_u32 s17, s8, s7
	s_mul_i32 s11, s9, s7
	s_add_i32 s10, s17, s10
	s_mul_i32 s18, s8, s7
	s_add_i32 s10, s10, s11
	s_mul_hi_u32 s17, s7, s18
	s_mul_hi_u32 s19, s2, s18
	s_mul_i32 s11, s2, s18
	s_mul_hi_u32 s18, s7, s10
	s_mul_i32 s7, s7, s10
	s_mul_hi_u32 s20, s2, s10
	s_add_u32 s7, s17, s7
	s_addc_u32 s17, 0, s18
	s_add_u32 s7, s7, s11
	s_mul_i32 s10, s2, s10
	s_addc_u32 s7, s17, s19
	s_addc_u32 s11, s20, 0
	s_add_u32 s7, s7, s10
	s_addc_u32 s10, 0, s11
	v_add_co_u32 v1, s7, v1, s7
	s_delay_alu instid0(VALU_DEP_1) | instskip(SKIP_1) | instid1(VALU_DEP_1)
	s_cmp_lg_u32 s7, 0
	s_addc_u32 s2, s2, s10
	v_readfirstlane_b32 s7, v1
	s_mul_i32 s10, s8, s2
	s_delay_alu instid0(VALU_DEP_1)
	s_mul_hi_u32 s11, s8, s7
	s_mul_i32 s9, s9, s7
	s_add_i32 s10, s11, s10
	s_mul_i32 s8, s8, s7
	s_add_i32 s10, s10, s9
	s_mul_hi_u32 s11, s2, s8
	s_mul_i32 s17, s2, s8
	s_mul_hi_u32 s8, s7, s8
	s_mul_hi_u32 s18, s7, s10
	s_mul_i32 s7, s7, s10
	s_mul_hi_u32 s9, s2, s10
	s_add_u32 s7, s8, s7
	s_addc_u32 s8, 0, s18
	s_add_u32 s7, s7, s17
	s_mul_i32 s10, s2, s10
	s_addc_u32 s7, s8, s11
	s_addc_u32 s8, s9, 0
	s_add_u32 s7, s7, s10
	s_addc_u32 s8, 0, s8
	v_add_co_u32 v1, s7, v1, s7
	s_delay_alu instid0(VALU_DEP_1) | instskip(SKIP_2) | instid1(VALU_DEP_1)
	s_cmp_lg_u32 s7, 0
	s_addc_u32 s7, s2, s8
	s_ashr_i32 s8, s3, 31
	v_readfirstlane_b32 s10, v1
	s_add_u32 s2, s6, s8
	s_mov_b32 s9, s8
	s_addc_u32 s3, s3, s8
	s_delay_alu instid0(SALU_CYCLE_1) | instskip(NEXT) | instid1(SALU_CYCLE_1)
	s_xor_b64 s[2:3], s[2:3], s[8:9]
	s_mul_i32 s17, s2, s7
	s_mul_hi_u32 s18, s2, s10
	s_mul_hi_u32 s11, s2, s7
	;; [unrolled: 1-line block ×3, first 2 shown]
	s_mul_i32 s10, s3, s10
	s_add_u32 s17, s18, s17
	s_addc_u32 s11, 0, s11
	s_mul_hi_u32 s19, s3, s7
	s_add_u32 s10, s17, s10
	s_mul_i32 s7, s3, s7
	s_addc_u32 s10, s11, s20
	s_addc_u32 s11, s19, 0
	s_add_u32 s7, s10, s7
	s_addc_u32 s10, 0, s11
	s_mul_i32 s17, s13, s7
	s_add_u32 s11, s7, 1
	v_sub_co_u32 v1, s2, s2, s17
	s_mul_hi_u32 s17, s13, s7
	s_addc_u32 s18, s10, 0
	s_mul_i32 s19, s13, s10
	s_delay_alu instid0(VALU_DEP_1)
	v_sub_co_u32 v4, s20, v1, s13
	s_add_u32 s21, s7, 2
	s_addc_u32 s22, s10, 0
	s_add_i32 s17, s17, s19
	s_cmp_lg_u32 s2, 0
	v_readfirstlane_b32 s2, v4
	s_subb_u32 s3, s3, s17
	s_cmp_lg_u32 s20, 0
	s_subb_u32 s17, s3, 0
	s_delay_alu instid0(VALU_DEP_1) | instskip(SKIP_4) | instid1(SALU_CYCLE_1)
	s_cmp_ge_u32 s2, s13
	s_cselect_b32 s2, -1, 0
	s_cmp_eq_u32 s17, 0
	v_readfirstlane_b32 s17, v1
	s_cselect_b32 s2, s2, -1
	s_cmp_lg_u32 s2, 0
	s_cselect_b32 s2, s21, s11
	s_cselect_b32 s11, s22, s18
	s_cmp_ge_u32 s17, s13
	s_cselect_b32 s17, -1, 0
	s_cmp_eq_u32 s3, 0
	s_cselect_b32 s3, s17, -1
	s_delay_alu instid0(SALU_CYCLE_1) | instskip(SKIP_2) | instid1(SALU_CYCLE_1)
	s_cmp_lg_u32 s3, 0
	s_cselect_b32 s3, s11, s10
	s_cselect_b32 s2, s2, s7
	s_xor_b64 s[2:3], s[2:3], s[8:9]
	s_delay_alu instid0(SALU_CYCLE_1)
	s_sub_u32 s2, s2, s8
	s_subb_u32 s3, s3, s8
	s_cbranch_execnz .LBB24_5
.LBB24_4:
	v_cvt_f32_u32_e32 v1, s13
	s_sub_i32 s3, 0, s13
	s_delay_alu instid0(VALU_DEP_1) | instskip(SKIP_2) | instid1(VALU_DEP_1)
	v_rcp_iflag_f32_e32 v1, v1
	s_waitcnt_depctr 0xfff
	v_mul_f32_e32 v1, 0x4f7ffffe, v1
	v_cvt_u32_f32_e32 v1, v1
	s_delay_alu instid0(VALU_DEP_1) | instskip(NEXT) | instid1(VALU_DEP_1)
	v_readfirstlane_b32 s2, v1
	s_mul_i32 s3, s3, s2
	s_delay_alu instid0(SALU_CYCLE_1) | instskip(NEXT) | instid1(SALU_CYCLE_1)
	s_mul_hi_u32 s3, s2, s3
	s_add_i32 s2, s2, s3
	s_delay_alu instid0(SALU_CYCLE_1) | instskip(NEXT) | instid1(SALU_CYCLE_1)
	s_mul_hi_u32 s2, s6, s2
	s_mul_i32 s3, s2, s13
	s_delay_alu instid0(SALU_CYCLE_1)
	s_sub_i32 s3, s6, s3
	s_add_i32 s6, s2, 1
	s_sub_i32 s7, s3, s13
	s_cmp_ge_u32 s3, s13
	s_cselect_b32 s2, s6, s2
	s_cselect_b32 s3, s7, s3
	s_add_i32 s6, s2, 1
	s_cmp_ge_u32 s3, s13
	s_mov_b32 s3, 0
	s_cselect_b32 s2, s6, s2
.LBB24_5:
	v_mov_b32_e32 v10, 0
	s_add_u32 s2, s2, 1
	s_addc_u32 s3, s3, 0
	s_mul_hi_u32 s6, s16, s14
	s_mul_hi_u32 s7, s12, s2
	v_mov_b32_e32 v1, v10
	s_mul_i32 s3, s12, s3
	s_mul_i32 s6, s6, s2
	s_add_i32 s3, s7, s3
	s_mul_i32 s2, s12, s2
	v_mad_u64_u32 v[12:13], null, s14, s15, v[0:1]
	s_add_i32 s3, s3, s6
	s_mov_b32 s6, exec_lo
	s_lshl_b64 s[2:3], s[2:3], 1
	s_delay_alu instid0(VALU_DEP_1) | instid1(SALU_CYCLE_1)
	v_cmpx_gt_i64_e64 s[2:3], v[12:13]
	s_cbranch_execz .LBB24_30
; %bb.6:
	v_alignbit_b32 v17, v3, v2, 2
	v_mad_u64_u32 v[6:7], null, 0xcd9e8d57, v12, 0
	v_lshrrev_b32_e32 v18, 2, v3
	s_waitcnt vmcnt(0)
	v_mov_b32_e32 v11, v9
	v_mad_u64_u32 v[4:5], null, 0xd2511f53, v17, 0
	v_add_co_u32 v20, null, 0x9e3779b9, v8
	v_xor3_b32 v3, v8, v7, v18
	s_delay_alu instid0(VALU_DEP_4) | instskip(SKIP_2) | instid1(VALU_DEP_4)
	v_add_co_u32 v19, null, 0xbb67ae85, v11
	v_add_co_u32 v21, null, 0x3c6ef372, v8
	v_xor_b32_e32 v1, v5, v9
	v_mad_u64_u32 v[14:15], null, 0xd2511f53, v3, 0
	v_add_co_u32 v22, null, 0x76cf5d0a, v11
	s_delay_alu instid0(VALU_DEP_3) | instskip(SKIP_2) | instid1(VALU_DEP_3)
	v_xor_b32_e32 v1, v1, v13
	v_add_co_u32 v25, null, 0x78dde6e4, v8
	v_add_co_u32 v26, null, 0xed9eba14, v11
	v_mad_u64_u32 v[23:24], null, 0xcd9e8d57, v1, 0
	v_xor3_b32 v1, v19, v15, v4
	v_add_co_u32 v28, null, 0x1715609d, v8
	v_add_co_u32 v30, null, 0x646e171e, v11
	s_delay_alu instid0(VALU_DEP_3) | instskip(SKIP_3) | instid1(VALU_DEP_3)
	v_mad_u64_u32 v[3:4], null, 0xcd9e8d57, v1, 0
	v_xor3_b32 v7, v20, v24, v6
	v_add_co_u32 v24, null, 0xdaa66d2b, v8
	v_add_co_u32 v29, null, 0xb54cda56, v8
	v_mad_u64_u32 v[5:6], null, 0xd2511f53, v7, 0
	v_xor3_b32 v1, v21, v4, v23
	v_add_co_u32 v23, null, 0x32370b8f, v11
	v_add_co_u32 v32, null, 0x5384540f, v8
	s_clause 0x2
	s_load_b64 s[6:7], s[0:1], 0x30
	s_load_b32 s17, s[0:1], 0x38
	s_load_b128 s[8:11], s[0:1], 0x40
	v_xor3_b32 v4, v22, v6, v14
	v_mad_u64_u32 v[6:7], null, 0xd2511f53, v1, 0
	v_add_co_u32 v35, null, 0xf1bbcdc8, v8
	s_delay_alu instid0(VALU_DEP_3) | instskip(SKIP_2) | instid1(VALU_DEP_4)
	v_mad_u64_u32 v[14:15], null, 0xcd9e8d57, v4, 0
	v_mov_b32_e32 v41, v13
	s_mov_b32 s1, 0
	v_xor3_b32 v1, v23, v7, v5
	v_mov_b32_e32 v38, v12
	s_delay_alu instid0(VALU_DEP_4) | instskip(NEXT) | instid1(VALU_DEP_3)
	v_xor3_b32 v5, v24, v15, v3
	v_mad_u64_u32 v[3:4], null, 0xcd9e8d57, v1, 0
	s_delay_alu instid0(VALU_DEP_2) | instskip(SKIP_2) | instid1(VALU_DEP_2)
	v_mad_u64_u32 v[15:16], null, 0xd2511f53, v5, 0
	s_waitcnt lgkmcnt(0)
	s_mul_i32 s0, s16, s17
	v_xor3_b32 v1, v25, v4, v14
	s_mul_i32 s0, s0, s14
	s_delay_alu instid0(VALU_DEP_2) | instskip(NEXT) | instid1(VALU_DEP_2)
	v_xor3_b32 v14, v26, v16, v6
	v_mad_u64_u32 v[4:5], null, 0xd2511f53, v1, 0
	s_delay_alu instid0(VALU_DEP_2) | instskip(NEXT) | instid1(VALU_DEP_1)
	v_mad_u64_u32 v[6:7], null, 0xcd9e8d57, v14, 0
	v_xor3_b32 v3, v28, v7, v3
	s_delay_alu instid0(VALU_DEP_1) | instskip(NEXT) | instid1(VALU_DEP_1)
	v_mad_u64_u32 v[33:34], null, 0xd2511f53, v3, 0
	v_xor3_b32 v7, v30, v34, v4
	v_add_nc_u32_e32 v34, 0x8ff34781, v8
	v_add_co_u32 v27, null, 0xa9066899, v11
	v_add_co_u32 v31, null, 0x1fd5c5a3, v11
	v_add_co_u32 v36, null, 0xdb3d7428, v11
	s_delay_alu instid0(VALU_DEP_3) | instskip(NEXT) | instid1(VALU_DEP_1)
	v_xor3_b32 v1, v27, v5, v15
	v_mad_u64_u32 v[14:15], null, 0xcd9e8d57, v1, 0
	s_delay_alu instid0(VALU_DEP_1) | instskip(SKIP_1) | instid1(VALU_DEP_2)
	v_xor3_b32 v1, v29, v15, v6
	v_mad_u64_u32 v[5:6], null, 0xcd9e8d57, v7, 0
	v_mad_u64_u32 v[3:4], null, 0xd2511f53, v1, 0
	s_delay_alu instid0(VALU_DEP_2) | instskip(NEXT) | instid1(VALU_DEP_2)
	v_xor3_b32 v6, v32, v6, v14
	v_xor3_b32 v4, v31, v4, v33
	v_and_b32_e32 v33, 3, v2
	s_delay_alu instid0(VALU_DEP_3) | instskip(NEXT) | instid1(VALU_DEP_3)
	v_mad_u64_u32 v[14:15], null, 0xd2511f53, v6, 0
	v_mad_u64_u32 v[1:2], null, 0xcd9e8d57, v4, 0
	s_delay_alu instid0(VALU_DEP_1) | instskip(SKIP_1) | instid1(VALU_DEP_2)
	v_mad_u64_u32 v[6:7], null, s15, s14, v[0:1]
	s_add_i32 s15, s15, s16
	v_xor3_b32 v4, v35, v2, v5
	s_delay_alu instid0(VALU_DEP_4) | instskip(SKIP_2) | instid1(VALU_DEP_3)
	v_xor3_b32 v7, v36, v15, v3
	v_mad_u64_u32 v[2:3], null, s15, s14, v[0:1]
	s_lshl_b32 s14, s0, 1
	v_mad_u64_u32 v[15:16], null, 0xd2511f53, v4, 0
	s_delay_alu instid0(VALU_DEP_3)
	v_mad_u64_u32 v[4:5], null, 0xcd9e8d57, v7, 0
	v_add_nc_u32_e32 v37, 0x96a522ad, v9
	v_mul_lo_u32 v39, s17, v6
	v_mul_lo_u32 v40, s17, v2
	s_mov_b32 s15, 0
	v_mov_b32_e32 v6, v15
	v_xor3_b32 v3, v5, v1, v34
	v_xor3_b32 v5, v16, v14, v37
	s_branch .LBB24_9
.LBB24_7:                               ;   in Loop: Header=BB24_9 Depth=1
	s_or_b32 exec_lo, exec_lo, s0
	s_delay_alu instid0(VALU_DEP_1) | instskip(SKIP_1) | instid1(VALU_DEP_1)
	v_add_co_u32 v3, vcc_lo, v15, s10
	v_add_co_ci_u32_e32 v4, vcc_lo, s11, v16, vcc_lo
	v_xor_b32_e32 v5, v3, v4
	v_cls_i32_e32 v6, v4
	s_delay_alu instid0(VALU_DEP_2) | instskip(NEXT) | instid1(VALU_DEP_2)
	v_ashrrev_i32_e32 v5, 31, v5
	v_add_nc_u32_e32 v6, -1, v6
	s_delay_alu instid0(VALU_DEP_2) | instskip(NEXT) | instid1(VALU_DEP_1)
	v_add_nc_u32_e32 v5, 32, v5
	v_min_u32_e32 v5, v6, v5
	v_add_nc_u32_e32 v6, s15, v40
	s_delay_alu instid0(VALU_DEP_2) | instskip(SKIP_1) | instid1(VALU_DEP_2)
	v_lshlrev_b64 v[3:4], v5, v[3:4]
	v_sub_nc_u32_e32 v5, 32, v5
	v_min_u32_e32 v3, 1, v3
	s_delay_alu instid0(VALU_DEP_1) | instskip(SKIP_1) | instid1(VALU_DEP_2)
	v_or_b32_e32 v3, v4, v3
	v_ashrrev_i32_e32 v4, 31, v6
	v_cvt_f32_i32_e32 v7, v3
	v_add_co_u32 v3, vcc_lo, s6, v6
	s_delay_alu instid0(VALU_DEP_3) | instskip(NEXT) | instid1(VALU_DEP_3)
	v_add_co_ci_u32_e32 v4, vcc_lo, s7, v4, vcc_lo
	v_ldexp_f32 v5, v7, v5
	global_store_b32 v[3:4], v5, off
.LBB24_8:                               ;   in Loop: Header=BB24_9 Depth=1
	s_or_b32 exec_lo, exec_lo, s16
	v_add_co_u32 v12, vcc_lo, v12, s13
	v_add_co_ci_u32_e32 v13, vcc_lo, 0, v13, vcc_lo
	v_mov_b32_e32 v3, v14
	s_add_i32 s15, s15, s14
	s_waitcnt_vscnt null, 0x0
	s_delay_alu instid0(VALU_DEP_2)
	v_cmp_le_i64_e32 vcc_lo, s[2:3], v[12:13]
	s_barrier
	v_mov_b32_e32 v6, v3
	v_dual_mov_b32 v5, v2 :: v_dual_mov_b32 v4, v1
	v_mov_b32_e32 v3, v0
	s_or_b32 s1, vcc_lo, s1
	buffer_gl0_inv
	s_and_not1_b32 exec_lo, exec_lo, s1
	s_cbranch_execz .LBB24_30
.LBB24_9:                               ; =>This Inner Loop Header: Depth=1
	v_add_co_u32 v17, vcc_lo, v17, 1
	s_delay_alu instid0(VALU_DEP_1) | instskip(SKIP_2) | instid1(VALU_DEP_1)
	v_cndmask_b32_e64 v0, 0, 1, vcc_lo
	v_add_co_ci_u32_e32 v18, vcc_lo, 0, v18, vcc_lo
	s_mov_b32 s0, exec_lo
	v_cmp_eq_u32_e32 vcc_lo, 0, v18
	s_delay_alu instid0(VALU_DEP_3) | instskip(NEXT) | instid1(VALU_DEP_1)
	v_cndmask_b32_e32 v0, 0, v0, vcc_lo
	v_add_nc_u32_e32 v38, v0, v38
	s_delay_alu instid0(VALU_DEP_1) | instskip(SKIP_2) | instid1(VALU_DEP_2)
	v_cmp_eq_u32_e32 vcc_lo, 0, v38
	v_mad_u64_u32 v[14:15], null, 0xcd9e8d57, v38, 0
	v_cndmask_b32_e32 v0, 0, v0, vcc_lo
	v_xor3_b32 v7, v15, v8, v18
	s_delay_alu instid0(VALU_DEP_2) | instskip(SKIP_1) | instid1(VALU_DEP_1)
	v_add_nc_u32_e32 v41, v0, v41
	v_mad_u64_u32 v[0:1], null, 0xd2511f53, v17, 0
	v_xor_b32_e32 v1, v1, v9
	s_delay_alu instid0(VALU_DEP_1) | instskip(SKIP_1) | instid1(VALU_DEP_2)
	v_xor_b32_e32 v11, v41, v1
	v_mad_u64_u32 v[1:2], null, 0xd2511f53, v7, 0
	v_mad_u64_u32 v[15:16], null, 0xcd9e8d57, v11, 0
	s_delay_alu instid0(VALU_DEP_2) | instskip(NEXT) | instid1(VALU_DEP_2)
	v_xor3_b32 v0, v19, v2, v0
	v_xor3_b32 v2, v20, v16, v14
	s_delay_alu instid0(VALU_DEP_2) | instskip(NEXT) | instid1(VALU_DEP_2)
	v_mad_u64_u32 v[42:43], null, 0xcd9e8d57, v0, 0
	v_mad_u64_u32 v[44:45], null, 0xd2511f53, v2, 0
	s_delay_alu instid0(VALU_DEP_2) | instskip(NEXT) | instid1(VALU_DEP_2)
	v_xor3_b32 v2, v21, v43, v15
	v_xor3_b32 v7, v22, v45, v1
	s_delay_alu instid0(VALU_DEP_2) | instskip(NEXT) | instid1(VALU_DEP_2)
	;; [unrolled: 6-line block ×8, first 2 shown]
	v_mad_u64_u32 v[14:15], null, 0xd2511f53, v0, 0
	v_mad_u64_u32 v[1:2], null, 0xcd9e8d57, v7, 0
	s_delay_alu instid0(VALU_DEP_2) | instskip(NEXT) | instid1(VALU_DEP_2)
	v_xor3_b32 v7, v15, v44, v37
	v_xor3_b32 v0, v2, v42, v34
	s_delay_alu instid0(VALU_DEP_2)
	v_mov_b32_e32 v2, v7
	v_cmpx_lt_i32_e32 1, v33
	s_xor_b32 s0, exec_lo, s0
	s_cbranch_execnz .LBB24_12
; %bb.10:                               ;   in Loop: Header=BB24_9 Depth=1
	s_and_not1_saveexec_b32 s0, s0
	s_cbranch_execnz .LBB24_17
.LBB24_11:                              ;   in Loop: Header=BB24_9 Depth=1
	s_or_b32 exec_lo, exec_lo, s0
	s_delay_alu instid0(SALU_CYCLE_1)
	s_mov_b32 s16, exec_lo
	v_cmpx_gt_i64_e64 s[4:5], v[12:13]
	s_cbranch_execnz .LBB24_20
	s_branch .LBB24_25
.LBB24_12:                              ;   in Loop: Header=BB24_9 Depth=1
	s_mov_b32 s16, exec_lo
	v_cmpx_lt_i32_e32 2, v33
	s_xor_b32 s16, exec_lo, s16
; %bb.13:                               ;   in Loop: Header=BB24_9 Depth=1
	v_dual_mov_b32 v4, v6 :: v_dual_mov_b32 v5, v0
	v_mov_b32_e32 v6, v1
	s_delay_alu instid0(VALU_DEP_2) | instskip(NEXT) | instid1(VALU_DEP_3)
	v_mov_b32_e32 v3, v4
	v_mov_b32_e32 v4, v5
	s_delay_alu instid0(VALU_DEP_3)
	v_mov_b32_e32 v5, v6
	v_mov_b32_e32 v6, v7
; %bb.14:                               ;   in Loop: Header=BB24_9 Depth=1
	s_and_not1_saveexec_b32 s16, s16
; %bb.15:                               ;   in Loop: Header=BB24_9 Depth=1
	s_delay_alu instid0(VALU_DEP_1)
	v_dual_mov_b32 v3, v5 :: v_dual_mov_b32 v4, v6
	v_dual_mov_b32 v5, v0 :: v_dual_mov_b32 v6, v1
; %bb.16:                               ;   in Loop: Header=BB24_9 Depth=1
	s_or_b32 exec_lo, exec_lo, s16
	s_and_not1_saveexec_b32 s0, s0
	s_cbranch_execz .LBB24_11
.LBB24_17:                              ;   in Loop: Header=BB24_9 Depth=1
	s_mov_b32 s16, exec_lo
	v_cmpx_eq_u32_e32 1, v33
; %bb.18:                               ;   in Loop: Header=BB24_9 Depth=1
	v_dual_mov_b32 v3, v4 :: v_dual_mov_b32 v4, v5
	v_dual_mov_b32 v5, v6 :: v_dual_mov_b32 v6, v0
; %bb.19:                               ;   in Loop: Header=BB24_9 Depth=1
	s_or_b32 exec_lo, exec_lo, s16
	s_delay_alu instid0(SALU_CYCLE_1) | instskip(NEXT) | instid1(SALU_CYCLE_1)
	s_or_b32 exec_lo, exec_lo, s0
	s_mov_b32 s16, exec_lo
	v_cmpx_gt_i64_e64 s[4:5], v[12:13]
	s_cbranch_execz .LBB24_25
.LBB24_20:                              ;   in Loop: Header=BB24_9 Depth=1
	v_or_b32_e32 v11, s9, v3
                                        ; implicit-def: $vgpr15_vgpr16
	s_mov_b32 s0, exec_lo
	s_delay_alu instid0(VALU_DEP_1)
	v_cmpx_ne_u64_e32 0, v[10:11]
	s_xor_b32 s17, exec_lo, s0
	s_cbranch_execz .LBB24_22
; %bb.21:                               ;   in Loop: Header=BB24_9 Depth=1
	v_cvt_f32_u32_e32 v7, s8
	v_cvt_f32_u32_e32 v11, s9
	s_sub_u32 s0, 0, s8
	s_subb_u32 s18, 0, s9
	s_delay_alu instid0(VALU_DEP_1) | instskip(NEXT) | instid1(VALU_DEP_1)
	v_fmac_f32_e32 v7, 0x4f800000, v11
	v_rcp_f32_e32 v7, v7
	s_waitcnt_depctr 0xfff
	v_mul_f32_e32 v7, 0x5f7ffffc, v7
	s_delay_alu instid0(VALU_DEP_1) | instskip(NEXT) | instid1(VALU_DEP_1)
	v_mul_f32_e32 v11, 0x2f800000, v7
	v_trunc_f32_e32 v11, v11
	s_delay_alu instid0(VALU_DEP_1) | instskip(SKIP_1) | instid1(VALU_DEP_2)
	v_fmac_f32_e32 v7, 0xcf800000, v11
	v_cvt_u32_f32_e32 v11, v11
	v_cvt_u32_f32_e32 v7, v7
	s_delay_alu instid0(VALU_DEP_2) | instskip(NEXT) | instid1(VALU_DEP_2)
	v_mul_lo_u32 v15, s0, v11
	v_mul_hi_u32 v16, s0, v7
	v_mul_lo_u32 v42, s18, v7
	s_delay_alu instid0(VALU_DEP_2) | instskip(SKIP_1) | instid1(VALU_DEP_2)
	v_add_nc_u32_e32 v15, v16, v15
	v_mul_lo_u32 v16, s0, v7
	v_add_nc_u32_e32 v15, v15, v42
	s_delay_alu instid0(VALU_DEP_2) | instskip(NEXT) | instid1(VALU_DEP_2)
	v_mul_hi_u32 v42, v7, v16
	v_mul_lo_u32 v43, v7, v15
	v_mul_hi_u32 v44, v7, v15
	v_mul_hi_u32 v45, v11, v16
	v_mul_lo_u32 v16, v11, v16
	v_mul_hi_u32 v46, v11, v15
	v_mul_lo_u32 v15, v11, v15
	v_add_co_u32 v42, vcc_lo, v42, v43
	v_add_co_ci_u32_e32 v43, vcc_lo, 0, v44, vcc_lo
	s_delay_alu instid0(VALU_DEP_2) | instskip(NEXT) | instid1(VALU_DEP_2)
	v_add_co_u32 v16, vcc_lo, v42, v16
	v_add_co_ci_u32_e32 v16, vcc_lo, v43, v45, vcc_lo
	v_add_co_ci_u32_e32 v42, vcc_lo, 0, v46, vcc_lo
	s_delay_alu instid0(VALU_DEP_2) | instskip(NEXT) | instid1(VALU_DEP_2)
	v_add_co_u32 v15, vcc_lo, v16, v15
	v_add_co_ci_u32_e32 v16, vcc_lo, 0, v42, vcc_lo
	s_delay_alu instid0(VALU_DEP_2) | instskip(NEXT) | instid1(VALU_DEP_2)
	v_add_co_u32 v7, vcc_lo, v7, v15
	v_add_co_ci_u32_e32 v11, vcc_lo, v11, v16, vcc_lo
	s_delay_alu instid0(VALU_DEP_2) | instskip(SKIP_1) | instid1(VALU_DEP_3)
	v_mul_hi_u32 v15, s0, v7
	v_mul_lo_u32 v42, s18, v7
	v_mul_lo_u32 v16, s0, v11
	s_delay_alu instid0(VALU_DEP_1) | instskip(SKIP_1) | instid1(VALU_DEP_2)
	v_add_nc_u32_e32 v15, v15, v16
	v_mul_lo_u32 v16, s0, v7
	v_add_nc_u32_e32 v15, v15, v42
	s_delay_alu instid0(VALU_DEP_2) | instskip(NEXT) | instid1(VALU_DEP_2)
	v_mul_hi_u32 v42, v7, v16
	v_mul_lo_u32 v43, v7, v15
	v_mul_hi_u32 v44, v7, v15
	v_mul_hi_u32 v45, v11, v16
	v_mul_lo_u32 v16, v11, v16
	v_mul_hi_u32 v46, v11, v15
	v_mul_lo_u32 v15, v11, v15
	v_add_co_u32 v42, vcc_lo, v42, v43
	v_add_co_ci_u32_e32 v43, vcc_lo, 0, v44, vcc_lo
	s_delay_alu instid0(VALU_DEP_2) | instskip(NEXT) | instid1(VALU_DEP_2)
	v_add_co_u32 v16, vcc_lo, v42, v16
	v_add_co_ci_u32_e32 v16, vcc_lo, v43, v45, vcc_lo
	v_add_co_ci_u32_e32 v42, vcc_lo, 0, v46, vcc_lo
	s_delay_alu instid0(VALU_DEP_2) | instskip(NEXT) | instid1(VALU_DEP_2)
	v_add_co_u32 v15, vcc_lo, v16, v15
	v_add_co_ci_u32_e32 v16, vcc_lo, 0, v42, vcc_lo
	s_delay_alu instid0(VALU_DEP_2) | instskip(NEXT) | instid1(VALU_DEP_2)
	v_add_co_u32 v7, vcc_lo, v7, v15
	v_add_co_ci_u32_e32 v11, vcc_lo, v11, v16, vcc_lo
	s_delay_alu instid0(VALU_DEP_2) | instskip(SKIP_1) | instid1(VALU_DEP_3)
	v_mul_hi_u32 v46, v4, v7
	v_mad_u64_u32 v[42:43], null, v3, v7, 0
	v_mad_u64_u32 v[15:16], null, v4, v11, 0
	;; [unrolled: 1-line block ×3, first 2 shown]
	s_delay_alu instid0(VALU_DEP_2) | instskip(NEXT) | instid1(VALU_DEP_3)
	v_add_co_u32 v7, vcc_lo, v46, v15
	v_add_co_ci_u32_e32 v11, vcc_lo, 0, v16, vcc_lo
	s_delay_alu instid0(VALU_DEP_2) | instskip(NEXT) | instid1(VALU_DEP_2)
	v_add_co_u32 v7, vcc_lo, v7, v42
	v_add_co_ci_u32_e32 v7, vcc_lo, v11, v43, vcc_lo
	v_add_co_ci_u32_e32 v11, vcc_lo, 0, v45, vcc_lo
	s_delay_alu instid0(VALU_DEP_2) | instskip(NEXT) | instid1(VALU_DEP_2)
	v_add_co_u32 v7, vcc_lo, v7, v44
	v_add_co_ci_u32_e32 v11, vcc_lo, 0, v11, vcc_lo
	s_delay_alu instid0(VALU_DEP_2) | instskip(SKIP_1) | instid1(VALU_DEP_3)
	v_mul_lo_u32 v42, s9, v7
	v_mad_u64_u32 v[15:16], null, s8, v7, 0
	v_mul_lo_u32 v7, s8, v11
	s_delay_alu instid0(VALU_DEP_2) | instskip(NEXT) | instid1(VALU_DEP_2)
	v_sub_co_u32 v15, vcc_lo, v4, v15
	v_add3_u32 v7, v16, v7, v42
	s_delay_alu instid0(VALU_DEP_1) | instskip(NEXT) | instid1(VALU_DEP_1)
	v_sub_nc_u32_e32 v11, v3, v7
	v_subrev_co_ci_u32_e64 v11, s0, s9, v11, vcc_lo
	v_sub_co_ci_u32_e32 v3, vcc_lo, v3, v7, vcc_lo
	v_sub_co_u32 v7, vcc_lo, v15, s8
	s_delay_alu instid0(VALU_DEP_1) | instskip(SKIP_3) | instid1(VALU_DEP_3)
	v_subrev_co_ci_u32_e64 v16, s0, 0, v11, vcc_lo
	v_cmp_le_u32_e64 s0, s8, v15
	v_subrev_co_ci_u32_e32 v11, vcc_lo, s9, v11, vcc_lo
	v_cmp_le_u32_e32 vcc_lo, s9, v3
	v_cndmask_b32_e64 v42, 0, -1, s0
	v_cmp_le_u32_e64 s0, s8, v7
	v_cndmask_b32_e64 v45, 0, -1, vcc_lo
	v_cmp_eq_u32_e32 vcc_lo, s9, v16
	s_delay_alu instid0(VALU_DEP_3) | instskip(SKIP_1) | instid1(VALU_DEP_1)
	v_cndmask_b32_e64 v43, 0, -1, s0
	v_cmp_le_u32_e64 s0, s9, v16
	v_cndmask_b32_e64 v44, 0, -1, s0
	v_cmp_eq_u32_e64 s0, s9, v3
	s_delay_alu instid0(VALU_DEP_2) | instskip(SKIP_2) | instid1(VALU_DEP_3)
	v_cndmask_b32_e32 v43, v44, v43, vcc_lo
	v_sub_co_u32 v44, vcc_lo, v7, s8
	v_subrev_co_ci_u32_e32 v11, vcc_lo, 0, v11, vcc_lo
	v_cmp_ne_u32_e32 vcc_lo, 0, v43
	v_cndmask_b32_e64 v42, v45, v42, s0
	s_delay_alu instid0(VALU_DEP_3) | instskip(SKIP_1) | instid1(VALU_DEP_3)
	v_cndmask_b32_e32 v11, v16, v11, vcc_lo
	v_cndmask_b32_e32 v7, v7, v44, vcc_lo
	v_cmp_ne_u32_e32 vcc_lo, 0, v42
	s_delay_alu instid0(VALU_DEP_3) | instskip(NEXT) | instid1(VALU_DEP_3)
	v_cndmask_b32_e32 v16, v3, v11, vcc_lo
	v_cndmask_b32_e32 v15, v15, v7, vcc_lo
.LBB24_22:                              ;   in Loop: Header=BB24_9 Depth=1
	s_and_not1_saveexec_b32 s0, s17
	s_cbranch_execz .LBB24_24
; %bb.23:                               ;   in Loop: Header=BB24_9 Depth=1
	v_cvt_f32_u32_e32 v3, s8
	s_sub_i32 s17, 0, s8
	v_mov_b32_e32 v16, v10
	s_delay_alu instid0(VALU_DEP_2) | instskip(SKIP_2) | instid1(VALU_DEP_1)
	v_rcp_iflag_f32_e32 v3, v3
	s_waitcnt_depctr 0xfff
	v_mul_f32_e32 v3, 0x4f7ffffe, v3
	v_cvt_u32_f32_e32 v3, v3
	s_delay_alu instid0(VALU_DEP_1) | instskip(NEXT) | instid1(VALU_DEP_1)
	v_mul_lo_u32 v7, s17, v3
	v_mul_hi_u32 v7, v3, v7
	s_delay_alu instid0(VALU_DEP_1) | instskip(NEXT) | instid1(VALU_DEP_1)
	v_add_nc_u32_e32 v3, v3, v7
	v_mul_hi_u32 v3, v4, v3
	s_delay_alu instid0(VALU_DEP_1) | instskip(NEXT) | instid1(VALU_DEP_1)
	v_mul_lo_u32 v3, v3, s8
	v_sub_nc_u32_e32 v3, v4, v3
	s_delay_alu instid0(VALU_DEP_1) | instskip(SKIP_1) | instid1(VALU_DEP_2)
	v_subrev_nc_u32_e32 v4, s8, v3
	v_cmp_le_u32_e32 vcc_lo, s8, v3
	v_cndmask_b32_e32 v3, v3, v4, vcc_lo
	s_delay_alu instid0(VALU_DEP_1) | instskip(SKIP_1) | instid1(VALU_DEP_2)
	v_subrev_nc_u32_e32 v4, s8, v3
	v_cmp_le_u32_e32 vcc_lo, s8, v3
	v_cndmask_b32_e32 v15, v3, v4, vcc_lo
.LBB24_24:                              ;   in Loop: Header=BB24_9 Depth=1
	s_or_b32 exec_lo, exec_lo, s0
	s_delay_alu instid0(VALU_DEP_1) | instskip(SKIP_1) | instid1(VALU_DEP_1)
	v_add_co_u32 v3, vcc_lo, v15, s10
	v_add_co_ci_u32_e32 v4, vcc_lo, s11, v16, vcc_lo
	v_xor_b32_e32 v7, v3, v4
	v_cls_i32_e32 v11, v4
	s_delay_alu instid0(VALU_DEP_2) | instskip(NEXT) | instid1(VALU_DEP_2)
	v_ashrrev_i32_e32 v7, 31, v7
	v_add_nc_u32_e32 v11, -1, v11
	s_delay_alu instid0(VALU_DEP_2) | instskip(NEXT) | instid1(VALU_DEP_1)
	v_add_nc_u32_e32 v7, 32, v7
	v_min_u32_e32 v7, v11, v7
	v_add_nc_u32_e32 v11, s15, v39
	s_delay_alu instid0(VALU_DEP_2) | instskip(SKIP_1) | instid1(VALU_DEP_2)
	v_lshlrev_b64 v[3:4], v7, v[3:4]
	v_sub_nc_u32_e32 v7, 32, v7
	v_min_u32_e32 v3, 1, v3
	s_delay_alu instid0(VALU_DEP_1) | instskip(SKIP_1) | instid1(VALU_DEP_2)
	v_or_b32_e32 v3, v4, v3
	v_ashrrev_i32_e32 v4, 31, v11
	v_cvt_f32_i32_e32 v15, v3
	v_add_co_u32 v3, vcc_lo, s6, v11
	s_delay_alu instid0(VALU_DEP_3) | instskip(NEXT) | instid1(VALU_DEP_3)
	v_add_co_ci_u32_e32 v4, vcc_lo, s7, v4, vcc_lo
	v_ldexp_f32 v7, v15, v7
	global_store_b32 v[3:4], v7, off
.LBB24_25:                              ;   in Loop: Header=BB24_9 Depth=1
	s_or_b32 exec_lo, exec_lo, s16
	v_add_co_u32 v3, vcc_lo, s12, v12
	v_add_co_ci_u32_e32 v4, vcc_lo, 0, v13, vcc_lo
	s_mov_b32 s16, exec_lo
	s_delay_alu instid0(VALU_DEP_1)
	v_cmpx_gt_i64_e64 s[4:5], v[3:4]
	s_cbranch_execz .LBB24_8
; %bb.26:                               ;   in Loop: Header=BB24_9 Depth=1
	v_or_b32_e32 v11, s9, v5
                                        ; implicit-def: $vgpr15_vgpr16
	s_mov_b32 s0, exec_lo
	s_delay_alu instid0(VALU_DEP_1)
	v_cmpx_ne_u64_e32 0, v[10:11]
	s_xor_b32 s17, exec_lo, s0
	s_cbranch_execz .LBB24_28
; %bb.27:                               ;   in Loop: Header=BB24_9 Depth=1
	v_cvt_f32_u32_e32 v3, s8
	v_cvt_f32_u32_e32 v4, s9
	s_sub_u32 s0, 0, s8
	s_subb_u32 s18, 0, s9
	s_delay_alu instid0(VALU_DEP_1) | instskip(NEXT) | instid1(VALU_DEP_1)
	v_fmac_f32_e32 v3, 0x4f800000, v4
	v_rcp_f32_e32 v3, v3
	s_waitcnt_depctr 0xfff
	v_mul_f32_e32 v3, 0x5f7ffffc, v3
	s_delay_alu instid0(VALU_DEP_1) | instskip(NEXT) | instid1(VALU_DEP_1)
	v_mul_f32_e32 v4, 0x2f800000, v3
	v_trunc_f32_e32 v4, v4
	s_delay_alu instid0(VALU_DEP_1) | instskip(SKIP_1) | instid1(VALU_DEP_2)
	v_fmac_f32_e32 v3, 0xcf800000, v4
	v_cvt_u32_f32_e32 v4, v4
	v_cvt_u32_f32_e32 v3, v3
	s_delay_alu instid0(VALU_DEP_2) | instskip(NEXT) | instid1(VALU_DEP_2)
	v_mul_lo_u32 v7, s0, v4
	v_mul_hi_u32 v11, s0, v3
	v_mul_lo_u32 v15, s18, v3
	s_delay_alu instid0(VALU_DEP_2) | instskip(SKIP_1) | instid1(VALU_DEP_2)
	v_add_nc_u32_e32 v7, v11, v7
	v_mul_lo_u32 v11, s0, v3
	v_add_nc_u32_e32 v7, v7, v15
	s_delay_alu instid0(VALU_DEP_2) | instskip(NEXT) | instid1(VALU_DEP_2)
	v_mul_hi_u32 v15, v3, v11
	v_mul_lo_u32 v16, v3, v7
	v_mul_hi_u32 v42, v3, v7
	v_mul_hi_u32 v43, v4, v11
	v_mul_lo_u32 v11, v4, v11
	v_mul_hi_u32 v44, v4, v7
	v_mul_lo_u32 v7, v4, v7
	v_add_co_u32 v15, vcc_lo, v15, v16
	v_add_co_ci_u32_e32 v16, vcc_lo, 0, v42, vcc_lo
	s_delay_alu instid0(VALU_DEP_2) | instskip(NEXT) | instid1(VALU_DEP_2)
	v_add_co_u32 v11, vcc_lo, v15, v11
	v_add_co_ci_u32_e32 v11, vcc_lo, v16, v43, vcc_lo
	v_add_co_ci_u32_e32 v15, vcc_lo, 0, v44, vcc_lo
	s_delay_alu instid0(VALU_DEP_2) | instskip(NEXT) | instid1(VALU_DEP_2)
	v_add_co_u32 v7, vcc_lo, v11, v7
	v_add_co_ci_u32_e32 v11, vcc_lo, 0, v15, vcc_lo
	s_delay_alu instid0(VALU_DEP_2) | instskip(NEXT) | instid1(VALU_DEP_2)
	v_add_co_u32 v3, vcc_lo, v3, v7
	v_add_co_ci_u32_e32 v4, vcc_lo, v4, v11, vcc_lo
	s_delay_alu instid0(VALU_DEP_2) | instskip(SKIP_1) | instid1(VALU_DEP_3)
	v_mul_hi_u32 v7, s0, v3
	v_mul_lo_u32 v15, s18, v3
	v_mul_lo_u32 v11, s0, v4
	s_delay_alu instid0(VALU_DEP_1) | instskip(SKIP_1) | instid1(VALU_DEP_2)
	v_add_nc_u32_e32 v7, v7, v11
	v_mul_lo_u32 v11, s0, v3
	v_add_nc_u32_e32 v7, v7, v15
	s_delay_alu instid0(VALU_DEP_2) | instskip(NEXT) | instid1(VALU_DEP_2)
	v_mul_hi_u32 v15, v3, v11
	v_mul_lo_u32 v16, v3, v7
	v_mul_hi_u32 v42, v3, v7
	v_mul_hi_u32 v43, v4, v11
	v_mul_lo_u32 v11, v4, v11
	v_mul_hi_u32 v44, v4, v7
	v_mul_lo_u32 v7, v4, v7
	v_add_co_u32 v15, vcc_lo, v15, v16
	v_add_co_ci_u32_e32 v16, vcc_lo, 0, v42, vcc_lo
	s_delay_alu instid0(VALU_DEP_2) | instskip(NEXT) | instid1(VALU_DEP_2)
	v_add_co_u32 v11, vcc_lo, v15, v11
	v_add_co_ci_u32_e32 v11, vcc_lo, v16, v43, vcc_lo
	v_add_co_ci_u32_e32 v15, vcc_lo, 0, v44, vcc_lo
	s_delay_alu instid0(VALU_DEP_2) | instskip(NEXT) | instid1(VALU_DEP_2)
	v_add_co_u32 v7, vcc_lo, v11, v7
	v_add_co_ci_u32_e32 v11, vcc_lo, 0, v15, vcc_lo
	s_delay_alu instid0(VALU_DEP_2) | instskip(NEXT) | instid1(VALU_DEP_2)
	v_add_co_u32 v7, vcc_lo, v3, v7
	v_add_co_ci_u32_e32 v11, vcc_lo, v4, v11, vcc_lo
	s_delay_alu instid0(VALU_DEP_2) | instskip(SKIP_1) | instid1(VALU_DEP_3)
	v_mul_hi_u32 v44, v6, v7
	v_mad_u64_u32 v[15:16], null, v5, v7, 0
	v_mad_u64_u32 v[3:4], null, v6, v11, 0
	;; [unrolled: 1-line block ×3, first 2 shown]
	s_delay_alu instid0(VALU_DEP_2) | instskip(NEXT) | instid1(VALU_DEP_3)
	v_add_co_u32 v3, vcc_lo, v44, v3
	v_add_co_ci_u32_e32 v4, vcc_lo, 0, v4, vcc_lo
	s_delay_alu instid0(VALU_DEP_2) | instskip(NEXT) | instid1(VALU_DEP_2)
	v_add_co_u32 v3, vcc_lo, v3, v15
	v_add_co_ci_u32_e32 v3, vcc_lo, v4, v16, vcc_lo
	v_add_co_ci_u32_e32 v4, vcc_lo, 0, v43, vcc_lo
	s_delay_alu instid0(VALU_DEP_2) | instskip(NEXT) | instid1(VALU_DEP_2)
	v_add_co_u32 v7, vcc_lo, v3, v42
	v_add_co_ci_u32_e32 v11, vcc_lo, 0, v4, vcc_lo
	s_delay_alu instid0(VALU_DEP_2) | instskip(SKIP_1) | instid1(VALU_DEP_3)
	v_mul_lo_u32 v15, s9, v7
	v_mad_u64_u32 v[3:4], null, s8, v7, 0
	v_mul_lo_u32 v7, s8, v11
	s_delay_alu instid0(VALU_DEP_2) | instskip(NEXT) | instid1(VALU_DEP_2)
	v_sub_co_u32 v3, vcc_lo, v6, v3
	v_add3_u32 v4, v4, v7, v15
	s_delay_alu instid0(VALU_DEP_1) | instskip(NEXT) | instid1(VALU_DEP_1)
	v_sub_nc_u32_e32 v7, v5, v4
	v_subrev_co_ci_u32_e64 v6, s0, s9, v7, vcc_lo
	v_sub_co_ci_u32_e32 v4, vcc_lo, v5, v4, vcc_lo
	v_sub_co_u32 v5, vcc_lo, v3, s8
	s_delay_alu instid0(VALU_DEP_1) | instskip(SKIP_3) | instid1(VALU_DEP_3)
	v_subrev_co_ci_u32_e64 v7, s0, 0, v6, vcc_lo
	v_cmp_le_u32_e64 s0, s8, v3
	v_subrev_co_ci_u32_e32 v6, vcc_lo, s9, v6, vcc_lo
	v_cmp_le_u32_e32 vcc_lo, s9, v4
	v_cndmask_b32_e64 v11, 0, -1, s0
	v_cmp_le_u32_e64 s0, s8, v5
	v_cndmask_b32_e64 v42, 0, -1, vcc_lo
	v_cmp_eq_u32_e32 vcc_lo, s9, v7
	s_delay_alu instid0(VALU_DEP_3) | instskip(SKIP_1) | instid1(VALU_DEP_1)
	v_cndmask_b32_e64 v15, 0, -1, s0
	v_cmp_le_u32_e64 s0, s9, v7
	v_cndmask_b32_e64 v16, 0, -1, s0
	v_cmp_eq_u32_e64 s0, s9, v4
	s_delay_alu instid0(VALU_DEP_2) | instskip(SKIP_2) | instid1(VALU_DEP_3)
	v_cndmask_b32_e32 v15, v16, v15, vcc_lo
	v_sub_co_u32 v16, vcc_lo, v5, s8
	v_subrev_co_ci_u32_e32 v6, vcc_lo, 0, v6, vcc_lo
	v_cmp_ne_u32_e32 vcc_lo, 0, v15
	v_cndmask_b32_e64 v11, v42, v11, s0
	s_delay_alu instid0(VALU_DEP_3) | instskip(NEXT) | instid1(VALU_DEP_2)
	v_dual_cndmask_b32 v5, v5, v16 :: v_dual_cndmask_b32 v6, v7, v6
	v_cmp_ne_u32_e32 vcc_lo, 0, v11
	s_delay_alu instid0(VALU_DEP_2)
	v_dual_cndmask_b32 v16, v4, v6 :: v_dual_cndmask_b32 v15, v3, v5
                                        ; implicit-def: $vgpr3_vgpr4_vgpr5_vgpr6
.LBB24_28:                              ;   in Loop: Header=BB24_9 Depth=1
	s_and_not1_saveexec_b32 s0, s17
	s_cbranch_execz .LBB24_7
; %bb.29:                               ;   in Loop: Header=BB24_9 Depth=1
	v_cvt_f32_u32_e32 v3, s8
	s_sub_i32 s17, 0, s8
	v_mov_b32_e32 v16, v10
	s_delay_alu instid0(VALU_DEP_2) | instskip(SKIP_2) | instid1(VALU_DEP_1)
	v_rcp_iflag_f32_e32 v3, v3
	s_waitcnt_depctr 0xfff
	v_mul_f32_e32 v3, 0x4f7ffffe, v3
	v_cvt_u32_f32_e32 v3, v3
	s_delay_alu instid0(VALU_DEP_1) | instskip(NEXT) | instid1(VALU_DEP_1)
	v_mul_lo_u32 v4, s17, v3
	v_mul_hi_u32 v4, v3, v4
	s_delay_alu instid0(VALU_DEP_1) | instskip(NEXT) | instid1(VALU_DEP_1)
	v_add_nc_u32_e32 v3, v3, v4
	v_mul_hi_u32 v3, v6, v3
	s_delay_alu instid0(VALU_DEP_1) | instskip(NEXT) | instid1(VALU_DEP_1)
	v_mul_lo_u32 v3, v3, s8
	v_sub_nc_u32_e32 v3, v6, v3
	s_delay_alu instid0(VALU_DEP_1) | instskip(SKIP_1) | instid1(VALU_DEP_2)
	v_subrev_nc_u32_e32 v4, s8, v3
	v_cmp_le_u32_e32 vcc_lo, s8, v3
	v_cndmask_b32_e32 v3, v3, v4, vcc_lo
	s_delay_alu instid0(VALU_DEP_1) | instskip(SKIP_1) | instid1(VALU_DEP_2)
	v_subrev_nc_u32_e32 v4, s8, v3
	v_cmp_le_u32_e32 vcc_lo, s8, v3
	v_cndmask_b32_e32 v15, v3, v4, vcc_lo
	s_branch .LBB24_7
.LBB24_30:
	s_endpgm
.LBB24_31:
                                        ; implicit-def: $sgpr2_sgpr3
	s_branch .LBB24_4
	.section	.rodata,"a",@progbits
	.p2align	6, 0x0
	.amdhsa_kernel _ZN2at6native12_GLOBAL__N_143distribution_elementwise_grid_stride_kernelImLi2EZZZNS0_9templates4cuda21random_from_to_kernelIPNS_17CUDAGeneratorImplEEEvRNS_18TensorIteratorBaseEmlT_ENKUlvE_clEvENKUlvE5_clEvEUlP25hiprandStatePhilox4_32_10E_ZNS1_27distribution_nullary_kernelIfm15HIP_vector_typeIyLj2EES7_SF_ZZZNS5_IS7_EEvS9_mlSA_ENKSB_clEvENKSC_clEvEUlmE_EEvS9_T2_RKT3_T4_EUlimE_EEvlNS_15PhiloxCudaStateET1_SK_
		.amdhsa_group_segment_fixed_size 0
		.amdhsa_private_segment_fixed_size 0
		.amdhsa_kernarg_size 336
		.amdhsa_user_sgpr_count 15
		.amdhsa_user_sgpr_dispatch_ptr 0
		.amdhsa_user_sgpr_queue_ptr 0
		.amdhsa_user_sgpr_kernarg_segment_ptr 1
		.amdhsa_user_sgpr_dispatch_id 0
		.amdhsa_user_sgpr_private_segment_size 0
		.amdhsa_wavefront_size32 1
		.amdhsa_uses_dynamic_stack 0
		.amdhsa_enable_private_segment 0
		.amdhsa_system_sgpr_workgroup_id_x 1
		.amdhsa_system_sgpr_workgroup_id_y 0
		.amdhsa_system_sgpr_workgroup_id_z 0
		.amdhsa_system_sgpr_workgroup_info 0
		.amdhsa_system_vgpr_workitem_id 0
		.amdhsa_next_free_vgpr 47
		.amdhsa_next_free_sgpr 23
		.amdhsa_reserve_vcc 1
		.amdhsa_float_round_mode_32 0
		.amdhsa_float_round_mode_16_64 0
		.amdhsa_float_denorm_mode_32 3
		.amdhsa_float_denorm_mode_16_64 3
		.amdhsa_dx10_clamp 1
		.amdhsa_ieee_mode 1
		.amdhsa_fp16_overflow 0
		.amdhsa_workgroup_processor_mode 1
		.amdhsa_memory_ordered 1
		.amdhsa_forward_progress 0
		.amdhsa_shared_vgpr_count 0
		.amdhsa_exception_fp_ieee_invalid_op 0
		.amdhsa_exception_fp_denorm_src 0
		.amdhsa_exception_fp_ieee_div_zero 0
		.amdhsa_exception_fp_ieee_overflow 0
		.amdhsa_exception_fp_ieee_underflow 0
		.amdhsa_exception_fp_ieee_inexact 0
		.amdhsa_exception_int_div_zero 0
	.end_amdhsa_kernel
	.section	.text._ZN2at6native12_GLOBAL__N_143distribution_elementwise_grid_stride_kernelImLi2EZZZNS0_9templates4cuda21random_from_to_kernelIPNS_17CUDAGeneratorImplEEEvRNS_18TensorIteratorBaseEmlT_ENKUlvE_clEvENKUlvE5_clEvEUlP25hiprandStatePhilox4_32_10E_ZNS1_27distribution_nullary_kernelIfm15HIP_vector_typeIyLj2EES7_SF_ZZZNS5_IS7_EEvS9_mlSA_ENKSB_clEvENKSC_clEvEUlmE_EEvS9_T2_RKT3_T4_EUlimE_EEvlNS_15PhiloxCudaStateET1_SK_,"axG",@progbits,_ZN2at6native12_GLOBAL__N_143distribution_elementwise_grid_stride_kernelImLi2EZZZNS0_9templates4cuda21random_from_to_kernelIPNS_17CUDAGeneratorImplEEEvRNS_18TensorIteratorBaseEmlT_ENKUlvE_clEvENKUlvE5_clEvEUlP25hiprandStatePhilox4_32_10E_ZNS1_27distribution_nullary_kernelIfm15HIP_vector_typeIyLj2EES7_SF_ZZZNS5_IS7_EEvS9_mlSA_ENKSB_clEvENKSC_clEvEUlmE_EEvS9_T2_RKT3_T4_EUlimE_EEvlNS_15PhiloxCudaStateET1_SK_,comdat
.Lfunc_end24:
	.size	_ZN2at6native12_GLOBAL__N_143distribution_elementwise_grid_stride_kernelImLi2EZZZNS0_9templates4cuda21random_from_to_kernelIPNS_17CUDAGeneratorImplEEEvRNS_18TensorIteratorBaseEmlT_ENKUlvE_clEvENKUlvE5_clEvEUlP25hiprandStatePhilox4_32_10E_ZNS1_27distribution_nullary_kernelIfm15HIP_vector_typeIyLj2EES7_SF_ZZZNS5_IS7_EEvS9_mlSA_ENKSB_clEvENKSC_clEvEUlmE_EEvS9_T2_RKT3_T4_EUlimE_EEvlNS_15PhiloxCudaStateET1_SK_, .Lfunc_end24-_ZN2at6native12_GLOBAL__N_143distribution_elementwise_grid_stride_kernelImLi2EZZZNS0_9templates4cuda21random_from_to_kernelIPNS_17CUDAGeneratorImplEEEvRNS_18TensorIteratorBaseEmlT_ENKUlvE_clEvENKUlvE5_clEvEUlP25hiprandStatePhilox4_32_10E_ZNS1_27distribution_nullary_kernelIfm15HIP_vector_typeIyLj2EES7_SF_ZZZNS5_IS7_EEvS9_mlSA_ENKSB_clEvENKSC_clEvEUlmE_EEvS9_T2_RKT3_T4_EUlimE_EEvlNS_15PhiloxCudaStateET1_SK_
                                        ; -- End function
	.section	.AMDGPU.csdata,"",@progbits
; Kernel info:
; codeLenInByte = 4592
; NumSgprs: 25
; NumVgprs: 47
; ScratchSize: 0
; MemoryBound: 0
; FloatMode: 240
; IeeeMode: 1
; LDSByteSize: 0 bytes/workgroup (compile time only)
; SGPRBlocks: 3
; VGPRBlocks: 5
; NumSGPRsForWavesPerEU: 25
; NumVGPRsForWavesPerEU: 47
; Occupancy: 16
; WaveLimiterHint : 0
; COMPUTE_PGM_RSRC2:SCRATCH_EN: 0
; COMPUTE_PGM_RSRC2:USER_SGPR: 15
; COMPUTE_PGM_RSRC2:TRAP_HANDLER: 0
; COMPUTE_PGM_RSRC2:TGID_X_EN: 1
; COMPUTE_PGM_RSRC2:TGID_Y_EN: 0
; COMPUTE_PGM_RSRC2:TGID_Z_EN: 0
; COMPUTE_PGM_RSRC2:TIDIG_COMP_CNT: 0
	.section	.text._ZN2at6native12_GLOBAL__N_143distribution_elementwise_grid_stride_kernelImLi2EZZZNS0_9templates4cuda21random_from_to_kernelIPNS_17CUDAGeneratorImplEEEvRNS_18TensorIteratorBaseEmlT_ENKUlvE_clEvENKUlvE5_clEvEUlP25hiprandStatePhilox4_32_10E_ZNS1_27distribution_nullary_kernelIfm15HIP_vector_typeIyLj2EES7_SF_ZZZNS5_IS7_EEvS9_mlSA_ENKSB_clEvENKSC_clEvEUlmE_EEvS9_T2_RKT3_T4_EUlimE0_EEvlNS_15PhiloxCudaStateET1_SK_,"axG",@progbits,_ZN2at6native12_GLOBAL__N_143distribution_elementwise_grid_stride_kernelImLi2EZZZNS0_9templates4cuda21random_from_to_kernelIPNS_17CUDAGeneratorImplEEEvRNS_18TensorIteratorBaseEmlT_ENKUlvE_clEvENKUlvE5_clEvEUlP25hiprandStatePhilox4_32_10E_ZNS1_27distribution_nullary_kernelIfm15HIP_vector_typeIyLj2EES7_SF_ZZZNS5_IS7_EEvS9_mlSA_ENKSB_clEvENKSC_clEvEUlmE_EEvS9_T2_RKT3_T4_EUlimE0_EEvlNS_15PhiloxCudaStateET1_SK_,comdat
	.globl	_ZN2at6native12_GLOBAL__N_143distribution_elementwise_grid_stride_kernelImLi2EZZZNS0_9templates4cuda21random_from_to_kernelIPNS_17CUDAGeneratorImplEEEvRNS_18TensorIteratorBaseEmlT_ENKUlvE_clEvENKUlvE5_clEvEUlP25hiprandStatePhilox4_32_10E_ZNS1_27distribution_nullary_kernelIfm15HIP_vector_typeIyLj2EES7_SF_ZZZNS5_IS7_EEvS9_mlSA_ENKSB_clEvENKSC_clEvEUlmE_EEvS9_T2_RKT3_T4_EUlimE0_EEvlNS_15PhiloxCudaStateET1_SK_ ; -- Begin function _ZN2at6native12_GLOBAL__N_143distribution_elementwise_grid_stride_kernelImLi2EZZZNS0_9templates4cuda21random_from_to_kernelIPNS_17CUDAGeneratorImplEEEvRNS_18TensorIteratorBaseEmlT_ENKUlvE_clEvENKUlvE5_clEvEUlP25hiprandStatePhilox4_32_10E_ZNS1_27distribution_nullary_kernelIfm15HIP_vector_typeIyLj2EES7_SF_ZZZNS5_IS7_EEvS9_mlSA_ENKSB_clEvENKSC_clEvEUlmE_EEvS9_T2_RKT3_T4_EUlimE0_EEvlNS_15PhiloxCudaStateET1_SK_
	.p2align	8
	.type	_ZN2at6native12_GLOBAL__N_143distribution_elementwise_grid_stride_kernelImLi2EZZZNS0_9templates4cuda21random_from_to_kernelIPNS_17CUDAGeneratorImplEEEvRNS_18TensorIteratorBaseEmlT_ENKUlvE_clEvENKUlvE5_clEvEUlP25hiprandStatePhilox4_32_10E_ZNS1_27distribution_nullary_kernelIfm15HIP_vector_typeIyLj2EES7_SF_ZZZNS5_IS7_EEvS9_mlSA_ENKSB_clEvENKSC_clEvEUlmE_EEvS9_T2_RKT3_T4_EUlimE0_EEvlNS_15PhiloxCudaStateET1_SK_,@function
_ZN2at6native12_GLOBAL__N_143distribution_elementwise_grid_stride_kernelImLi2EZZZNS0_9templates4cuda21random_from_to_kernelIPNS_17CUDAGeneratorImplEEEvRNS_18TensorIteratorBaseEmlT_ENKUlvE_clEvENKUlvE5_clEvEUlP25hiprandStatePhilox4_32_10E_ZNS1_27distribution_nullary_kernelIfm15HIP_vector_typeIyLj2EES7_SF_ZZZNS5_IS7_EEvS9_mlSA_ENKSB_clEvENKSC_clEvEUlmE_EEvS9_T2_RKT3_T4_EUlimE0_EEvlNS_15PhiloxCudaStateET1_SK_: ; @_ZN2at6native12_GLOBAL__N_143distribution_elementwise_grid_stride_kernelImLi2EZZZNS0_9templates4cuda21random_from_to_kernelIPNS_17CUDAGeneratorImplEEEvRNS_18TensorIteratorBaseEmlT_ENKUlvE_clEvENKUlvE5_clEvEUlP25hiprandStatePhilox4_32_10E_ZNS1_27distribution_nullary_kernelIfm15HIP_vector_typeIyLj2EES7_SF_ZZZNS5_IS7_EEvS9_mlSA_ENKSB_clEvENKSC_clEvEUlmE_EEvS9_T2_RKT3_T4_EUlimE0_EEvlNS_15PhiloxCudaStateET1_SK_
; %bb.0:
	s_clause 0x2
	s_load_b64 s[4:5], s[0:1], 0x10
	s_load_b128 s[16:19], s[0:1], 0x0
	s_load_b32 s2, s[0:1], 0x20
	s_waitcnt lgkmcnt(0)
	v_dual_mov_b32 v2, s4 :: v_dual_mov_b32 v3, s5
	v_dual_mov_b32 v11, s18 :: v_dual_mov_b32 v12, s19
	s_bitcmp0_b32 s2, 0
	s_mov_b32 s2, 0
	s_cbranch_scc1 .LBB25_2
; %bb.1:
	v_dual_mov_b32 v1, s4 :: v_dual_mov_b32 v2, s5
	v_dual_mov_b32 v4, s18 :: v_dual_mov_b32 v5, s19
	s_load_b64 s[4:5], s[0:1], 0x18
	flat_load_b64 v[2:3], v[1:2]
	flat_load_b64 v[11:12], v[4:5]
	s_waitcnt vmcnt(1) lgkmcnt(0)
	v_add_co_u32 v2, vcc_lo, v2, s4
	v_add_co_ci_u32_e32 v3, vcc_lo, s5, v3, vcc_lo
.LBB25_2:
	s_clause 0x1
	s_load_b32 s3, s[0:1], 0x15c
	s_load_b32 s5, s[0:1], 0x150
	s_waitcnt lgkmcnt(0)
	s_and_b32 s4, s3, 0xffff
	s_add_u32 s6, s16, -1
	s_mul_i32 s28, s5, s4
	s_addc_u32 s3, s17, -1
	s_lshl_b32 s29, s28, 1
	s_cmp_lg_u64 s[2:3], 0
	s_cbranch_scc0 .LBB25_57
; %bb.3:
	v_cvt_f32_ubyte0_e32 v1, 0
	v_cvt_f32_u32_e32 v4, s29
	s_sub_u32 s8, 0, s29
	s_subb_u32 s9, 0, 0
	s_delay_alu instid0(VALU_DEP_1) | instskip(NEXT) | instid1(VALU_DEP_1)
	v_fmamk_f32 v1, v1, 0x4f800000, v4
	v_rcp_f32_e32 v1, v1
	s_waitcnt_depctr 0xfff
	v_mul_f32_e32 v1, 0x5f7ffffc, v1
	s_delay_alu instid0(VALU_DEP_1) | instskip(NEXT) | instid1(VALU_DEP_1)
	v_mul_f32_e32 v4, 0x2f800000, v1
	v_trunc_f32_e32 v4, v4
	s_delay_alu instid0(VALU_DEP_1) | instskip(SKIP_1) | instid1(VALU_DEP_2)
	v_fmamk_f32 v1, v4, 0xcf800000, v1
	v_cvt_u32_f32_e32 v4, v4
	v_cvt_u32_f32_e32 v1, v1
	s_delay_alu instid0(VALU_DEP_2) | instskip(NEXT) | instid1(VALU_DEP_2)
	v_readfirstlane_b32 s2, v4
	v_readfirstlane_b32 s7, v1
	s_delay_alu instid0(VALU_DEP_2) | instskip(NEXT) | instid1(VALU_DEP_1)
	s_mul_i32 s10, s8, s2
	s_mul_hi_u32 s12, s8, s7
	s_mul_i32 s11, s9, s7
	s_add_i32 s10, s12, s10
	s_mul_i32 s13, s8, s7
	s_add_i32 s10, s10, s11
	s_mul_hi_u32 s12, s7, s13
	s_mul_hi_u32 s14, s2, s13
	s_mul_i32 s11, s2, s13
	s_mul_hi_u32 s13, s7, s10
	s_mul_i32 s7, s7, s10
	s_mul_hi_u32 s18, s2, s10
	s_add_u32 s7, s12, s7
	s_addc_u32 s12, 0, s13
	s_add_u32 s7, s7, s11
	s_mul_i32 s10, s2, s10
	s_addc_u32 s7, s12, s14
	s_addc_u32 s11, s18, 0
	s_add_u32 s7, s7, s10
	s_addc_u32 s10, 0, s11
	v_add_co_u32 v1, s7, v1, s7
	s_delay_alu instid0(VALU_DEP_1) | instskip(SKIP_1) | instid1(VALU_DEP_1)
	s_cmp_lg_u32 s7, 0
	s_addc_u32 s2, s2, s10
	v_readfirstlane_b32 s7, v1
	s_mul_i32 s10, s8, s2
	s_delay_alu instid0(VALU_DEP_1)
	s_mul_hi_u32 s11, s8, s7
	s_mul_i32 s9, s9, s7
	s_add_i32 s10, s11, s10
	s_mul_i32 s8, s8, s7
	s_add_i32 s10, s10, s9
	s_mul_hi_u32 s11, s2, s8
	s_mul_i32 s12, s2, s8
	s_mul_hi_u32 s8, s7, s8
	s_mul_hi_u32 s13, s7, s10
	s_mul_i32 s7, s7, s10
	s_mul_hi_u32 s9, s2, s10
	s_add_u32 s7, s8, s7
	s_addc_u32 s8, 0, s13
	s_add_u32 s7, s7, s12
	s_mul_i32 s10, s2, s10
	s_addc_u32 s7, s8, s11
	s_addc_u32 s8, s9, 0
	s_add_u32 s7, s7, s10
	s_addc_u32 s8, 0, s8
	v_add_co_u32 v1, s7, v1, s7
	s_delay_alu instid0(VALU_DEP_1) | instskip(SKIP_2) | instid1(VALU_DEP_1)
	s_cmp_lg_u32 s7, 0
	s_addc_u32 s7, s2, s8
	s_ashr_i32 s8, s3, 31
	v_readfirstlane_b32 s10, v1
	s_add_u32 s2, s6, s8
	s_mov_b32 s9, s8
	s_addc_u32 s3, s3, s8
	s_delay_alu instid0(SALU_CYCLE_1) | instskip(NEXT) | instid1(SALU_CYCLE_1)
	s_xor_b64 s[2:3], s[2:3], s[8:9]
	s_mul_i32 s12, s2, s7
	s_mul_hi_u32 s13, s2, s10
	s_mul_hi_u32 s11, s2, s7
	s_mul_hi_u32 s18, s3, s10
	s_mul_i32 s10, s3, s10
	s_add_u32 s12, s13, s12
	s_addc_u32 s11, 0, s11
	s_mul_hi_u32 s14, s3, s7
	s_add_u32 s10, s12, s10
	s_mul_i32 s7, s3, s7
	s_addc_u32 s10, s11, s18
	s_addc_u32 s11, s14, 0
	s_add_u32 s7, s10, s7
	s_addc_u32 s10, 0, s11
	s_mul_i32 s12, s29, s7
	s_add_u32 s11, s7, 1
	v_sub_co_u32 v1, s2, s2, s12
	s_mul_hi_u32 s12, s29, s7
	s_addc_u32 s13, s10, 0
	s_mul_i32 s14, s29, s10
	s_delay_alu instid0(VALU_DEP_1)
	v_sub_co_u32 v4, s18, v1, s29
	s_add_u32 s19, s7, 2
	s_addc_u32 s20, s10, 0
	s_add_i32 s12, s12, s14
	s_cmp_lg_u32 s2, 0
	v_readfirstlane_b32 s2, v4
	s_subb_u32 s3, s3, s12
	s_cmp_lg_u32 s18, 0
	s_subb_u32 s12, s3, 0
	s_delay_alu instid0(VALU_DEP_1) | instskip(SKIP_4) | instid1(SALU_CYCLE_1)
	s_cmp_ge_u32 s2, s29
	s_cselect_b32 s2, -1, 0
	s_cmp_eq_u32 s12, 0
	v_readfirstlane_b32 s12, v1
	s_cselect_b32 s2, s2, -1
	s_cmp_lg_u32 s2, 0
	s_cselect_b32 s2, s19, s11
	s_cselect_b32 s11, s20, s13
	s_cmp_ge_u32 s12, s29
	s_cselect_b32 s12, -1, 0
	s_cmp_eq_u32 s3, 0
	s_cselect_b32 s3, s12, -1
	s_delay_alu instid0(SALU_CYCLE_1) | instskip(SKIP_2) | instid1(SALU_CYCLE_1)
	s_cmp_lg_u32 s3, 0
	s_cselect_b32 s3, s11, s10
	s_cselect_b32 s2, s2, s7
	s_xor_b64 s[2:3], s[2:3], s[8:9]
	s_delay_alu instid0(SALU_CYCLE_1)
	s_sub_u32 s2, s2, s8
	s_subb_u32 s3, s3, s8
	s_cbranch_execnz .LBB25_5
.LBB25_4:
	v_cvt_f32_u32_e32 v1, s29
	s_sub_i32 s3, 0, s29
	s_delay_alu instid0(VALU_DEP_1) | instskip(SKIP_2) | instid1(VALU_DEP_1)
	v_rcp_iflag_f32_e32 v1, v1
	s_waitcnt_depctr 0xfff
	v_mul_f32_e32 v1, 0x4f7ffffe, v1
	v_cvt_u32_f32_e32 v1, v1
	s_delay_alu instid0(VALU_DEP_1) | instskip(NEXT) | instid1(VALU_DEP_1)
	v_readfirstlane_b32 s2, v1
	s_mul_i32 s3, s3, s2
	s_delay_alu instid0(SALU_CYCLE_1) | instskip(NEXT) | instid1(SALU_CYCLE_1)
	s_mul_hi_u32 s3, s2, s3
	s_add_i32 s2, s2, s3
	s_delay_alu instid0(SALU_CYCLE_1) | instskip(NEXT) | instid1(SALU_CYCLE_1)
	s_mul_hi_u32 s2, s6, s2
	s_mul_i32 s3, s2, s29
	s_delay_alu instid0(SALU_CYCLE_1)
	s_sub_i32 s3, s6, s3
	s_add_i32 s6, s2, 1
	s_sub_i32 s7, s3, s29
	s_cmp_ge_u32 s3, s29
	s_cselect_b32 s2, s6, s2
	s_cselect_b32 s3, s7, s3
	s_add_i32 s6, s2, 1
	s_cmp_ge_u32 s3, s29
	s_mov_b32 s3, 0
	s_cselect_b32 s2, s6, s2
.LBB25_5:
	v_mov_b32_e32 v13, 0
	s_add_u32 s2, s2, 1
	s_addc_u32 s3, s3, 0
	s_mul_hi_u32 s5, s5, s4
	s_mul_hi_u32 s6, s28, s2
	v_mov_b32_e32 v1, v13
	s_mul_i32 s3, s28, s3
	s_mul_i32 s5, s5, s2
	s_add_i32 s3, s6, s3
	s_mul_i32 s2, s28, s2
	v_mad_u64_u32 v[15:16], null, s4, s15, v[0:1]
	s_add_i32 s3, s3, s5
	s_mov_b32 s4, exec_lo
	s_lshl_b64 s[2:3], s[2:3], 1
	s_delay_alu instid0(VALU_DEP_1) | instid1(SALU_CYCLE_1)
	v_cmpx_gt_i64_e64 s[2:3], v[15:16]
	s_cbranch_execz .LBB25_56
; %bb.6:
	v_alignbit_b32 v19, v3, v2, 2
	v_mad_u64_u32 v[4:5], null, 0xcd9e8d57, v15, 0
	v_lshrrev_b32_e32 v20, 2, v3
	s_waitcnt vmcnt(0)
	v_dual_mov_b32 v9, v12 :: v_dual_add_nc_u32 v30, 0x8ff34781, v11
	v_mad_u64_u32 v[0:1], null, 0xd2511f53, v19, 0
	v_add_co_u32 v22, null, 0x9e3779b9, v11
	v_xor3_b32 v3, v11, v5, v20
	s_delay_alu instid0(VALU_DEP_4) | instskip(SKIP_2) | instid1(VALU_DEP_4)
	v_add_co_u32 v21, null, 0xbb67ae85, v9
	v_add_co_u32 v23, null, 0x3c6ef372, v11
	v_xor_b32_e32 v1, v1, v12
	v_mad_u64_u32 v[5:6], null, 0xd2511f53, v3, 0
	v_add_co_u32 v24, null, 0x76cf5d0a, v9
	s_delay_alu instid0(VALU_DEP_3) | instskip(SKIP_2) | instid1(VALU_DEP_3)
	v_xor_b32_e32 v1, v1, v16
	v_add_co_u32 v25, null, 0x32370b8f, v9
	v_add_co_u32 v26, null, 0xdaa66d2b, v11
	v_mad_u64_u32 v[7:8], null, 0xcd9e8d57, v1, 0
	v_xor3_b32 v3, v21, v6, v0
	v_add_co_u32 v27, null, 0x78dde6e4, v11
	v_add_co_u32 v28, null, 0xed9eba14, v9
	s_delay_alu instid0(VALU_DEP_3) | instskip(SKIP_3) | instid1(VALU_DEP_3)
	v_mad_u64_u32 v[0:1], null, 0xcd9e8d57, v3, 0
	v_xor3_b32 v6, v22, v8, v4
	v_dual_mov_b32 v40, v15 :: v_dual_and_b32 v29, 3, v2
	v_add_co_u32 v31, null, 0xa9066899, v9
	v_mad_u64_u32 v[3:4], null, 0xd2511f53, v6, 0
	v_xor3_b32 v1, v23, v1, v7
	v_add_co_u32 v32, null, 0x1715609d, v11
	v_add_co_u32 v34, null, 0xb54cda56, v11
	;; [unrolled: 1-line block ×3, first 2 shown]
	v_xor3_b32 v8, v24, v4, v5
	v_mad_u64_u32 v[4:5], null, 0xd2511f53, v1, 0
	s_load_b256 s[4:11], s[0:1], 0x30
	v_add_co_u32 v33, null, 0x5384540f, v11
	s_delay_alu instid0(VALU_DEP_3) | instskip(SKIP_1) | instid1(VALU_DEP_4)
	v_mad_u64_u32 v[6:7], null, 0xcd9e8d57, v8, 0
	v_add_co_u32 v37, null, 0x1fd5c5a3, v9
	v_xor3_b32 v3, v25, v5, v3
	v_add_co_u32 v35, null, 0xf1bbcdc8, v11
	v_add_co_u32 v38, null, 0xdb3d7428, v9
	v_xor3_b32 v5, v26, v7, v0
	s_delay_alu instid0(VALU_DEP_4) | instskip(SKIP_2) | instid1(VALU_DEP_2)
	v_mad_u64_u32 v[0:1], null, 0xcd9e8d57, v3, 0
	s_add_u32 s18, s0, 48
	s_load_b64 s[20:21], s[0:1], 0x148
	v_mad_u64_u32 v[7:8], null, 0xd2511f53, v5, 0
	s_clause 0x1
	s_load_b64 s[22:23], s[0:1], 0xf4
	s_load_b128 s[12:15], s[0:1], 0x138
	s_addc_u32 s19, s1, 0
	v_xor3_b32 v3, v27, v1, v6
	s_waitcnt lgkmcnt(0)
	s_add_i32 s26, s4, -1
	v_add_nc_u32_e32 v39, 0x96a522ad, v12
	s_cmp_gt_u32 s26, 1
	v_xor3_b32 v5, v28, v8, v4
	v_mad_u64_u32 v[1:2], null, 0xd2511f53, v3, 0
	s_cselect_b32 s11, -1, 0
	s_cmp_lg_u32 s4, 0
	s_delay_alu instid0(VALU_DEP_2) | instskip(SKIP_2) | instid1(VALU_DEP_2)
	v_mad_u64_u32 v[3:4], null, 0xcd9e8d57, v5, 0
	s_cselect_b32 s31, -1, 0
	s_add_u32 s24, s0, 0xf4
	v_xor3_b32 v2, v31, v2, v7
	s_addc_u32 s25, s1, 0
	s_min_u32 s0, s26, 15
	s_cmp_gt_u32 s4, 1
	s_delay_alu instid0(VALU_DEP_2) | instskip(SKIP_3) | instid1(VALU_DEP_2)
	v_xor3_b32 v0, v32, v4, v0
	v_mad_u64_u32 v[4:5], null, 0xcd9e8d57, v2, 0
	s_cselect_b32 s4, -1, 0
	s_add_i32 s0, s0, 1
	v_mad_u64_u32 v[6:7], null, 0xd2511f53, v0, 0
	s_and_b32 s33, s0, 3
	s_cmp_lg_u32 s26, 2
	s_delay_alu instid0(VALU_DEP_2) | instskip(SKIP_3) | instid1(VALU_DEP_3)
	v_xor3_b32 v2, v34, v5, v3
	s_cselect_b32 s34, -1, 0
	s_and_b32 s35, s0, 28
	v_mov_b32_e32 v41, v16
	v_xor3_b32 v5, v36, v7, v1
	v_mad_u64_u32 v[0:1], null, 0xd2511f53, v2, 0
	s_cmp_lg_u32 s33, 0
	s_mov_b32 s30, 0
	s_delay_alu instid0(VALU_DEP_2) | instskip(SKIP_1) | instid1(VALU_DEP_2)
	v_mad_u64_u32 v[2:3], null, 0xcd9e8d57, v5, 0
	s_cselect_b32 s36, -1, 0
	v_xor3_b32 v1, v37, v1, v6
	s_delay_alu instid0(VALU_DEP_2) | instskip(NEXT) | instid1(VALU_DEP_2)
	v_xor3_b32 v3, v33, v3, v4
	v_mad_u64_u32 v[4:5], null, 0xcd9e8d57, v1, 0
	s_delay_alu instid0(VALU_DEP_2) | instskip(NEXT) | instid1(VALU_DEP_2)
	v_mad_u64_u32 v[6:7], null, 0xd2511f53, v3, 0
	v_xor3_b32 v1, v35, v5, v2
	s_delay_alu instid0(VALU_DEP_2) | instskip(NEXT) | instid1(VALU_DEP_2)
	v_xor3_b32 v0, v38, v7, v0
	v_mad_u64_u32 v[7:8], null, 0xd2511f53, v1, 0
	s_delay_alu instid0(VALU_DEP_2) | instskip(NEXT) | instid1(VALU_DEP_2)
	v_mad_u64_u32 v[1:2], null, 0xcd9e8d57, v0, 0
	v_mov_b32_e32 v3, v7
	s_delay_alu instid0(VALU_DEP_2) | instskip(NEXT) | instid1(VALU_DEP_4)
	v_xor3_b32 v0, v2, v4, v30
	v_xor3_b32 v2, v8, v6, v39
	s_branch .LBB25_9
.LBB25_7:                               ;   in Loop: Header=BB25_9 Depth=1
	s_or_b32 exec_lo, exec_lo, s0
	s_delay_alu instid0(VALU_DEP_1) | instskip(SKIP_1) | instid1(VALU_DEP_1)
	v_add_co_u32 v0, vcc_lo, v8, s20
	v_add_co_ci_u32_e32 v1, vcc_lo, s21, v9, vcc_lo
	v_xor_b32_e32 v2, v0, v1
	v_cls_i32_e32 v3, v1
	s_delay_alu instid0(VALU_DEP_2) | instskip(NEXT) | instid1(VALU_DEP_2)
	v_ashrrev_i32_e32 v2, 31, v2
	v_add_nc_u32_e32 v3, -1, v3
	s_delay_alu instid0(VALU_DEP_2) | instskip(NEXT) | instid1(VALU_DEP_1)
	v_add_nc_u32_e32 v2, 32, v2
	v_min_u32_e32 v2, v3, v2
	s_delay_alu instid0(VALU_DEP_1) | instskip(NEXT) | instid1(VALU_DEP_1)
	v_lshlrev_b64 v[0:1], v2, v[0:1]
	v_min_u32_e32 v0, 1, v0
	s_delay_alu instid0(VALU_DEP_1) | instskip(SKIP_1) | instid1(VALU_DEP_2)
	v_or_b32_e32 v0, v1, v0
	v_sub_nc_u32_e32 v1, 32, v2
	v_cvt_f32_i32_e32 v0, v0
	s_delay_alu instid0(VALU_DEP_1)
	v_ldexp_f32 v0, v0, v1
	global_store_b32 v7, v0, s[12:13]
.LBB25_8:                               ;   in Loop: Header=BB25_9 Depth=1
	s_or_b32 exec_lo, exec_lo, s37
	v_add_co_u32 v15, vcc_lo, v15, s29
	v_add_co_ci_u32_e32 v16, vcc_lo, 0, v16, vcc_lo
	v_mov_b32_e32 v7, v17
	v_dual_mov_b32 v0, v4 :: v_dual_mov_b32 v1, v5
	s_delay_alu instid0(VALU_DEP_3) | instskip(NEXT) | instid1(VALU_DEP_3)
	v_cmp_le_i64_e32 vcc_lo, s[2:3], v[15:16]
	v_dual_mov_b32 v2, v6 :: v_dual_mov_b32 v3, v7
	s_waitcnt_vscnt null, 0x0
	s_barrier
	buffer_gl0_inv
	s_or_b32 s30, vcc_lo, s30
	s_delay_alu instid0(SALU_CYCLE_1)
	s_and_not1_b32 exec_lo, exec_lo, s30
	s_cbranch_execz .LBB25_56
.LBB25_9:                               ; =>This Loop Header: Depth=1
                                        ;     Child Loop BB25_24 Depth 2
                                        ;     Child Loop BB25_29 Depth 2
	;; [unrolled: 1-line block ×4, first 2 shown]
	v_add_co_u32 v19, vcc_lo, v19, 1
	s_delay_alu instid0(VALU_DEP_1) | instskip(SKIP_2) | instid1(VALU_DEP_1)
	v_cndmask_b32_e64 v4, 0, 1, vcc_lo
	v_add_co_ci_u32_e32 v20, vcc_lo, 0, v20, vcc_lo
	s_mov_b32 s0, exec_lo
	v_cmp_eq_u32_e32 vcc_lo, 0, v20
	s_delay_alu instid0(VALU_DEP_3) | instskip(NEXT) | instid1(VALU_DEP_1)
	v_cndmask_b32_e32 v4, 0, v4, vcc_lo
	v_add_nc_u32_e32 v40, v4, v40
	s_delay_alu instid0(VALU_DEP_1) | instskip(SKIP_2) | instid1(VALU_DEP_2)
	v_cmp_eq_u32_e32 vcc_lo, 0, v40
	v_mad_u64_u32 v[6:7], null, 0xcd9e8d57, v40, 0
	v_cndmask_b32_e32 v4, 0, v4, vcc_lo
	v_xor3_b32 v9, v7, v11, v20
	s_delay_alu instid0(VALU_DEP_2) | instskip(SKIP_1) | instid1(VALU_DEP_3)
	v_add_nc_u32_e32 v41, v4, v41
	v_mad_u64_u32 v[4:5], null, 0xd2511f53, v19, 0
	v_mad_u64_u32 v[7:8], null, 0xd2511f53, v9, 0
	s_delay_alu instid0(VALU_DEP_2) | instskip(NEXT) | instid1(VALU_DEP_2)
	v_xor_b32_e32 v5, v5, v12
	v_xor3_b32 v8, v21, v8, v4
	s_delay_alu instid0(VALU_DEP_2) | instskip(NEXT) | instid1(VALU_DEP_1)
	v_xor_b32_e32 v5, v41, v5
	v_mad_u64_u32 v[9:10], null, 0xcd9e8d57, v5, 0
	s_delay_alu instid0(VALU_DEP_3) | instskip(NEXT) | instid1(VALU_DEP_2)
	v_mad_u64_u32 v[4:5], null, 0xcd9e8d57, v8, 0
	v_xor3_b32 v6, v22, v10, v6
	s_delay_alu instid0(VALU_DEP_2) | instskip(NEXT) | instid1(VALU_DEP_2)
	v_xor3_b32 v8, v23, v5, v9
	v_mad_u64_u32 v[17:18], null, 0xd2511f53, v6, 0
	s_delay_alu instid0(VALU_DEP_2) | instskip(NEXT) | instid1(VALU_DEP_2)
	v_mad_u64_u32 v[5:6], null, 0xd2511f53, v8, 0
	v_xor3_b32 v9, v24, v18, v7
	s_delay_alu instid0(VALU_DEP_2) | instskip(NEXT) | instid1(VALU_DEP_2)
	v_xor3_b32 v6, v25, v6, v17
	v_mad_u64_u32 v[7:8], null, 0xcd9e8d57, v9, 0
	s_delay_alu instid0(VALU_DEP_1) | instskip(NEXT) | instid1(VALU_DEP_3)
	v_xor3_b32 v4, v26, v8, v4
	v_mad_u64_u32 v[8:9], null, 0xcd9e8d57, v6, 0
	s_delay_alu instid0(VALU_DEP_2) | instskip(NEXT) | instid1(VALU_DEP_2)
	v_mad_u64_u32 v[17:18], null, 0xd2511f53, v4, 0
	v_xor3_b32 v6, v27, v9, v7
	s_delay_alu instid0(VALU_DEP_2) | instskip(NEXT) | instid1(VALU_DEP_2)
	v_xor3_b32 v9, v28, v18, v5
	v_mad_u64_u32 v[4:5], null, 0xd2511f53, v6, 0
	s_delay_alu instid0(VALU_DEP_2) | instskip(NEXT) | instid1(VALU_DEP_2)
	v_mad_u64_u32 v[6:7], null, 0xcd9e8d57, v9, 0
	v_xor3_b32 v5, v31, v5, v17
	s_delay_alu instid0(VALU_DEP_2) | instskip(NEXT) | instid1(VALU_DEP_2)
	;; [unrolled: 6-line block ×6, first 2 shown]
	v_xor3_b32 v4, v6, v7, v30
	v_mov_b32_e32 v6, v10
	v_cmpx_lt_i32_e32 1, v29
	s_xor_b32 s0, exec_lo, s0
	s_cbranch_execnz .LBB25_12
; %bb.10:                               ;   in Loop: Header=BB25_9 Depth=1
	s_and_not1_saveexec_b32 s0, s0
	s_cbranch_execnz .LBB25_17
.LBB25_11:                              ;   in Loop: Header=BB25_9 Depth=1
	s_or_b32 exec_lo, exec_lo, s0
	s_delay_alu instid0(SALU_CYCLE_1)
	s_mov_b32 s37, exec_lo
	v_cmpx_gt_i64_e64 s[16:17], v[15:16]
	s_cbranch_execnz .LBB25_20
	s_branch .LBB25_38
.LBB25_12:                              ;   in Loop: Header=BB25_9 Depth=1
	s_mov_b32 s1, exec_lo
	v_cmpx_lt_i32_e32 2, v29
	s_xor_b32 s1, exec_lo, s1
; %bb.13:                               ;   in Loop: Header=BB25_9 Depth=1
	v_dual_mov_b32 v7, v3 :: v_dual_mov_b32 v8, v4
	v_mov_b32_e32 v9, v5
	s_delay_alu instid0(VALU_DEP_2) | instskip(NEXT) | instid1(VALU_DEP_2)
	v_dual_mov_b32 v0, v7 :: v_dual_mov_b32 v1, v8
	v_dual_mov_b32 v2, v9 :: v_dual_mov_b32 v3, v10
; %bb.14:                               ;   in Loop: Header=BB25_9 Depth=1
	s_and_not1_saveexec_b32 s1, s1
; %bb.15:                               ;   in Loop: Header=BB25_9 Depth=1
	s_delay_alu instid0(VALU_DEP_1)
	v_dual_mov_b32 v0, v2 :: v_dual_mov_b32 v1, v3
	v_dual_mov_b32 v2, v4 :: v_dual_mov_b32 v3, v5
; %bb.16:                               ;   in Loop: Header=BB25_9 Depth=1
	s_or_b32 exec_lo, exec_lo, s1
	s_and_not1_saveexec_b32 s0, s0
	s_cbranch_execz .LBB25_11
.LBB25_17:                              ;   in Loop: Header=BB25_9 Depth=1
	s_mov_b32 s1, exec_lo
	v_cmpx_eq_u32_e32 1, v29
; %bb.18:                               ;   in Loop: Header=BB25_9 Depth=1
	v_dual_mov_b32 v0, v1 :: v_dual_mov_b32 v1, v2
	v_dual_mov_b32 v2, v3 :: v_dual_mov_b32 v3, v4
; %bb.19:                               ;   in Loop: Header=BB25_9 Depth=1
	s_or_b32 exec_lo, exec_lo, s1
	s_delay_alu instid0(SALU_CYCLE_1) | instskip(NEXT) | instid1(SALU_CYCLE_1)
	s_or_b32 exec_lo, exec_lo, s0
	s_mov_b32 s37, exec_lo
	v_cmpx_gt_i64_e64 s[16:17], v[15:16]
	s_cbranch_execz .LBB25_38
.LBB25_20:                              ;   in Loop: Header=BB25_9 Depth=1
	s_and_not1_b32 vcc_lo, exec_lo, s11
	s_cbranch_vccnz .LBB25_26
; %bb.21:                               ;   in Loop: Header=BB25_9 Depth=1
	v_mov_b32_e32 v7, 0
	s_and_not1_b32 vcc_lo, exec_lo, s31
	s_cbranch_vccnz .LBB25_30
; %bb.22:                               ;   in Loop: Header=BB25_9 Depth=1
	s_and_not1_b32 vcc_lo, exec_lo, s34
	s_mov_b32 s0, 0
	s_cbranch_vccnz .LBB25_27
; %bb.23:                               ;   in Loop: Header=BB25_9 Depth=1
	v_dual_mov_b32 v7, 0 :: v_dual_mov_b32 v8, v15
	s_mov_b32 s38, 0
	s_mov_b64 s[0:1], s[18:19]
	s_mov_b64 s[26:27], s[24:25]
.LBB25_24:                              ;   Parent Loop BB25_9 Depth=1
                                        ; =>  This Inner Loop Header: Depth=2
	s_clause 0x1
	s_load_b256 s[40:47], s[0:1], 0x4
	s_load_b128 s[48:51], s[0:1], 0x24
	s_load_b128 s[52:55], s[26:27], 0x0
	s_add_u32 s0, s0, 48
	s_addc_u32 s1, s1, 0
	s_add_i32 s38, s38, 4
	s_add_u32 s26, s26, 16
	s_addc_u32 s27, s27, 0
	s_cmp_lg_u32 s35, s38
	s_waitcnt lgkmcnt(0)
	v_mul_hi_u32 v9, s41, v8
	s_delay_alu instid0(VALU_DEP_1) | instskip(NEXT) | instid1(VALU_DEP_1)
	v_add_nc_u32_e32 v9, v8, v9
	v_lshrrev_b32_e32 v9, s42, v9
	s_delay_alu instid0(VALU_DEP_1) | instskip(SKIP_1) | instid1(VALU_DEP_2)
	v_mul_hi_u32 v10, s44, v9
	v_mul_lo_u32 v42, v9, s40
	v_add_nc_u32_e32 v10, v9, v10
	s_delay_alu instid0(VALU_DEP_2) | instskip(NEXT) | instid1(VALU_DEP_2)
	v_sub_nc_u32_e32 v42, v8, v42
	v_lshrrev_b32_e32 v10, s45, v10
	s_delay_alu instid0(VALU_DEP_2) | instskip(NEXT) | instid1(VALU_DEP_2)
	v_mul_lo_u32 v42, v42, s52
	v_mul_hi_u32 v14, s47, v10
	v_mul_lo_u32 v43, v10, s43
	s_delay_alu instid0(VALU_DEP_2) | instskip(NEXT) | instid1(VALU_DEP_2)
	v_add_nc_u32_e32 v14, v10, v14
	v_sub_nc_u32_e32 v9, v9, v43
	s_delay_alu instid0(VALU_DEP_2) | instskip(NEXT) | instid1(VALU_DEP_2)
	v_lshrrev_b32_e32 v14, s48, v14
	v_mul_lo_u32 v9, v9, s53
	s_delay_alu instid0(VALU_DEP_2) | instskip(NEXT) | instid1(VALU_DEP_2)
	v_mul_hi_u32 v18, s50, v14
	v_add3_u32 v7, v42, v7, v9
	s_delay_alu instid0(VALU_DEP_2) | instskip(NEXT) | instid1(VALU_DEP_1)
	v_add_nc_u32_e32 v18, v14, v18
	v_lshrrev_b32_e32 v8, s51, v18
	v_mul_lo_u32 v18, v14, s46
	s_delay_alu instid0(VALU_DEP_2) | instskip(NEXT) | instid1(VALU_DEP_2)
	v_mul_lo_u32 v44, v8, s49
	v_sub_nc_u32_e32 v10, v10, v18
	s_delay_alu instid0(VALU_DEP_2) | instskip(NEXT) | instid1(VALU_DEP_2)
	v_sub_nc_u32_e32 v14, v14, v44
	v_mul_lo_u32 v10, v10, s54
	s_delay_alu instid0(VALU_DEP_2) | instskip(NEXT) | instid1(VALU_DEP_1)
	v_mul_lo_u32 v14, v14, s55
	v_add3_u32 v7, v10, v7, v14
	s_cbranch_scc1 .LBB25_24
; %bb.25:                               ;   in Loop: Header=BB25_9 Depth=1
	s_mov_b32 s0, s35
	s_and_not1_b32 vcc_lo, exec_lo, s36
	s_cbranch_vccz .LBB25_28
	s_branch .LBB25_30
.LBB25_26:                              ;   in Loop: Header=BB25_9 Depth=1
                                        ; implicit-def: $vgpr7
	s_branch .LBB25_31
.LBB25_27:                              ;   in Loop: Header=BB25_9 Depth=1
	v_mov_b32_e32 v8, v15
	s_and_not1_b32 vcc_lo, exec_lo, s36
	s_cbranch_vccnz .LBB25_30
.LBB25_28:                              ;   in Loop: Header=BB25_9 Depth=1
	s_lshl_b32 s1, s0, 2
	s_mul_i32 s26, s0, 12
	s_add_u32 s0, s24, s1
	s_addc_u32 s1, s25, 0
	s_add_u32 s26, s18, s26
	s_addc_u32 s27, s19, 0
	s_mov_b32 s38, s33
	.p2align	6
.LBB25_29:                              ;   Parent Loop BB25_9 Depth=1
                                        ; =>  This Inner Loop Header: Depth=2
	s_clause 0x1
	s_load_b64 s[40:41], s[26:27], 0x4
	s_load_b32 s39, s[26:27], 0xc
	s_add_u32 s26, s26, 12
	s_addc_u32 s27, s27, 0
	s_waitcnt lgkmcnt(0)
	v_mul_hi_u32 v9, s41, v8
	s_load_b32 s41, s[0:1], 0x0
	s_add_u32 s0, s0, 4
	s_addc_u32 s1, s1, 0
	s_add_i32 s38, s38, -1
	s_delay_alu instid0(SALU_CYCLE_1) | instskip(NEXT) | instid1(VALU_DEP_1)
	s_cmp_lg_u32 s38, 0
	v_add_nc_u32_e32 v9, v8, v9
	s_delay_alu instid0(VALU_DEP_1) | instskip(NEXT) | instid1(VALU_DEP_1)
	v_lshrrev_b32_e32 v14, s39, v9
	v_mul_lo_u32 v9, v14, s40
	s_delay_alu instid0(VALU_DEP_1) | instskip(SKIP_1) | instid1(VALU_DEP_1)
	v_sub_nc_u32_e32 v8, v8, v9
	s_waitcnt lgkmcnt(0)
	v_mad_u64_u32 v[9:10], null, v8, s41, v[7:8]
	s_delay_alu instid0(VALU_DEP_1)
	v_dual_mov_b32 v8, v14 :: v_dual_mov_b32 v7, v9
	s_cbranch_scc1 .LBB25_29
.LBB25_30:                              ;   in Loop: Header=BB25_9 Depth=1
	s_cbranch_execnz .LBB25_33
.LBB25_31:                              ;   in Loop: Header=BB25_9 Depth=1
	v_mul_hi_u32 v7, v15, s6
	s_and_not1_b32 vcc_lo, exec_lo, s4
	s_delay_alu instid0(VALU_DEP_1) | instskip(NEXT) | instid1(VALU_DEP_1)
	v_add_nc_u32_e32 v7, v7, v15
	v_lshrrev_b32_e32 v8, s7, v7
	s_delay_alu instid0(VALU_DEP_1) | instskip(NEXT) | instid1(VALU_DEP_1)
	v_mul_lo_u32 v7, v8, s5
	v_sub_nc_u32_e32 v7, v15, v7
	s_delay_alu instid0(VALU_DEP_1)
	v_mul_lo_u32 v7, v7, s22
	s_cbranch_vccnz .LBB25_33
; %bb.32:                               ;   in Loop: Header=BB25_9 Depth=1
	v_mul_hi_u32 v9, s9, v8
	s_delay_alu instid0(VALU_DEP_1) | instskip(NEXT) | instid1(VALU_DEP_1)
	v_add_nc_u32_e32 v9, v8, v9
	v_lshrrev_b32_e32 v9, s10, v9
	s_delay_alu instid0(VALU_DEP_1) | instskip(NEXT) | instid1(VALU_DEP_1)
	v_mul_lo_u32 v9, v9, s8
	v_sub_nc_u32_e32 v10, v8, v9
	s_delay_alu instid0(VALU_DEP_1) | instskip(NEXT) | instid1(VALU_DEP_1)
	v_mad_u64_u32 v[8:9], null, v10, s23, v[7:8]
	v_mov_b32_e32 v7, v8
.LBB25_33:                              ;   in Loop: Header=BB25_9 Depth=1
	v_or_b32_e32 v14, s15, v0
                                        ; implicit-def: $vgpr8_vgpr9
	s_mov_b32 s0, exec_lo
	s_delay_alu instid0(VALU_DEP_1)
	v_cmpx_ne_u64_e32 0, v[13:14]
	s_xor_b32 s1, exec_lo, s0
	s_cbranch_execz .LBB25_35
; %bb.34:                               ;   in Loop: Header=BB25_9 Depth=1
	v_cvt_f32_u32_e32 v8, s14
	v_cvt_f32_u32_e32 v9, s15
	s_sub_u32 s0, 0, s14
	s_subb_u32 s26, 0, s15
	s_delay_alu instid0(VALU_DEP_1) | instskip(NEXT) | instid1(VALU_DEP_1)
	v_fmac_f32_e32 v8, 0x4f800000, v9
	v_rcp_f32_e32 v8, v8
	s_waitcnt_depctr 0xfff
	v_mul_f32_e32 v8, 0x5f7ffffc, v8
	s_delay_alu instid0(VALU_DEP_1) | instskip(NEXT) | instid1(VALU_DEP_1)
	v_mul_f32_e32 v9, 0x2f800000, v8
	v_trunc_f32_e32 v9, v9
	s_delay_alu instid0(VALU_DEP_1) | instskip(SKIP_1) | instid1(VALU_DEP_2)
	v_fmac_f32_e32 v8, 0xcf800000, v9
	v_cvt_u32_f32_e32 v9, v9
	v_cvt_u32_f32_e32 v8, v8
	s_delay_alu instid0(VALU_DEP_2) | instskip(NEXT) | instid1(VALU_DEP_2)
	v_mul_lo_u32 v10, s0, v9
	v_mul_hi_u32 v14, s0, v8
	v_mul_lo_u32 v18, s26, v8
	s_delay_alu instid0(VALU_DEP_2) | instskip(SKIP_1) | instid1(VALU_DEP_2)
	v_add_nc_u32_e32 v10, v14, v10
	v_mul_lo_u32 v14, s0, v8
	v_add_nc_u32_e32 v10, v10, v18
	s_delay_alu instid0(VALU_DEP_2) | instskip(NEXT) | instid1(VALU_DEP_2)
	v_mul_hi_u32 v18, v8, v14
	v_mul_lo_u32 v42, v8, v10
	v_mul_hi_u32 v43, v8, v10
	v_mul_hi_u32 v44, v9, v14
	v_mul_lo_u32 v14, v9, v14
	v_mul_hi_u32 v45, v9, v10
	v_mul_lo_u32 v10, v9, v10
	v_add_co_u32 v18, vcc_lo, v18, v42
	v_add_co_ci_u32_e32 v42, vcc_lo, 0, v43, vcc_lo
	s_delay_alu instid0(VALU_DEP_2) | instskip(NEXT) | instid1(VALU_DEP_2)
	v_add_co_u32 v14, vcc_lo, v18, v14
	v_add_co_ci_u32_e32 v14, vcc_lo, v42, v44, vcc_lo
	v_add_co_ci_u32_e32 v18, vcc_lo, 0, v45, vcc_lo
	s_delay_alu instid0(VALU_DEP_2) | instskip(NEXT) | instid1(VALU_DEP_2)
	v_add_co_u32 v10, vcc_lo, v14, v10
	v_add_co_ci_u32_e32 v14, vcc_lo, 0, v18, vcc_lo
	s_delay_alu instid0(VALU_DEP_2) | instskip(NEXT) | instid1(VALU_DEP_2)
	v_add_co_u32 v8, vcc_lo, v8, v10
	v_add_co_ci_u32_e32 v9, vcc_lo, v9, v14, vcc_lo
	s_delay_alu instid0(VALU_DEP_2) | instskip(SKIP_1) | instid1(VALU_DEP_3)
	v_mul_hi_u32 v10, s0, v8
	v_mul_lo_u32 v18, s26, v8
	v_mul_lo_u32 v14, s0, v9
	s_delay_alu instid0(VALU_DEP_1) | instskip(SKIP_1) | instid1(VALU_DEP_2)
	v_add_nc_u32_e32 v10, v10, v14
	v_mul_lo_u32 v14, s0, v8
	v_add_nc_u32_e32 v10, v10, v18
	s_delay_alu instid0(VALU_DEP_2) | instskip(NEXT) | instid1(VALU_DEP_2)
	v_mul_hi_u32 v18, v8, v14
	v_mul_lo_u32 v42, v8, v10
	v_mul_hi_u32 v43, v8, v10
	v_mul_hi_u32 v44, v9, v14
	v_mul_lo_u32 v14, v9, v14
	v_mul_hi_u32 v45, v9, v10
	v_mul_lo_u32 v10, v9, v10
	v_add_co_u32 v18, vcc_lo, v18, v42
	v_add_co_ci_u32_e32 v42, vcc_lo, 0, v43, vcc_lo
	s_delay_alu instid0(VALU_DEP_2) | instskip(NEXT) | instid1(VALU_DEP_2)
	v_add_co_u32 v14, vcc_lo, v18, v14
	v_add_co_ci_u32_e32 v14, vcc_lo, v42, v44, vcc_lo
	v_add_co_ci_u32_e32 v18, vcc_lo, 0, v45, vcc_lo
	s_delay_alu instid0(VALU_DEP_2) | instskip(NEXT) | instid1(VALU_DEP_2)
	v_add_co_u32 v10, vcc_lo, v14, v10
	v_add_co_ci_u32_e32 v14, vcc_lo, 0, v18, vcc_lo
	s_delay_alu instid0(VALU_DEP_2) | instskip(NEXT) | instid1(VALU_DEP_2)
	v_add_co_u32 v10, vcc_lo, v8, v10
	v_add_co_ci_u32_e32 v14, vcc_lo, v9, v14, vcc_lo
	s_delay_alu instid0(VALU_DEP_2) | instskip(SKIP_1) | instid1(VALU_DEP_3)
	v_mul_hi_u32 v18, v1, v10
	v_mad_u64_u32 v[42:43], null, v0, v10, 0
	v_mad_u64_u32 v[8:9], null, v1, v14, 0
	;; [unrolled: 1-line block ×3, first 2 shown]
	s_delay_alu instid0(VALU_DEP_2) | instskip(NEXT) | instid1(VALU_DEP_3)
	v_add_co_u32 v8, vcc_lo, v18, v8
	v_add_co_ci_u32_e32 v9, vcc_lo, 0, v9, vcc_lo
	s_delay_alu instid0(VALU_DEP_2) | instskip(NEXT) | instid1(VALU_DEP_2)
	v_add_co_u32 v8, vcc_lo, v8, v42
	v_add_co_ci_u32_e32 v8, vcc_lo, v9, v43, vcc_lo
	v_add_co_ci_u32_e32 v9, vcc_lo, 0, v45, vcc_lo
	s_delay_alu instid0(VALU_DEP_2) | instskip(NEXT) | instid1(VALU_DEP_2)
	v_add_co_u32 v10, vcc_lo, v8, v44
	v_add_co_ci_u32_e32 v14, vcc_lo, 0, v9, vcc_lo
	s_delay_alu instid0(VALU_DEP_2) | instskip(SKIP_1) | instid1(VALU_DEP_3)
	v_mul_lo_u32 v18, s15, v10
	v_mad_u64_u32 v[8:9], null, s14, v10, 0
	v_mul_lo_u32 v10, s14, v14
	s_delay_alu instid0(VALU_DEP_2) | instskip(NEXT) | instid1(VALU_DEP_2)
	v_sub_co_u32 v8, vcc_lo, v1, v8
	v_add3_u32 v9, v9, v10, v18
	s_delay_alu instid0(VALU_DEP_1) | instskip(NEXT) | instid1(VALU_DEP_1)
	v_sub_nc_u32_e32 v10, v0, v9
	v_subrev_co_ci_u32_e64 v10, s0, s15, v10, vcc_lo
	v_sub_co_ci_u32_e32 v0, vcc_lo, v0, v9, vcc_lo
	v_sub_co_u32 v9, vcc_lo, v8, s14
	s_delay_alu instid0(VALU_DEP_1) | instskip(SKIP_3) | instid1(VALU_DEP_3)
	v_subrev_co_ci_u32_e64 v14, s0, 0, v10, vcc_lo
	v_cmp_le_u32_e64 s0, s14, v8
	v_subrev_co_ci_u32_e32 v10, vcc_lo, s15, v10, vcc_lo
	v_cmp_le_u32_e32 vcc_lo, s15, v0
	v_cndmask_b32_e64 v18, 0, -1, s0
	v_cmp_le_u32_e64 s0, s14, v9
	v_cndmask_b32_e64 v44, 0, -1, vcc_lo
	v_cmp_eq_u32_e32 vcc_lo, s15, v14
	s_delay_alu instid0(VALU_DEP_3) | instskip(SKIP_1) | instid1(VALU_DEP_1)
	v_cndmask_b32_e64 v42, 0, -1, s0
	v_cmp_le_u32_e64 s0, s15, v14
	v_cndmask_b32_e64 v43, 0, -1, s0
	v_cmp_eq_u32_e64 s0, s15, v0
	s_delay_alu instid0(VALU_DEP_2) | instskip(SKIP_2) | instid1(VALU_DEP_3)
	v_cndmask_b32_e32 v42, v43, v42, vcc_lo
	v_sub_co_u32 v43, vcc_lo, v9, s14
	v_subrev_co_ci_u32_e32 v10, vcc_lo, 0, v10, vcc_lo
	v_cmp_ne_u32_e32 vcc_lo, 0, v42
	v_cndmask_b32_e64 v18, v44, v18, s0
	s_delay_alu instid0(VALU_DEP_3) | instskip(SKIP_1) | instid1(VALU_DEP_3)
	v_cndmask_b32_e32 v10, v14, v10, vcc_lo
	v_cndmask_b32_e32 v14, v9, v43, vcc_lo
	v_cmp_ne_u32_e32 vcc_lo, 0, v18
	s_delay_alu instid0(VALU_DEP_3) | instskip(NEXT) | instid1(VALU_DEP_3)
	v_cndmask_b32_e32 v9, v0, v10, vcc_lo
	v_cndmask_b32_e32 v8, v8, v14, vcc_lo
.LBB25_35:                              ;   in Loop: Header=BB25_9 Depth=1
	s_and_not1_saveexec_b32 s0, s1
	s_cbranch_execz .LBB25_37
; %bb.36:                               ;   in Loop: Header=BB25_9 Depth=1
	v_cvt_f32_u32_e32 v0, s14
	s_sub_i32 s1, 0, s14
	v_mov_b32_e32 v9, v13
	s_delay_alu instid0(VALU_DEP_2) | instskip(SKIP_2) | instid1(VALU_DEP_1)
	v_rcp_iflag_f32_e32 v0, v0
	s_waitcnt_depctr 0xfff
	v_mul_f32_e32 v0, 0x4f7ffffe, v0
	v_cvt_u32_f32_e32 v0, v0
	s_delay_alu instid0(VALU_DEP_1) | instskip(NEXT) | instid1(VALU_DEP_1)
	v_mul_lo_u32 v8, s1, v0
	v_mul_hi_u32 v8, v0, v8
	s_delay_alu instid0(VALU_DEP_1) | instskip(NEXT) | instid1(VALU_DEP_1)
	v_add_nc_u32_e32 v0, v0, v8
	v_mul_hi_u32 v0, v1, v0
	s_delay_alu instid0(VALU_DEP_1) | instskip(NEXT) | instid1(VALU_DEP_1)
	v_mul_lo_u32 v0, v0, s14
	v_sub_nc_u32_e32 v0, v1, v0
	s_delay_alu instid0(VALU_DEP_1) | instskip(SKIP_1) | instid1(VALU_DEP_2)
	v_subrev_nc_u32_e32 v1, s14, v0
	v_cmp_le_u32_e32 vcc_lo, s14, v0
	v_cndmask_b32_e32 v0, v0, v1, vcc_lo
	s_delay_alu instid0(VALU_DEP_1) | instskip(SKIP_1) | instid1(VALU_DEP_2)
	v_subrev_nc_u32_e32 v1, s14, v0
	v_cmp_le_u32_e32 vcc_lo, s14, v0
	v_cndmask_b32_e32 v8, v0, v1, vcc_lo
.LBB25_37:                              ;   in Loop: Header=BB25_9 Depth=1
	s_or_b32 exec_lo, exec_lo, s0
	s_delay_alu instid0(VALU_DEP_1) | instskip(SKIP_1) | instid1(VALU_DEP_1)
	v_add_co_u32 v0, vcc_lo, v8, s20
	v_add_co_ci_u32_e32 v1, vcc_lo, s21, v9, vcc_lo
	v_xor_b32_e32 v8, v0, v1
	v_cls_i32_e32 v9, v1
	s_delay_alu instid0(VALU_DEP_2) | instskip(NEXT) | instid1(VALU_DEP_2)
	v_ashrrev_i32_e32 v8, 31, v8
	v_add_nc_u32_e32 v9, -1, v9
	s_delay_alu instid0(VALU_DEP_2) | instskip(NEXT) | instid1(VALU_DEP_1)
	v_add_nc_u32_e32 v8, 32, v8
	v_min_u32_e32 v8, v9, v8
	s_delay_alu instid0(VALU_DEP_1) | instskip(NEXT) | instid1(VALU_DEP_1)
	v_lshlrev_b64 v[0:1], v8, v[0:1]
	v_min_u32_e32 v0, 1, v0
	s_delay_alu instid0(VALU_DEP_1) | instskip(SKIP_1) | instid1(VALU_DEP_2)
	v_or_b32_e32 v0, v1, v0
	v_sub_nc_u32_e32 v1, 32, v8
	v_cvt_f32_i32_e32 v0, v0
	s_delay_alu instid0(VALU_DEP_1)
	v_ldexp_f32 v0, v0, v1
	global_store_b32 v7, v0, s[12:13]
.LBB25_38:                              ;   in Loop: Header=BB25_9 Depth=1
	s_or_b32 exec_lo, exec_lo, s37
	v_add_co_u32 v0, vcc_lo, v15, s28
	v_add_co_ci_u32_e32 v1, vcc_lo, 0, v16, vcc_lo
	s_mov_b32 s37, exec_lo
	s_delay_alu instid0(VALU_DEP_1)
	v_cmpx_gt_i64_e64 s[16:17], v[0:1]
	s_cbranch_execz .LBB25_8
; %bb.39:                               ;   in Loop: Header=BB25_9 Depth=1
	s_and_not1_b32 vcc_lo, exec_lo, s11
	s_cbranch_vccnz .LBB25_45
; %bb.40:                               ;   in Loop: Header=BB25_9 Depth=1
	v_mov_b32_e32 v7, 0
	s_and_not1_b32 vcc_lo, exec_lo, s31
	s_cbranch_vccnz .LBB25_49
; %bb.41:                               ;   in Loop: Header=BB25_9 Depth=1
	s_and_not1_b32 vcc_lo, exec_lo, s34
	s_mov_b32 s0, 0
	s_cbranch_vccnz .LBB25_46
; %bb.42:                               ;   in Loop: Header=BB25_9 Depth=1
	v_mov_b32_e32 v7, 0
	v_mov_b32_e32 v1, v0
	s_mov_b32 s38, 0
	s_mov_b64 s[0:1], s[18:19]
	s_mov_b64 s[26:27], s[24:25]
.LBB25_43:                              ;   Parent Loop BB25_9 Depth=1
                                        ; =>  This Inner Loop Header: Depth=2
	s_clause 0x1
	s_load_b256 s[40:47], s[0:1], 0x4
	s_load_b128 s[48:51], s[0:1], 0x24
	s_load_b128 s[52:55], s[26:27], 0x0
	s_add_u32 s0, s0, 48
	s_addc_u32 s1, s1, 0
	s_add_i32 s38, s38, 4
	s_add_u32 s26, s26, 16
	s_addc_u32 s27, s27, 0
	s_cmp_eq_u32 s35, s38
	s_waitcnt lgkmcnt(0)
	v_mul_hi_u32 v8, s41, v1
	s_delay_alu instid0(VALU_DEP_1) | instskip(NEXT) | instid1(VALU_DEP_1)
	v_add_nc_u32_e32 v8, v1, v8
	v_lshrrev_b32_e32 v8, s42, v8
	s_delay_alu instid0(VALU_DEP_1) | instskip(SKIP_1) | instid1(VALU_DEP_2)
	v_mul_hi_u32 v9, s44, v8
	v_mul_lo_u32 v18, v8, s40
	v_add_nc_u32_e32 v9, v8, v9
	s_delay_alu instid0(VALU_DEP_2) | instskip(NEXT) | instid1(VALU_DEP_2)
	v_sub_nc_u32_e32 v18, v1, v18
	v_lshrrev_b32_e32 v9, s45, v9
	s_delay_alu instid0(VALU_DEP_2) | instskip(NEXT) | instid1(VALU_DEP_2)
	v_mul_lo_u32 v18, v18, s52
	v_mul_hi_u32 v10, s47, v9
	v_mul_lo_u32 v42, v9, s43
	s_delay_alu instid0(VALU_DEP_2) | instskip(NEXT) | instid1(VALU_DEP_2)
	v_add_nc_u32_e32 v10, v9, v10
	v_sub_nc_u32_e32 v8, v8, v42
	s_delay_alu instid0(VALU_DEP_2) | instskip(NEXT) | instid1(VALU_DEP_2)
	v_lshrrev_b32_e32 v10, s48, v10
	v_mul_lo_u32 v8, v8, s53
	s_delay_alu instid0(VALU_DEP_2) | instskip(NEXT) | instid1(VALU_DEP_2)
	v_mul_hi_u32 v14, s50, v10
	v_add3_u32 v7, v18, v7, v8
	s_delay_alu instid0(VALU_DEP_2) | instskip(NEXT) | instid1(VALU_DEP_1)
	v_add_nc_u32_e32 v14, v10, v14
	v_lshrrev_b32_e32 v1, s51, v14
	v_mul_lo_u32 v14, v10, s46
	s_delay_alu instid0(VALU_DEP_2) | instskip(NEXT) | instid1(VALU_DEP_2)
	v_mul_lo_u32 v43, v1, s49
	v_sub_nc_u32_e32 v9, v9, v14
	s_delay_alu instid0(VALU_DEP_2) | instskip(NEXT) | instid1(VALU_DEP_2)
	v_sub_nc_u32_e32 v10, v10, v43
	v_mul_lo_u32 v9, v9, s54
	s_delay_alu instid0(VALU_DEP_2) | instskip(NEXT) | instid1(VALU_DEP_1)
	v_mul_lo_u32 v10, v10, s55
	v_add3_u32 v7, v9, v7, v10
	s_cbranch_scc0 .LBB25_43
; %bb.44:                               ;   in Loop: Header=BB25_9 Depth=1
	s_mov_b32 s0, s35
	s_and_not1_b32 vcc_lo, exec_lo, s36
	s_cbranch_vccz .LBB25_47
	s_branch .LBB25_49
.LBB25_45:                              ;   in Loop: Header=BB25_9 Depth=1
                                        ; implicit-def: $vgpr7
	s_branch .LBB25_50
.LBB25_46:                              ;   in Loop: Header=BB25_9 Depth=1
	v_mov_b32_e32 v1, v0
	s_and_not1_b32 vcc_lo, exec_lo, s36
	s_cbranch_vccnz .LBB25_49
.LBB25_47:                              ;   in Loop: Header=BB25_9 Depth=1
	s_lshl_b32 s1, s0, 2
	s_mul_i32 s26, s0, 12
	s_add_u32 s0, s24, s1
	s_addc_u32 s1, s25, 0
	s_add_u32 s26, s18, s26
	s_addc_u32 s27, s19, 0
	s_mov_b32 s38, s33
	.p2align	6
.LBB25_48:                              ;   Parent Loop BB25_9 Depth=1
                                        ; =>  This Inner Loop Header: Depth=2
	s_clause 0x1
	s_load_b64 s[40:41], s[26:27], 0x4
	s_load_b32 s39, s[26:27], 0xc
	s_add_u32 s26, s26, 12
	s_addc_u32 s27, s27, 0
	s_waitcnt lgkmcnt(0)
	v_mul_hi_u32 v8, s41, v1
	s_load_b32 s41, s[0:1], 0x0
	s_add_u32 s0, s0, 4
	s_addc_u32 s1, s1, 0
	s_add_i32 s38, s38, -1
	s_delay_alu instid0(SALU_CYCLE_1) | instskip(NEXT) | instid1(VALU_DEP_1)
	s_cmp_lg_u32 s38, 0
	v_add_nc_u32_e32 v8, v1, v8
	s_delay_alu instid0(VALU_DEP_1) | instskip(NEXT) | instid1(VALU_DEP_1)
	v_lshrrev_b32_e32 v10, s39, v8
	v_mul_lo_u32 v8, v10, s40
	s_delay_alu instid0(VALU_DEP_1) | instskip(SKIP_1) | instid1(VALU_DEP_1)
	v_sub_nc_u32_e32 v1, v1, v8
	s_waitcnt lgkmcnt(0)
	v_mad_u64_u32 v[8:9], null, v1, s41, v[7:8]
	v_mov_b32_e32 v1, v10
	s_delay_alu instid0(VALU_DEP_2)
	v_mov_b32_e32 v7, v8
	s_cbranch_scc1 .LBB25_48
.LBB25_49:                              ;   in Loop: Header=BB25_9 Depth=1
	s_cbranch_execnz .LBB25_52
.LBB25_50:                              ;   in Loop: Header=BB25_9 Depth=1
	v_mul_hi_u32 v1, v0, s6
	s_and_not1_b32 vcc_lo, exec_lo, s4
	s_delay_alu instid0(VALU_DEP_1) | instskip(NEXT) | instid1(VALU_DEP_1)
	v_add_nc_u32_e32 v1, v1, v0
	v_lshrrev_b32_e32 v1, s7, v1
	s_delay_alu instid0(VALU_DEP_1) | instskip(NEXT) | instid1(VALU_DEP_1)
	v_mul_lo_u32 v7, v1, s5
	v_sub_nc_u32_e32 v0, v0, v7
	s_delay_alu instid0(VALU_DEP_1)
	v_mul_lo_u32 v7, v0, s22
	s_cbranch_vccnz .LBB25_52
; %bb.51:                               ;   in Loop: Header=BB25_9 Depth=1
	v_mul_hi_u32 v0, s9, v1
	s_delay_alu instid0(VALU_DEP_1) | instskip(NEXT) | instid1(VALU_DEP_1)
	v_add_nc_u32_e32 v0, v1, v0
	v_lshrrev_b32_e32 v0, s10, v0
	s_delay_alu instid0(VALU_DEP_1) | instskip(NEXT) | instid1(VALU_DEP_1)
	v_mul_lo_u32 v0, v0, s8
	v_sub_nc_u32_e32 v8, v1, v0
	s_delay_alu instid0(VALU_DEP_1) | instskip(NEXT) | instid1(VALU_DEP_1)
	v_mad_u64_u32 v[0:1], null, v8, s23, v[7:8]
	v_mov_b32_e32 v7, v0
.LBB25_52:                              ;   in Loop: Header=BB25_9 Depth=1
	v_or_b32_e32 v14, s15, v2
                                        ; implicit-def: $vgpr8_vgpr9
	s_mov_b32 s0, exec_lo
	s_delay_alu instid0(VALU_DEP_1)
	v_cmpx_ne_u64_e32 0, v[13:14]
	s_xor_b32 s1, exec_lo, s0
	s_cbranch_execz .LBB25_54
; %bb.53:                               ;   in Loop: Header=BB25_9 Depth=1
	v_cvt_f32_u32_e32 v0, s14
	v_cvt_f32_u32_e32 v1, s15
	s_sub_u32 s0, 0, s14
	s_subb_u32 s26, 0, s15
	s_delay_alu instid0(VALU_DEP_1) | instskip(NEXT) | instid1(VALU_DEP_1)
	v_fmac_f32_e32 v0, 0x4f800000, v1
	v_rcp_f32_e32 v0, v0
	s_waitcnt_depctr 0xfff
	v_mul_f32_e32 v0, 0x5f7ffffc, v0
	s_delay_alu instid0(VALU_DEP_1) | instskip(NEXT) | instid1(VALU_DEP_1)
	v_mul_f32_e32 v1, 0x2f800000, v0
	v_trunc_f32_e32 v1, v1
	s_delay_alu instid0(VALU_DEP_1) | instskip(SKIP_1) | instid1(VALU_DEP_2)
	v_fmac_f32_e32 v0, 0xcf800000, v1
	v_cvt_u32_f32_e32 v1, v1
	v_cvt_u32_f32_e32 v0, v0
	s_delay_alu instid0(VALU_DEP_2) | instskip(NEXT) | instid1(VALU_DEP_2)
	v_mul_lo_u32 v8, s0, v1
	v_mul_hi_u32 v9, s0, v0
	v_mul_lo_u32 v10, s26, v0
	s_delay_alu instid0(VALU_DEP_2) | instskip(SKIP_1) | instid1(VALU_DEP_2)
	v_add_nc_u32_e32 v8, v9, v8
	v_mul_lo_u32 v9, s0, v0
	v_add_nc_u32_e32 v8, v8, v10
	s_delay_alu instid0(VALU_DEP_2) | instskip(NEXT) | instid1(VALU_DEP_2)
	v_mul_hi_u32 v10, v0, v9
	v_mul_lo_u32 v14, v0, v8
	v_mul_hi_u32 v18, v0, v8
	v_mul_hi_u32 v42, v1, v9
	v_mul_lo_u32 v9, v1, v9
	v_mul_hi_u32 v43, v1, v8
	v_mul_lo_u32 v8, v1, v8
	v_add_co_u32 v10, vcc_lo, v10, v14
	v_add_co_ci_u32_e32 v14, vcc_lo, 0, v18, vcc_lo
	s_delay_alu instid0(VALU_DEP_2) | instskip(NEXT) | instid1(VALU_DEP_2)
	v_add_co_u32 v9, vcc_lo, v10, v9
	v_add_co_ci_u32_e32 v9, vcc_lo, v14, v42, vcc_lo
	v_add_co_ci_u32_e32 v10, vcc_lo, 0, v43, vcc_lo
	s_delay_alu instid0(VALU_DEP_2) | instskip(NEXT) | instid1(VALU_DEP_2)
	v_add_co_u32 v8, vcc_lo, v9, v8
	v_add_co_ci_u32_e32 v9, vcc_lo, 0, v10, vcc_lo
	s_delay_alu instid0(VALU_DEP_2) | instskip(NEXT) | instid1(VALU_DEP_2)
	v_add_co_u32 v0, vcc_lo, v0, v8
	v_add_co_ci_u32_e32 v1, vcc_lo, v1, v9, vcc_lo
	s_delay_alu instid0(VALU_DEP_2) | instskip(SKIP_1) | instid1(VALU_DEP_3)
	v_mul_hi_u32 v8, s0, v0
	v_mul_lo_u32 v10, s26, v0
	v_mul_lo_u32 v9, s0, v1
	s_delay_alu instid0(VALU_DEP_1) | instskip(SKIP_1) | instid1(VALU_DEP_2)
	v_add_nc_u32_e32 v8, v8, v9
	v_mul_lo_u32 v9, s0, v0
	v_add_nc_u32_e32 v8, v8, v10
	s_delay_alu instid0(VALU_DEP_2) | instskip(NEXT) | instid1(VALU_DEP_2)
	v_mul_hi_u32 v10, v0, v9
	v_mul_lo_u32 v14, v0, v8
	v_mul_hi_u32 v18, v0, v8
	v_mul_hi_u32 v42, v1, v9
	v_mul_lo_u32 v9, v1, v9
	v_mul_hi_u32 v43, v1, v8
	v_mul_lo_u32 v8, v1, v8
	v_add_co_u32 v10, vcc_lo, v10, v14
	v_add_co_ci_u32_e32 v14, vcc_lo, 0, v18, vcc_lo
	s_delay_alu instid0(VALU_DEP_2) | instskip(NEXT) | instid1(VALU_DEP_2)
	v_add_co_u32 v9, vcc_lo, v10, v9
	v_add_co_ci_u32_e32 v9, vcc_lo, v14, v42, vcc_lo
	v_add_co_ci_u32_e32 v10, vcc_lo, 0, v43, vcc_lo
	s_delay_alu instid0(VALU_DEP_2) | instskip(NEXT) | instid1(VALU_DEP_2)
	v_add_co_u32 v8, vcc_lo, v9, v8
	v_add_co_ci_u32_e32 v9, vcc_lo, 0, v10, vcc_lo
	s_delay_alu instid0(VALU_DEP_2) | instskip(NEXT) | instid1(VALU_DEP_2)
	v_add_co_u32 v10, vcc_lo, v0, v8
	v_add_co_ci_u32_e32 v14, vcc_lo, v1, v9, vcc_lo
	s_delay_alu instid0(VALU_DEP_2) | instskip(SKIP_1) | instid1(VALU_DEP_3)
	v_mul_hi_u32 v18, v3, v10
	v_mad_u64_u32 v[8:9], null, v2, v10, 0
	v_mad_u64_u32 v[0:1], null, v3, v14, 0
	;; [unrolled: 1-line block ×3, first 2 shown]
	s_delay_alu instid0(VALU_DEP_2) | instskip(NEXT) | instid1(VALU_DEP_3)
	v_add_co_u32 v0, vcc_lo, v18, v0
	v_add_co_ci_u32_e32 v1, vcc_lo, 0, v1, vcc_lo
	s_delay_alu instid0(VALU_DEP_2) | instskip(NEXT) | instid1(VALU_DEP_2)
	v_add_co_u32 v0, vcc_lo, v0, v8
	v_add_co_ci_u32_e32 v0, vcc_lo, v1, v9, vcc_lo
	v_add_co_ci_u32_e32 v1, vcc_lo, 0, v43, vcc_lo
	s_delay_alu instid0(VALU_DEP_2) | instskip(NEXT) | instid1(VALU_DEP_2)
	v_add_co_u32 v8, vcc_lo, v0, v42
	v_add_co_ci_u32_e32 v9, vcc_lo, 0, v1, vcc_lo
	s_delay_alu instid0(VALU_DEP_2) | instskip(SKIP_1) | instid1(VALU_DEP_3)
	v_mul_lo_u32 v10, s15, v8
	v_mad_u64_u32 v[0:1], null, s14, v8, 0
	v_mul_lo_u32 v8, s14, v9
	s_delay_alu instid0(VALU_DEP_2) | instskip(NEXT) | instid1(VALU_DEP_2)
	v_sub_co_u32 v0, vcc_lo, v3, v0
	v_add3_u32 v1, v1, v8, v10
	s_delay_alu instid0(VALU_DEP_1) | instskip(NEXT) | instid1(VALU_DEP_1)
	v_sub_nc_u32_e32 v8, v2, v1
	v_subrev_co_ci_u32_e64 v3, s0, s15, v8, vcc_lo
	v_sub_co_ci_u32_e32 v1, vcc_lo, v2, v1, vcc_lo
	v_sub_co_u32 v2, vcc_lo, v0, s14
	s_delay_alu instid0(VALU_DEP_1) | instskip(SKIP_3) | instid1(VALU_DEP_3)
	v_subrev_co_ci_u32_e64 v8, s0, 0, v3, vcc_lo
	v_cmp_le_u32_e64 s0, s14, v0
	v_subrev_co_ci_u32_e32 v3, vcc_lo, s15, v3, vcc_lo
	v_cmp_le_u32_e32 vcc_lo, s15, v1
	v_cndmask_b32_e64 v9, 0, -1, s0
	v_cmp_le_u32_e64 s0, s14, v2
	v_cndmask_b32_e64 v18, 0, -1, vcc_lo
	v_cmp_eq_u32_e32 vcc_lo, s15, v8
	s_delay_alu instid0(VALU_DEP_3) | instskip(SKIP_1) | instid1(VALU_DEP_1)
	v_cndmask_b32_e64 v10, 0, -1, s0
	v_cmp_le_u32_e64 s0, s15, v8
	v_cndmask_b32_e64 v14, 0, -1, s0
	v_cmp_eq_u32_e64 s0, s15, v1
	s_delay_alu instid0(VALU_DEP_2) | instskip(SKIP_2) | instid1(VALU_DEP_3)
	v_cndmask_b32_e32 v10, v14, v10, vcc_lo
	v_sub_co_u32 v14, vcc_lo, v2, s14
	v_subrev_co_ci_u32_e32 v3, vcc_lo, 0, v3, vcc_lo
	v_cmp_ne_u32_e32 vcc_lo, 0, v10
	v_cndmask_b32_e64 v9, v18, v9, s0
	s_delay_alu instid0(VALU_DEP_3) | instskip(NEXT) | instid1(VALU_DEP_2)
	v_dual_cndmask_b32 v3, v8, v3 :: v_dual_cndmask_b32 v2, v2, v14
	v_cmp_ne_u32_e32 vcc_lo, 0, v9
	s_delay_alu instid0(VALU_DEP_2)
	v_dual_cndmask_b32 v9, v1, v3 :: v_dual_cndmask_b32 v8, v0, v2
                                        ; implicit-def: $vgpr0_vgpr1_vgpr2_vgpr3
.LBB25_54:                              ;   in Loop: Header=BB25_9 Depth=1
	s_and_not1_saveexec_b32 s0, s1
	s_cbranch_execz .LBB25_7
; %bb.55:                               ;   in Loop: Header=BB25_9 Depth=1
	v_cvt_f32_u32_e32 v0, s14
	s_sub_i32 s1, 0, s14
	v_mov_b32_e32 v9, v13
	s_delay_alu instid0(VALU_DEP_2) | instskip(SKIP_2) | instid1(VALU_DEP_1)
	v_rcp_iflag_f32_e32 v0, v0
	s_waitcnt_depctr 0xfff
	v_mul_f32_e32 v0, 0x4f7ffffe, v0
	v_cvt_u32_f32_e32 v0, v0
	s_delay_alu instid0(VALU_DEP_1) | instskip(NEXT) | instid1(VALU_DEP_1)
	v_mul_lo_u32 v1, s1, v0
	v_mul_hi_u32 v1, v0, v1
	s_delay_alu instid0(VALU_DEP_1) | instskip(NEXT) | instid1(VALU_DEP_1)
	v_add_nc_u32_e32 v0, v0, v1
	v_mul_hi_u32 v0, v3, v0
	s_delay_alu instid0(VALU_DEP_1) | instskip(NEXT) | instid1(VALU_DEP_1)
	v_mul_lo_u32 v0, v0, s14
	v_sub_nc_u32_e32 v0, v3, v0
	s_delay_alu instid0(VALU_DEP_1) | instskip(SKIP_1) | instid1(VALU_DEP_2)
	v_subrev_nc_u32_e32 v1, s14, v0
	v_cmp_le_u32_e32 vcc_lo, s14, v0
	v_cndmask_b32_e32 v0, v0, v1, vcc_lo
	s_delay_alu instid0(VALU_DEP_1) | instskip(SKIP_1) | instid1(VALU_DEP_2)
	v_subrev_nc_u32_e32 v1, s14, v0
	v_cmp_le_u32_e32 vcc_lo, s14, v0
	v_cndmask_b32_e32 v8, v0, v1, vcc_lo
	s_branch .LBB25_7
.LBB25_56:
	s_endpgm
.LBB25_57:
                                        ; implicit-def: $sgpr2_sgpr3
	s_branch .LBB25_4
	.section	.rodata,"a",@progbits
	.p2align	6, 0x0
	.amdhsa_kernel _ZN2at6native12_GLOBAL__N_143distribution_elementwise_grid_stride_kernelImLi2EZZZNS0_9templates4cuda21random_from_to_kernelIPNS_17CUDAGeneratorImplEEEvRNS_18TensorIteratorBaseEmlT_ENKUlvE_clEvENKUlvE5_clEvEUlP25hiprandStatePhilox4_32_10E_ZNS1_27distribution_nullary_kernelIfm15HIP_vector_typeIyLj2EES7_SF_ZZZNS5_IS7_EEvS9_mlSA_ENKSB_clEvENKSC_clEvEUlmE_EEvS9_T2_RKT3_T4_EUlimE0_EEvlNS_15PhiloxCudaStateET1_SK_
		.amdhsa_group_segment_fixed_size 0
		.amdhsa_private_segment_fixed_size 0
		.amdhsa_kernarg_size 592
		.amdhsa_user_sgpr_count 15
		.amdhsa_user_sgpr_dispatch_ptr 0
		.amdhsa_user_sgpr_queue_ptr 0
		.amdhsa_user_sgpr_kernarg_segment_ptr 1
		.amdhsa_user_sgpr_dispatch_id 0
		.amdhsa_user_sgpr_private_segment_size 0
		.amdhsa_wavefront_size32 1
		.amdhsa_uses_dynamic_stack 0
		.amdhsa_enable_private_segment 0
		.amdhsa_system_sgpr_workgroup_id_x 1
		.amdhsa_system_sgpr_workgroup_id_y 0
		.amdhsa_system_sgpr_workgroup_id_z 0
		.amdhsa_system_sgpr_workgroup_info 0
		.amdhsa_system_vgpr_workitem_id 0
		.amdhsa_next_free_vgpr 46
		.amdhsa_next_free_sgpr 56
		.amdhsa_reserve_vcc 1
		.amdhsa_float_round_mode_32 0
		.amdhsa_float_round_mode_16_64 0
		.amdhsa_float_denorm_mode_32 3
		.amdhsa_float_denorm_mode_16_64 3
		.amdhsa_dx10_clamp 1
		.amdhsa_ieee_mode 1
		.amdhsa_fp16_overflow 0
		.amdhsa_workgroup_processor_mode 1
		.amdhsa_memory_ordered 1
		.amdhsa_forward_progress 0
		.amdhsa_shared_vgpr_count 0
		.amdhsa_exception_fp_ieee_invalid_op 0
		.amdhsa_exception_fp_denorm_src 0
		.amdhsa_exception_fp_ieee_div_zero 0
		.amdhsa_exception_fp_ieee_overflow 0
		.amdhsa_exception_fp_ieee_underflow 0
		.amdhsa_exception_fp_ieee_inexact 0
		.amdhsa_exception_int_div_zero 0
	.end_amdhsa_kernel
	.section	.text._ZN2at6native12_GLOBAL__N_143distribution_elementwise_grid_stride_kernelImLi2EZZZNS0_9templates4cuda21random_from_to_kernelIPNS_17CUDAGeneratorImplEEEvRNS_18TensorIteratorBaseEmlT_ENKUlvE_clEvENKUlvE5_clEvEUlP25hiprandStatePhilox4_32_10E_ZNS1_27distribution_nullary_kernelIfm15HIP_vector_typeIyLj2EES7_SF_ZZZNS5_IS7_EEvS9_mlSA_ENKSB_clEvENKSC_clEvEUlmE_EEvS9_T2_RKT3_T4_EUlimE0_EEvlNS_15PhiloxCudaStateET1_SK_,"axG",@progbits,_ZN2at6native12_GLOBAL__N_143distribution_elementwise_grid_stride_kernelImLi2EZZZNS0_9templates4cuda21random_from_to_kernelIPNS_17CUDAGeneratorImplEEEvRNS_18TensorIteratorBaseEmlT_ENKUlvE_clEvENKUlvE5_clEvEUlP25hiprandStatePhilox4_32_10E_ZNS1_27distribution_nullary_kernelIfm15HIP_vector_typeIyLj2EES7_SF_ZZZNS5_IS7_EEvS9_mlSA_ENKSB_clEvENKSC_clEvEUlmE_EEvS9_T2_RKT3_T4_EUlimE0_EEvlNS_15PhiloxCudaStateET1_SK_,comdat
.Lfunc_end25:
	.size	_ZN2at6native12_GLOBAL__N_143distribution_elementwise_grid_stride_kernelImLi2EZZZNS0_9templates4cuda21random_from_to_kernelIPNS_17CUDAGeneratorImplEEEvRNS_18TensorIteratorBaseEmlT_ENKUlvE_clEvENKUlvE5_clEvEUlP25hiprandStatePhilox4_32_10E_ZNS1_27distribution_nullary_kernelIfm15HIP_vector_typeIyLj2EES7_SF_ZZZNS5_IS7_EEvS9_mlSA_ENKSB_clEvENKSC_clEvEUlmE_EEvS9_T2_RKT3_T4_EUlimE0_EEvlNS_15PhiloxCudaStateET1_SK_, .Lfunc_end25-_ZN2at6native12_GLOBAL__N_143distribution_elementwise_grid_stride_kernelImLi2EZZZNS0_9templates4cuda21random_from_to_kernelIPNS_17CUDAGeneratorImplEEEvRNS_18TensorIteratorBaseEmlT_ENKUlvE_clEvENKUlvE5_clEvEUlP25hiprandStatePhilox4_32_10E_ZNS1_27distribution_nullary_kernelIfm15HIP_vector_typeIyLj2EES7_SF_ZZZNS5_IS7_EEvS9_mlSA_ENKSB_clEvENKSC_clEvEUlmE_EEvS9_T2_RKT3_T4_EUlimE0_EEvlNS_15PhiloxCudaStateET1_SK_
                                        ; -- End function
	.section	.AMDGPU.csdata,"",@progbits
; Kernel info:
; codeLenInByte = 5800
; NumSgprs: 58
; NumVgprs: 46
; ScratchSize: 0
; MemoryBound: 0
; FloatMode: 240
; IeeeMode: 1
; LDSByteSize: 0 bytes/workgroup (compile time only)
; SGPRBlocks: 7
; VGPRBlocks: 5
; NumSGPRsForWavesPerEU: 58
; NumVGPRsForWavesPerEU: 46
; Occupancy: 16
; WaveLimiterHint : 1
; COMPUTE_PGM_RSRC2:SCRATCH_EN: 0
; COMPUTE_PGM_RSRC2:USER_SGPR: 15
; COMPUTE_PGM_RSRC2:TRAP_HANDLER: 0
; COMPUTE_PGM_RSRC2:TGID_X_EN: 1
; COMPUTE_PGM_RSRC2:TGID_Y_EN: 0
; COMPUTE_PGM_RSRC2:TGID_Z_EN: 0
; COMPUTE_PGM_RSRC2:TIDIG_COMP_CNT: 0
	.section	.text._ZN2at6native12_GLOBAL__N_143distribution_elementwise_grid_stride_kernelIjLi4EZZZNS0_9templates4cuda21random_from_to_kernelIPNS_17CUDAGeneratorImplEEEvRNS_18TensorIteratorBaseEmlT_ENKUlvE_clEvENKUlvE5_clEvEUlP25hiprandStatePhilox4_32_10E0_ZNS1_27distribution_nullary_kernelIfj15HIP_vector_typeIjLj4EES7_SF_ZZZNS5_IS7_EEvS9_mlSA_ENKSB_clEvENKSC_clEvEUljE_EEvS9_T2_RKT3_T4_EUlijE_EEvlNS_15PhiloxCudaStateET1_SK_,"axG",@progbits,_ZN2at6native12_GLOBAL__N_143distribution_elementwise_grid_stride_kernelIjLi4EZZZNS0_9templates4cuda21random_from_to_kernelIPNS_17CUDAGeneratorImplEEEvRNS_18TensorIteratorBaseEmlT_ENKUlvE_clEvENKUlvE5_clEvEUlP25hiprandStatePhilox4_32_10E0_ZNS1_27distribution_nullary_kernelIfj15HIP_vector_typeIjLj4EES7_SF_ZZZNS5_IS7_EEvS9_mlSA_ENKSB_clEvENKSC_clEvEUljE_EEvS9_T2_RKT3_T4_EUlijE_EEvlNS_15PhiloxCudaStateET1_SK_,comdat
	.globl	_ZN2at6native12_GLOBAL__N_143distribution_elementwise_grid_stride_kernelIjLi4EZZZNS0_9templates4cuda21random_from_to_kernelIPNS_17CUDAGeneratorImplEEEvRNS_18TensorIteratorBaseEmlT_ENKUlvE_clEvENKUlvE5_clEvEUlP25hiprandStatePhilox4_32_10E0_ZNS1_27distribution_nullary_kernelIfj15HIP_vector_typeIjLj4EES7_SF_ZZZNS5_IS7_EEvS9_mlSA_ENKSB_clEvENKSC_clEvEUljE_EEvS9_T2_RKT3_T4_EUlijE_EEvlNS_15PhiloxCudaStateET1_SK_ ; -- Begin function _ZN2at6native12_GLOBAL__N_143distribution_elementwise_grid_stride_kernelIjLi4EZZZNS0_9templates4cuda21random_from_to_kernelIPNS_17CUDAGeneratorImplEEEvRNS_18TensorIteratorBaseEmlT_ENKUlvE_clEvENKUlvE5_clEvEUlP25hiprandStatePhilox4_32_10E0_ZNS1_27distribution_nullary_kernelIfj15HIP_vector_typeIjLj4EES7_SF_ZZZNS5_IS7_EEvS9_mlSA_ENKSB_clEvENKSC_clEvEUljE_EEvS9_T2_RKT3_T4_EUlijE_EEvlNS_15PhiloxCudaStateET1_SK_
	.p2align	8
	.type	_ZN2at6native12_GLOBAL__N_143distribution_elementwise_grid_stride_kernelIjLi4EZZZNS0_9templates4cuda21random_from_to_kernelIPNS_17CUDAGeneratorImplEEEvRNS_18TensorIteratorBaseEmlT_ENKUlvE_clEvENKUlvE5_clEvEUlP25hiprandStatePhilox4_32_10E0_ZNS1_27distribution_nullary_kernelIfj15HIP_vector_typeIjLj4EES7_SF_ZZZNS5_IS7_EEvS9_mlSA_ENKSB_clEvENKSC_clEvEUljE_EEvS9_T2_RKT3_T4_EUlijE_EEvlNS_15PhiloxCudaStateET1_SK_,@function
_ZN2at6native12_GLOBAL__N_143distribution_elementwise_grid_stride_kernelIjLi4EZZZNS0_9templates4cuda21random_from_to_kernelIPNS_17CUDAGeneratorImplEEEvRNS_18TensorIteratorBaseEmlT_ENKUlvE_clEvENKUlvE5_clEvEUlP25hiprandStatePhilox4_32_10E0_ZNS1_27distribution_nullary_kernelIfj15HIP_vector_typeIjLj4EES7_SF_ZZZNS5_IS7_EEvS9_mlSA_ENKSB_clEvENKSC_clEvEUljE_EEvS9_T2_RKT3_T4_EUlijE_EEvlNS_15PhiloxCudaStateET1_SK_: ; @_ZN2at6native12_GLOBAL__N_143distribution_elementwise_grid_stride_kernelIjLi4EZZZNS0_9templates4cuda21random_from_to_kernelIPNS_17CUDAGeneratorImplEEEvRNS_18TensorIteratorBaseEmlT_ENKUlvE_clEvENKUlvE5_clEvEUlP25hiprandStatePhilox4_32_10E0_ZNS1_27distribution_nullary_kernelIfj15HIP_vector_typeIjLj4EES7_SF_ZZZNS5_IS7_EEvS9_mlSA_ENKSB_clEvENKSC_clEvEUljE_EEvS9_T2_RKT3_T4_EUlijE_EEvlNS_15PhiloxCudaStateET1_SK_
; %bb.0:
	s_clause 0x2
	s_load_b64 s[8:9], s[0:1], 0x10
	s_load_b128 s[4:7], s[0:1], 0x0
	s_load_b32 s2, s[0:1], 0x20
	s_waitcnt lgkmcnt(0)
	v_dual_mov_b32 v2, s8 :: v_dual_mov_b32 v3, s9
	v_dual_mov_b32 v11, s7 :: v_dual_mov_b32 v10, s6
	s_bitcmp0_b32 s2, 0
	s_mov_b32 s2, 0
	s_cbranch_scc1 .LBB26_2
; %bb.1:
	v_dual_mov_b32 v1, s8 :: v_dual_mov_b32 v2, s9
	v_dual_mov_b32 v4, s6 :: v_dual_mov_b32 v5, s7
	s_load_b64 s[6:7], s[0:1], 0x18
	flat_load_b64 v[2:3], v[1:2]
	flat_load_b64 v[10:11], v[4:5]
	s_waitcnt vmcnt(1) lgkmcnt(0)
	v_add_co_u32 v2, vcc_lo, v2, s6
	v_add_co_ci_u32_e32 v3, vcc_lo, s7, v3, vcc_lo
.LBB26_2:
	s_clause 0x1
	s_load_b32 s3, s[0:1], 0x5c
	s_load_b32 s16, s[0:1], 0x50
	s_waitcnt lgkmcnt(0)
	s_and_b32 s14, s3, 0xffff
	s_add_u32 s6, s4, -1
	s_mul_i32 s10, s16, s14
	s_addc_u32 s3, s5, -1
	s_lshl_b32 s11, s10, 2
	s_cmp_lg_u64 s[2:3], 0
	s_cbranch_scc0 .LBB26_35
; %bb.3:
	v_cvt_f32_ubyte0_e32 v1, 0
	v_cvt_f32_u32_e32 v4, s11
	s_sub_u32 s8, 0, s11
	s_subb_u32 s9, 0, 0
	s_delay_alu instid0(VALU_DEP_1) | instskip(NEXT) | instid1(VALU_DEP_1)
	v_fmamk_f32 v1, v1, 0x4f800000, v4
	v_rcp_f32_e32 v1, v1
	s_waitcnt_depctr 0xfff
	v_mul_f32_e32 v1, 0x5f7ffffc, v1
	s_delay_alu instid0(VALU_DEP_1) | instskip(NEXT) | instid1(VALU_DEP_1)
	v_mul_f32_e32 v4, 0x2f800000, v1
	v_trunc_f32_e32 v4, v4
	s_delay_alu instid0(VALU_DEP_1) | instskip(SKIP_1) | instid1(VALU_DEP_2)
	v_fmamk_f32 v1, v4, 0xcf800000, v1
	v_cvt_u32_f32_e32 v4, v4
	v_cvt_u32_f32_e32 v1, v1
	s_delay_alu instid0(VALU_DEP_2) | instskip(NEXT) | instid1(VALU_DEP_2)
	v_readfirstlane_b32 s2, v4
	v_readfirstlane_b32 s7, v1
	s_delay_alu instid0(VALU_DEP_2) | instskip(NEXT) | instid1(VALU_DEP_1)
	s_mul_i32 s12, s8, s2
	s_mul_hi_u32 s17, s8, s7
	s_mul_i32 s13, s9, s7
	s_add_i32 s12, s17, s12
	s_mul_i32 s18, s8, s7
	s_add_i32 s12, s12, s13
	s_mul_hi_u32 s17, s7, s18
	s_mul_hi_u32 s19, s2, s18
	s_mul_i32 s13, s2, s18
	s_mul_hi_u32 s18, s7, s12
	s_mul_i32 s7, s7, s12
	s_mul_hi_u32 s20, s2, s12
	s_add_u32 s7, s17, s7
	s_addc_u32 s17, 0, s18
	s_add_u32 s7, s7, s13
	s_mul_i32 s12, s2, s12
	s_addc_u32 s7, s17, s19
	s_addc_u32 s13, s20, 0
	s_add_u32 s7, s7, s12
	s_addc_u32 s12, 0, s13
	v_add_co_u32 v1, s7, v1, s7
	s_delay_alu instid0(VALU_DEP_1) | instskip(SKIP_1) | instid1(VALU_DEP_1)
	s_cmp_lg_u32 s7, 0
	s_addc_u32 s2, s2, s12
	v_readfirstlane_b32 s7, v1
	s_mul_i32 s12, s8, s2
	s_delay_alu instid0(VALU_DEP_1)
	s_mul_hi_u32 s13, s8, s7
	s_mul_i32 s9, s9, s7
	s_add_i32 s12, s13, s12
	s_mul_i32 s8, s8, s7
	s_add_i32 s12, s12, s9
	s_mul_hi_u32 s13, s2, s8
	s_mul_i32 s17, s2, s8
	s_mul_hi_u32 s8, s7, s8
	s_mul_hi_u32 s18, s7, s12
	s_mul_i32 s7, s7, s12
	s_mul_hi_u32 s9, s2, s12
	s_add_u32 s7, s8, s7
	s_addc_u32 s8, 0, s18
	s_add_u32 s7, s7, s17
	s_mul_i32 s12, s2, s12
	s_addc_u32 s7, s8, s13
	s_addc_u32 s8, s9, 0
	s_add_u32 s7, s7, s12
	s_addc_u32 s8, 0, s8
	v_add_co_u32 v1, s7, v1, s7
	s_delay_alu instid0(VALU_DEP_1) | instskip(SKIP_2) | instid1(VALU_DEP_1)
	s_cmp_lg_u32 s7, 0
	s_addc_u32 s7, s2, s8
	s_ashr_i32 s8, s3, 31
	v_readfirstlane_b32 s12, v1
	s_add_u32 s2, s6, s8
	s_mov_b32 s9, s8
	s_addc_u32 s3, s3, s8
	s_delay_alu instid0(SALU_CYCLE_1) | instskip(NEXT) | instid1(SALU_CYCLE_1)
	s_xor_b64 s[2:3], s[2:3], s[8:9]
	s_mul_i32 s17, s2, s7
	s_mul_hi_u32 s18, s2, s12
	s_mul_hi_u32 s13, s2, s7
	;; [unrolled: 1-line block ×3, first 2 shown]
	s_mul_i32 s12, s3, s12
	s_add_u32 s17, s18, s17
	s_addc_u32 s13, 0, s13
	s_mul_hi_u32 s19, s3, s7
	s_add_u32 s12, s17, s12
	s_mul_i32 s7, s3, s7
	s_addc_u32 s12, s13, s20
	s_addc_u32 s13, s19, 0
	s_add_u32 s7, s12, s7
	s_addc_u32 s12, 0, s13
	s_mul_i32 s17, s11, s7
	s_add_u32 s13, s7, 1
	v_sub_co_u32 v1, s2, s2, s17
	s_mul_hi_u32 s17, s11, s7
	s_addc_u32 s18, s12, 0
	s_mul_i32 s19, s11, s12
	s_delay_alu instid0(VALU_DEP_1)
	v_sub_co_u32 v4, s20, v1, s11
	s_add_u32 s21, s7, 2
	s_addc_u32 s22, s12, 0
	s_add_i32 s17, s17, s19
	s_cmp_lg_u32 s2, 0
	v_readfirstlane_b32 s2, v4
	s_subb_u32 s3, s3, s17
	s_cmp_lg_u32 s20, 0
	s_subb_u32 s17, s3, 0
	s_delay_alu instid0(VALU_DEP_1) | instskip(SKIP_4) | instid1(SALU_CYCLE_1)
	s_cmp_ge_u32 s2, s11
	s_cselect_b32 s2, -1, 0
	s_cmp_eq_u32 s17, 0
	v_readfirstlane_b32 s17, v1
	s_cselect_b32 s2, s2, -1
	s_cmp_lg_u32 s2, 0
	s_cselect_b32 s2, s21, s13
	s_cselect_b32 s13, s22, s18
	s_cmp_ge_u32 s17, s11
	s_cselect_b32 s17, -1, 0
	s_cmp_eq_u32 s3, 0
	s_cselect_b32 s3, s17, -1
	s_delay_alu instid0(SALU_CYCLE_1) | instskip(SKIP_2) | instid1(SALU_CYCLE_1)
	s_cmp_lg_u32 s3, 0
	s_cselect_b32 s3, s13, s12
	s_cselect_b32 s2, s2, s7
	s_xor_b64 s[2:3], s[2:3], s[8:9]
	s_delay_alu instid0(SALU_CYCLE_1)
	s_sub_u32 s2, s2, s8
	s_subb_u32 s3, s3, s8
	s_cbranch_execnz .LBB26_5
.LBB26_4:
	v_cvt_f32_u32_e32 v1, s11
	s_sub_i32 s3, 0, s11
	s_delay_alu instid0(VALU_DEP_1) | instskip(SKIP_2) | instid1(VALU_DEP_1)
	v_rcp_iflag_f32_e32 v1, v1
	s_waitcnt_depctr 0xfff
	v_mul_f32_e32 v1, 0x4f7ffffe, v1
	v_cvt_u32_f32_e32 v1, v1
	s_delay_alu instid0(VALU_DEP_1) | instskip(NEXT) | instid1(VALU_DEP_1)
	v_readfirstlane_b32 s2, v1
	s_mul_i32 s3, s3, s2
	s_delay_alu instid0(SALU_CYCLE_1) | instskip(NEXT) | instid1(SALU_CYCLE_1)
	s_mul_hi_u32 s3, s2, s3
	s_add_i32 s2, s2, s3
	s_delay_alu instid0(SALU_CYCLE_1) | instskip(NEXT) | instid1(SALU_CYCLE_1)
	s_mul_hi_u32 s2, s6, s2
	s_mul_i32 s3, s2, s11
	s_delay_alu instid0(SALU_CYCLE_1)
	s_sub_i32 s3, s6, s3
	s_add_i32 s6, s2, 1
	s_sub_i32 s7, s3, s11
	s_cmp_ge_u32 s3, s11
	s_cselect_b32 s2, s6, s2
	s_cselect_b32 s3, s7, s3
	s_add_i32 s6, s2, 1
	s_cmp_ge_u32 s3, s11
	s_mov_b32 s3, 0
	s_cselect_b32 s2, s6, s2
.LBB26_5:
	v_mov_b32_e32 v1, 0
	s_add_u32 s2, s2, 1
	s_addc_u32 s3, s3, 0
	s_mul_hi_u32 s6, s10, s2
	s_mul_i32 s3, s10, s3
	v_mad_u64_u32 v[12:13], null, s14, s15, v[0:1]
	s_mul_hi_u32 s7, s16, s14
	s_add_i32 s3, s6, s3
	s_mul_i32 s7, s7, s2
	s_mul_i32 s2, s10, s2
	s_add_i32 s3, s3, s7
	s_delay_alu instid0(SALU_CYCLE_1)
	s_lshl_b64 s[6:7], s[2:3], 2
	s_mov_b32 s2, exec_lo
	v_cmpx_gt_i64_e64 s[6:7], v[12:13]
	s_cbranch_execz .LBB26_34
; %bb.6:
	v_alignbit_b32 v16, v3, v2, 2
	v_mad_u64_u32 v[6:7], null, 0xcd9e8d57, v12, 0
	v_lshrrev_b32_e32 v17, 2, v3
	s_waitcnt vmcnt(0)
	v_dual_mov_b32 v37, v11 :: v_dual_and_b32 v28, 3, v2
	v_mad_u64_u32 v[4:5], null, 0xd2511f53, v16, 0
	v_add_co_u32 v19, null, 0x9e3779b9, v10
	s_delay_alu instid0(VALU_DEP_3) | instskip(SKIP_1) | instid1(VALU_DEP_4)
	v_add_co_u32 v18, null, 0xbb67ae85, v37
	v_add_co_u32 v20, null, 0x3c6ef372, v10
	v_xor_b32_e32 v3, v5, v11
	v_xor3_b32 v5, v10, v7, v17
	v_add_co_u32 v21, null, 0x76cf5d0a, v37
	v_add_co_u32 v22, null, 0x32370b8f, v37
	s_delay_alu instid0(VALU_DEP_4) | instskip(NEXT) | instid1(VALU_DEP_4)
	v_xor_b32_e32 v3, v3, v13
	v_mad_u64_u32 v[7:8], null, 0xd2511f53, v5, 0
	v_add_co_u32 v23, null, 0xdaa66d2b, v10
	s_delay_alu instid0(VALU_DEP_3) | instskip(SKIP_1) | instid1(VALU_DEP_4)
	v_mad_u64_u32 v[14:15], null, 0xcd9e8d57, v3, 0
	v_add_co_u32 v24, null, 0x78dde6e4, v10
	v_xor3_b32 v5, v18, v8, v4
	v_add_co_u32 v25, null, 0xed9eba14, v37
	v_add_co_u32 v26, null, 0xa9066899, v37
	v_xor3_b32 v8, v19, v15, v6
	s_delay_alu instid0(VALU_DEP_4) | instskip(SKIP_1) | instid1(VALU_DEP_3)
	v_mad_u64_u32 v[3:4], null, 0xcd9e8d57, v5, 0
	v_add_co_u32 v27, null, 0x1715609d, v10
	v_mad_u64_u32 v[5:6], null, 0xd2511f53, v8, 0
	v_add_co_u32 v32, null, 0xb54cda56, v10
	s_delay_alu instid0(VALU_DEP_4) | instskip(SKIP_3) | instid1(VALU_DEP_4)
	v_xor3_b32 v4, v20, v4, v14
	v_add_co_u32 v33, null, 0x646e171e, v37
	v_add_co_u32 v31, null, 0x5384540f, v10
	v_xor3_b32 v14, v21, v6, v7
	v_mad_u64_u32 v[6:7], null, 0xd2511f53, v4, 0
	v_add_co_u32 v35, null, 0x1fd5c5a3, v37
	s_delay_alu instid0(VALU_DEP_3) | instskip(SKIP_4) | instid1(VALU_DEP_4)
	v_mad_u64_u32 v[8:9], null, 0xcd9e8d57, v14, 0
	s_clause 0x1
	s_load_b64 s[8:9], s[0:1], 0x30
	s_load_b32 s17, s[0:1], 0x38
	v_add_co_u32 v34, null, 0xf1bbcdc8, v10
	v_xor3_b32 v5, v22, v7, v5
	v_add_co_u32 v37, null, 0xdb3d7428, v37
	s_delay_alu instid0(VALU_DEP_4) | instskip(SKIP_1) | instid1(VALU_DEP_3)
	v_xor3_b32 v7, v23, v9, v3
	s_load_b128 s[0:3], s[0:1], 0x40
	v_mad_u64_u32 v[3:4], null, 0xcd9e8d57, v5, 0
	s_mul_i32 s18, s16, 3
	s_delay_alu instid0(VALU_DEP_2) | instskip(SKIP_3) | instid1(VALU_DEP_2)
	v_mad_u64_u32 v[14:15], null, 0xd2511f53, v7, 0
	s_lshl_b32 s19, s16, 1
	s_add_i32 s20, s15, s16
	s_add_i32 s18, s15, s18
	v_xor3_b32 v7, v24, v4, v8
	v_mad_u64_u32 v[41:42], null, s20, s14, v[0:1]
	s_delay_alu instid0(VALU_DEP_3) | instskip(SKIP_1) | instid1(VALU_DEP_4)
	v_xor3_b32 v8, v25, v15, v6
	v_mad_u64_u32 v[39:40], null, s18, s14, v[0:1]
	v_mad_u64_u32 v[4:5], null, 0xd2511f53, v7, 0
	s_delay_alu instid0(VALU_DEP_3)
	v_mad_u64_u32 v[6:7], null, 0xcd9e8d57, v8, 0
	v_dual_mov_b32 v36, v12 :: v_dual_add_nc_u32 v29, 0x8ff34781, v10
	v_add_nc_u32_e32 v30, 0x96a522ad, v11
	s_waitcnt lgkmcnt(0)
	v_mul_lo_u32 v39, s17, v39
	v_xor3_b32 v5, v26, v5, v14
	v_mul_lo_u32 v41, s17, v41
	v_xor3_b32 v9, v27, v7, v3
	s_mov_b32 s12, 0
	s_lshl_b32 s13, s10, 1
	v_mad_u64_u32 v[2:3], null, 0xcd9e8d57, v5, 0
	s_delay_alu instid0(VALU_DEP_2) | instskip(NEXT) | instid1(VALU_DEP_2)
	v_mad_u64_u32 v[7:8], null, 0xd2511f53, v9, 0
	v_xor3_b32 v6, v32, v3, v6
	s_delay_alu instid0(VALU_DEP_2) | instskip(SKIP_1) | instid1(VALU_DEP_3)
	v_xor3_b32 v14, v33, v8, v4
	v_mad_u64_u32 v[3:4], null, s15, s14, v[0:1]
	v_mad_u64_u32 v[4:5], null, 0xd2511f53, v6, 0
	s_delay_alu instid0(VALU_DEP_3) | instskip(SKIP_1) | instid1(VALU_DEP_3)
	v_mad_u64_u32 v[8:9], null, 0xcd9e8d57, v14, 0
	s_add_i32 s15, s15, s19
	v_mul_lo_u32 v38, s17, v3
	s_delay_alu instid0(VALU_DEP_3) | instskip(NEXT) | instid1(VALU_DEP_3)
	v_xor3_b32 v7, v35, v5, v7
	v_xor3_b32 v2, v31, v9, v2
	s_delay_alu instid0(VALU_DEP_2) | instskip(NEXT) | instid1(VALU_DEP_2)
	v_mad_u64_u32 v[5:6], null, 0xcd9e8d57, v7, 0
	v_mad_u64_u32 v[14:15], null, 0xd2511f53, v2, 0
	s_delay_alu instid0(VALU_DEP_2) | instskip(SKIP_1) | instid1(VALU_DEP_3)
	v_xor3_b32 v2, v34, v6, v8
	v_mad_u64_u32 v[8:9], null, s15, s14, v[0:1]
	v_xor3_b32 v4, v37, v15, v4
	s_mul_i32 s15, s16, s17
	s_delay_alu instid0(VALU_DEP_3) | instskip(SKIP_1) | instid1(VALU_DEP_2)
	v_mad_u64_u32 v[42:43], null, 0xd2511f53, v2, 0
	s_mul_i32 s15, s15, s14
	v_mad_u64_u32 v[6:7], null, 0xcd9e8d57, v4, 0
	s_delay_alu instid0(VALU_DEP_4) | instskip(SKIP_2) | instid1(VALU_DEP_3)
	v_mul_lo_u32 v40, s17, v8
	s_mul_i32 s14, s10, 3
	s_lshl_b32 s15, s15, 2
	v_mov_b32_e32 v8, v42
	v_mov_b32_e32 v42, v13
	s_mov_b32 s16, 0
	s_delay_alu instid0(VALU_DEP_4)
	v_xor3_b32 v5, v7, v5, v29
	v_xor3_b32 v7, v43, v14, v30
	s_branch .LBB26_9
.LBB26_7:                               ;   in Loop: Header=BB26_9 Depth=1
	s_or_b32 exec_lo, exec_lo, s18
	s_delay_alu instid0(VALU_DEP_1) | instskip(SKIP_1) | instid1(VALU_DEP_1)
	v_add_co_u32 v5, vcc_lo, v0, s2
	v_add_co_ci_u32_e32 v6, vcc_lo, s3, v1, vcc_lo
	v_xor_b32_e32 v0, v5, v6
	v_cls_i32_e32 v7, v6
	s_delay_alu instid0(VALU_DEP_2) | instskip(NEXT) | instid1(VALU_DEP_2)
	v_ashrrev_i32_e32 v0, 31, v0
	v_add_nc_u32_e32 v7, -1, v7
	s_delay_alu instid0(VALU_DEP_2) | instskip(NEXT) | instid1(VALU_DEP_1)
	v_add_nc_u32_e32 v0, 32, v0
	v_min_u32_e32 v0, v7, v0
	v_add_nc_u32_e32 v7, s16, v39
	s_delay_alu instid0(VALU_DEP_2) | instskip(SKIP_1) | instid1(VALU_DEP_2)
	v_lshlrev_b64 v[5:6], v0, v[5:6]
	v_sub_nc_u32_e32 v0, 32, v0
	v_min_u32_e32 v5, 1, v5
	s_delay_alu instid0(VALU_DEP_1) | instskip(SKIP_1) | instid1(VALU_DEP_2)
	v_or_b32_e32 v5, v6, v5
	v_ashrrev_i32_e32 v6, 31, v7
	v_cvt_f32_i32_e32 v8, v5
	v_add_co_u32 v5, vcc_lo, s8, v7
	s_delay_alu instid0(VALU_DEP_3) | instskip(NEXT) | instid1(VALU_DEP_3)
	v_add_co_ci_u32_e32 v6, vcc_lo, s9, v6, vcc_lo
	v_ldexp_f32 v0, v8, v0
	global_store_b32 v[5:6], v0, off
.LBB26_8:                               ;   in Loop: Header=BB26_9 Depth=1
	s_or_b32 exec_lo, exec_lo, s17
	v_add_co_u32 v12, vcc_lo, v12, s11
	v_add_co_ci_u32_e32 v13, vcc_lo, 0, v13, vcc_lo
	v_mov_b32_e32 v5, v14
	s_add_i32 s16, s16, s15
	s_waitcnt_vscnt null, 0x0
	s_delay_alu instid0(VALU_DEP_2)
	v_cmp_le_i64_e32 vcc_lo, s[6:7], v[12:13]
	s_barrier
	v_mov_b32_e32 v8, v5
	v_dual_mov_b32 v7, v4 :: v_dual_mov_b32 v6, v3
	v_mov_b32_e32 v5, v2
	s_or_b32 s12, vcc_lo, s12
	buffer_gl0_inv
	s_and_not1_b32 exec_lo, exec_lo, s12
	s_cbranch_execz .LBB26_34
.LBB26_9:                               ; =>This Inner Loop Header: Depth=1
	v_add_co_u32 v16, vcc_lo, v16, 1
	s_delay_alu instid0(VALU_DEP_1) | instskip(SKIP_1) | instid1(VALU_DEP_3)
	v_cndmask_b32_e64 v0, 0, 1, vcc_lo
	v_add_co_ci_u32_e32 v17, vcc_lo, 0, v17, vcc_lo
	v_mad_u64_u32 v[2:3], null, 0xd2511f53, v16, 0
	s_mov_b32 s17, exec_lo
	s_delay_alu instid0(VALU_DEP_2) | instskip(SKIP_1) | instid1(VALU_DEP_1)
	v_cmp_eq_u32_e32 vcc_lo, 0, v17
	v_cndmask_b32_e32 v0, 0, v0, vcc_lo
	v_add_nc_u32_e32 v36, v0, v36
	s_delay_alu instid0(VALU_DEP_1) | instskip(SKIP_2) | instid1(VALU_DEP_2)
	v_cmp_eq_u32_e32 vcc_lo, 0, v36
	v_mad_u64_u32 v[14:15], null, 0xcd9e8d57, v36, 0
	v_cndmask_b32_e32 v0, 0, v0, vcc_lo
	v_xor3_b32 v9, v15, v10, v17
	s_delay_alu instid0(VALU_DEP_2) | instskip(SKIP_1) | instid1(VALU_DEP_3)
	v_add_nc_u32_e32 v42, v0, v42
	v_xor_b32_e32 v0, v3, v11
	v_mad_u64_u32 v[3:4], null, 0xd2511f53, v9, 0
	s_delay_alu instid0(VALU_DEP_2) | instskip(NEXT) | instid1(VALU_DEP_1)
	v_xor_b32_e32 v0, v42, v0
	v_mad_u64_u32 v[43:44], null, 0xcd9e8d57, v0, 0
	s_delay_alu instid0(VALU_DEP_3) | instskip(NEXT) | instid1(VALU_DEP_2)
	v_xor3_b32 v0, v18, v4, v2
	v_xor3_b32 v2, v19, v44, v14
	s_delay_alu instid0(VALU_DEP_2) | instskip(NEXT) | instid1(VALU_DEP_2)
	v_mad_u64_u32 v[14:15], null, 0xcd9e8d57, v0, 0
	v_mad_u64_u32 v[44:45], null, 0xd2511f53, v2, 0
	s_delay_alu instid0(VALU_DEP_2) | instskip(NEXT) | instid1(VALU_DEP_2)
	v_xor3_b32 v0, v20, v15, v43
	v_xor3_b32 v4, v21, v45, v3
	s_delay_alu instid0(VALU_DEP_2) | instskip(NEXT) | instid1(VALU_DEP_2)
	v_mad_u64_u32 v[2:3], null, 0xd2511f53, v0, 0
	v_mad_u64_u32 v[45:46], null, 0xcd9e8d57, v4, 0
	s_delay_alu instid0(VALU_DEP_2) | instskip(NEXT) | instid1(VALU_DEP_2)
	;; [unrolled: 6-line block ×8, first 2 shown]
	v_xor3_b32 v9, v15, v46, v30
	v_xor3_b32 v2, v4, v44, v29
	s_delay_alu instid0(VALU_DEP_2)
	v_mov_b32_e32 v4, v9
	v_cmpx_lt_i32_e32 1, v28
	s_xor_b32 s17, exec_lo, s17
	s_cbranch_execnz .LBB26_12
; %bb.10:                               ;   in Loop: Header=BB26_9 Depth=1
	s_and_not1_saveexec_b32 s17, s17
	s_cbranch_execnz .LBB26_17
.LBB26_11:                              ;   in Loop: Header=BB26_9 Depth=1
	s_or_b32 exec_lo, exec_lo, s17
	s_delay_alu instid0(SALU_CYCLE_1)
	s_mov_b32 s17, exec_lo
	v_cmpx_gt_i64_e64 s[4:5], v[12:13]
	s_cbranch_execnz .LBB26_20
	s_branch .LBB26_23
.LBB26_12:                              ;   in Loop: Header=BB26_9 Depth=1
	s_mov_b32 s18, exec_lo
	v_cmpx_lt_i32_e32 2, v28
	s_xor_b32 s18, exec_lo, s18
; %bb.13:                               ;   in Loop: Header=BB26_9 Depth=1
	v_dual_mov_b32 v6, v8 :: v_dual_mov_b32 v7, v2
	v_mov_b32_e32 v8, v3
	s_delay_alu instid0(VALU_DEP_2) | instskip(NEXT) | instid1(VALU_DEP_3)
	v_mov_b32_e32 v5, v6
	v_mov_b32_e32 v6, v7
	s_delay_alu instid0(VALU_DEP_3)
	v_mov_b32_e32 v7, v8
	v_mov_b32_e32 v8, v9
; %bb.14:                               ;   in Loop: Header=BB26_9 Depth=1
	s_and_not1_saveexec_b32 s18, s18
; %bb.15:                               ;   in Loop: Header=BB26_9 Depth=1
	s_delay_alu instid0(VALU_DEP_1)
	v_dual_mov_b32 v5, v7 :: v_dual_mov_b32 v6, v8
	v_dual_mov_b32 v7, v2 :: v_dual_mov_b32 v8, v3
; %bb.16:                               ;   in Loop: Header=BB26_9 Depth=1
	s_or_b32 exec_lo, exec_lo, s18
	s_and_not1_saveexec_b32 s17, s17
	s_cbranch_execz .LBB26_11
.LBB26_17:                              ;   in Loop: Header=BB26_9 Depth=1
	s_mov_b32 s18, exec_lo
	v_cmpx_eq_u32_e32 1, v28
; %bb.18:                               ;   in Loop: Header=BB26_9 Depth=1
	v_dual_mov_b32 v5, v6 :: v_dual_mov_b32 v6, v7
	v_dual_mov_b32 v7, v8 :: v_dual_mov_b32 v8, v2
; %bb.19:                               ;   in Loop: Header=BB26_9 Depth=1
	s_or_b32 exec_lo, exec_lo, s18
	s_delay_alu instid0(SALU_CYCLE_1) | instskip(NEXT) | instid1(SALU_CYCLE_1)
	s_or_b32 exec_lo, exec_lo, s17
	s_mov_b32 s17, exec_lo
	v_cmpx_gt_i64_e64 s[4:5], v[12:13]
	s_cbranch_execz .LBB26_23
.LBB26_20:                              ;   in Loop: Header=BB26_9 Depth=1
	v_mov_b32_e32 v0, v5
	s_mov_b32 s18, exec_lo
	s_delay_alu instid0(VALU_DEP_1)
	v_cmpx_le_u64_e64 s[0:1], v[0:1]
	s_cbranch_execz .LBB26_22
; %bb.21:                               ;   in Loop: Header=BB26_9 Depth=1
	v_cvt_f32_u32_e32 v5, s0
	s_sub_i32 s19, 0, s0
	s_delay_alu instid0(VALU_DEP_1) | instskip(SKIP_2) | instid1(VALU_DEP_1)
	v_rcp_iflag_f32_e32 v5, v5
	s_waitcnt_depctr 0xfff
	v_mul_f32_e32 v5, 0x4f7ffffe, v5
	v_cvt_u32_f32_e32 v5, v5
	s_delay_alu instid0(VALU_DEP_1) | instskip(NEXT) | instid1(VALU_DEP_1)
	v_mul_lo_u32 v9, s19, v5
	v_mul_hi_u32 v9, v5, v9
	s_delay_alu instid0(VALU_DEP_1) | instskip(NEXT) | instid1(VALU_DEP_1)
	v_add_nc_u32_e32 v5, v5, v9
	v_mul_hi_u32 v5, v0, v5
	s_delay_alu instid0(VALU_DEP_1) | instskip(NEXT) | instid1(VALU_DEP_1)
	v_mul_lo_u32 v5, v5, s0
	v_sub_nc_u32_e32 v0, v0, v5
	s_delay_alu instid0(VALU_DEP_1) | instskip(SKIP_1) | instid1(VALU_DEP_2)
	v_subrev_nc_u32_e32 v5, s0, v0
	v_cmp_le_u32_e32 vcc_lo, s0, v0
	v_cndmask_b32_e32 v0, v0, v5, vcc_lo
	s_delay_alu instid0(VALU_DEP_1) | instskip(SKIP_1) | instid1(VALU_DEP_2)
	v_subrev_nc_u32_e32 v5, s0, v0
	v_cmp_le_u32_e32 vcc_lo, s0, v0
	v_cndmask_b32_e32 v0, v0, v5, vcc_lo
.LBB26_22:                              ;   in Loop: Header=BB26_9 Depth=1
	s_or_b32 exec_lo, exec_lo, s18
	s_delay_alu instid0(VALU_DEP_1) | instskip(SKIP_2) | instid1(VALU_DEP_2)
	v_add_co_u32 v43, vcc_lo, v0, s2
	v_add_co_ci_u32_e32 v44, vcc_lo, s3, v1, vcc_lo
	v_add_nc_u32_e32 v9, s16, v38
	v_xor_b32_e32 v0, v43, v44
	v_cls_i32_e32 v5, v44
	s_delay_alu instid0(VALU_DEP_3) | instskip(NEXT) | instid1(VALU_DEP_3)
	v_ashrrev_i32_e32 v15, 31, v9
	v_ashrrev_i32_e32 v0, 31, v0
	s_delay_alu instid0(VALU_DEP_3) | instskip(NEXT) | instid1(VALU_DEP_2)
	v_add_nc_u32_e32 v5, -1, v5
	v_add_nc_u32_e32 v0, 32, v0
	s_delay_alu instid0(VALU_DEP_1) | instskip(NEXT) | instid1(VALU_DEP_1)
	v_min_u32_e32 v0, v5, v0
	v_lshlrev_b64 v[43:44], v0, v[43:44]
	v_sub_nc_u32_e32 v0, 32, v0
	s_delay_alu instid0(VALU_DEP_2) | instskip(SKIP_1) | instid1(VALU_DEP_2)
	v_min_u32_e32 v5, 1, v43
	v_add_co_u32 v43, vcc_lo, s8, v9
	v_or_b32_e32 v5, v44, v5
	v_add_co_ci_u32_e32 v44, vcc_lo, s9, v15, vcc_lo
	s_delay_alu instid0(VALU_DEP_2) | instskip(NEXT) | instid1(VALU_DEP_1)
	v_cvt_f32_i32_e32 v5, v5
	v_ldexp_f32 v0, v5, v0
	global_store_b32 v[43:44], v0, off
.LBB26_23:                              ;   in Loop: Header=BB26_9 Depth=1
	s_or_b32 exec_lo, exec_lo, s17
	v_add_co_u32 v43, vcc_lo, s10, v12
	v_add_co_ci_u32_e32 v44, vcc_lo, 0, v13, vcc_lo
	s_mov_b32 s17, exec_lo
	s_delay_alu instid0(VALU_DEP_1)
	v_cmpx_gt_i64_e64 s[4:5], v[43:44]
	s_cbranch_execz .LBB26_27
; %bb.24:                               ;   in Loop: Header=BB26_9 Depth=1
	v_mov_b32_e32 v0, v6
	s_mov_b32 s18, exec_lo
	s_delay_alu instid0(VALU_DEP_1)
	v_cmpx_le_u64_e64 s[0:1], v[0:1]
	s_cbranch_execz .LBB26_26
; %bb.25:                               ;   in Loop: Header=BB26_9 Depth=1
	v_cvt_f32_u32_e32 v5, s0
	s_sub_i32 s19, 0, s0
	s_delay_alu instid0(VALU_DEP_1) | instskip(SKIP_2) | instid1(VALU_DEP_1)
	v_rcp_iflag_f32_e32 v5, v5
	s_waitcnt_depctr 0xfff
	v_mul_f32_e32 v5, 0x4f7ffffe, v5
	v_cvt_u32_f32_e32 v5, v5
	s_delay_alu instid0(VALU_DEP_1) | instskip(NEXT) | instid1(VALU_DEP_1)
	v_mul_lo_u32 v6, s19, v5
	v_mul_hi_u32 v6, v5, v6
	s_delay_alu instid0(VALU_DEP_1) | instskip(NEXT) | instid1(VALU_DEP_1)
	v_add_nc_u32_e32 v5, v5, v6
	v_mul_hi_u32 v5, v0, v5
	s_delay_alu instid0(VALU_DEP_1) | instskip(NEXT) | instid1(VALU_DEP_1)
	v_mul_lo_u32 v5, v5, s0
	v_sub_nc_u32_e32 v0, v0, v5
	s_delay_alu instid0(VALU_DEP_1) | instskip(SKIP_1) | instid1(VALU_DEP_2)
	v_subrev_nc_u32_e32 v5, s0, v0
	v_cmp_le_u32_e32 vcc_lo, s0, v0
	v_cndmask_b32_e32 v0, v0, v5, vcc_lo
	s_delay_alu instid0(VALU_DEP_1) | instskip(SKIP_1) | instid1(VALU_DEP_2)
	v_subrev_nc_u32_e32 v5, s0, v0
	v_cmp_le_u32_e32 vcc_lo, s0, v0
	v_cndmask_b32_e32 v0, v0, v5, vcc_lo
.LBB26_26:                              ;   in Loop: Header=BB26_9 Depth=1
	s_or_b32 exec_lo, exec_lo, s18
	s_delay_alu instid0(VALU_DEP_1) | instskip(SKIP_1) | instid1(VALU_DEP_1)
	v_add_co_u32 v5, vcc_lo, v0, s2
	v_add_co_ci_u32_e32 v6, vcc_lo, s3, v1, vcc_lo
	v_xor_b32_e32 v0, v5, v6
	v_cls_i32_e32 v9, v6
	s_delay_alu instid0(VALU_DEP_2) | instskip(NEXT) | instid1(VALU_DEP_2)
	v_ashrrev_i32_e32 v0, 31, v0
	v_add_nc_u32_e32 v9, -1, v9
	s_delay_alu instid0(VALU_DEP_2) | instskip(NEXT) | instid1(VALU_DEP_1)
	v_add_nc_u32_e32 v0, 32, v0
	v_min_u32_e32 v0, v9, v0
	v_add_nc_u32_e32 v9, s16, v41
	s_delay_alu instid0(VALU_DEP_2) | instskip(SKIP_1) | instid1(VALU_DEP_2)
	v_lshlrev_b64 v[5:6], v0, v[5:6]
	v_sub_nc_u32_e32 v0, 32, v0
	v_min_u32_e32 v5, 1, v5
	s_delay_alu instid0(VALU_DEP_1) | instskip(SKIP_1) | instid1(VALU_DEP_2)
	v_or_b32_e32 v5, v6, v5
	v_ashrrev_i32_e32 v6, 31, v9
	v_cvt_f32_i32_e32 v15, v5
	v_add_co_u32 v5, vcc_lo, s8, v9
	s_delay_alu instid0(VALU_DEP_3) | instskip(NEXT) | instid1(VALU_DEP_3)
	v_add_co_ci_u32_e32 v6, vcc_lo, s9, v6, vcc_lo
	v_ldexp_f32 v0, v15, v0
	global_store_b32 v[5:6], v0, off
.LBB26_27:                              ;   in Loop: Header=BB26_9 Depth=1
	s_or_b32 exec_lo, exec_lo, s17
	v_add_co_u32 v5, vcc_lo, s13, v12
	v_add_co_ci_u32_e32 v6, vcc_lo, 0, v13, vcc_lo
	s_mov_b32 s17, exec_lo
	s_delay_alu instid0(VALU_DEP_1)
	v_cmpx_gt_i64_e64 s[4:5], v[5:6]
	s_cbranch_execz .LBB26_31
; %bb.28:                               ;   in Loop: Header=BB26_9 Depth=1
	v_mov_b32_e32 v0, v7
	s_mov_b32 s18, exec_lo
	s_delay_alu instid0(VALU_DEP_1)
	v_cmpx_le_u64_e64 s[0:1], v[0:1]
	s_cbranch_execz .LBB26_30
; %bb.29:                               ;   in Loop: Header=BB26_9 Depth=1
	v_cvt_f32_u32_e32 v5, s0
	s_sub_i32 s19, 0, s0
	s_delay_alu instid0(VALU_DEP_1) | instskip(SKIP_2) | instid1(VALU_DEP_1)
	v_rcp_iflag_f32_e32 v5, v5
	s_waitcnt_depctr 0xfff
	v_mul_f32_e32 v5, 0x4f7ffffe, v5
	v_cvt_u32_f32_e32 v5, v5
	s_delay_alu instid0(VALU_DEP_1) | instskip(NEXT) | instid1(VALU_DEP_1)
	v_mul_lo_u32 v6, s19, v5
	v_mul_hi_u32 v6, v5, v6
	s_delay_alu instid0(VALU_DEP_1) | instskip(NEXT) | instid1(VALU_DEP_1)
	v_add_nc_u32_e32 v5, v5, v6
	v_mul_hi_u32 v5, v0, v5
	s_delay_alu instid0(VALU_DEP_1) | instskip(NEXT) | instid1(VALU_DEP_1)
	v_mul_lo_u32 v5, v5, s0
	v_sub_nc_u32_e32 v0, v0, v5
	s_delay_alu instid0(VALU_DEP_1) | instskip(SKIP_1) | instid1(VALU_DEP_2)
	v_subrev_nc_u32_e32 v5, s0, v0
	v_cmp_le_u32_e32 vcc_lo, s0, v0
	v_cndmask_b32_e32 v0, v0, v5, vcc_lo
	s_delay_alu instid0(VALU_DEP_1) | instskip(SKIP_1) | instid1(VALU_DEP_2)
	v_subrev_nc_u32_e32 v5, s0, v0
	v_cmp_le_u32_e32 vcc_lo, s0, v0
	v_cndmask_b32_e32 v0, v0, v5, vcc_lo
.LBB26_30:                              ;   in Loop: Header=BB26_9 Depth=1
	s_or_b32 exec_lo, exec_lo, s18
	s_delay_alu instid0(VALU_DEP_1) | instskip(SKIP_1) | instid1(VALU_DEP_1)
	v_add_co_u32 v5, vcc_lo, v0, s2
	v_add_co_ci_u32_e32 v6, vcc_lo, s3, v1, vcc_lo
	v_xor_b32_e32 v0, v5, v6
	v_cls_i32_e32 v7, v6
	s_delay_alu instid0(VALU_DEP_2) | instskip(NEXT) | instid1(VALU_DEP_2)
	v_ashrrev_i32_e32 v0, 31, v0
	v_add_nc_u32_e32 v7, -1, v7
	s_delay_alu instid0(VALU_DEP_2) | instskip(NEXT) | instid1(VALU_DEP_1)
	v_add_nc_u32_e32 v0, 32, v0
	v_min_u32_e32 v0, v7, v0
	v_add_nc_u32_e32 v7, s16, v40
	s_delay_alu instid0(VALU_DEP_2) | instskip(SKIP_1) | instid1(VALU_DEP_2)
	v_lshlrev_b64 v[5:6], v0, v[5:6]
	v_sub_nc_u32_e32 v0, 32, v0
	v_min_u32_e32 v5, 1, v5
	s_delay_alu instid0(VALU_DEP_1) | instskip(SKIP_1) | instid1(VALU_DEP_2)
	v_or_b32_e32 v5, v6, v5
	v_ashrrev_i32_e32 v6, 31, v7
	v_cvt_f32_i32_e32 v9, v5
	v_add_co_u32 v5, vcc_lo, s8, v7
	s_delay_alu instid0(VALU_DEP_3) | instskip(NEXT) | instid1(VALU_DEP_3)
	v_add_co_ci_u32_e32 v6, vcc_lo, s9, v6, vcc_lo
	v_ldexp_f32 v0, v9, v0
	global_store_b32 v[5:6], v0, off
.LBB26_31:                              ;   in Loop: Header=BB26_9 Depth=1
	s_or_b32 exec_lo, exec_lo, s17
	v_add_co_u32 v5, vcc_lo, s14, v12
	v_add_co_ci_u32_e32 v6, vcc_lo, 0, v13, vcc_lo
	s_mov_b32 s17, exec_lo
	s_delay_alu instid0(VALU_DEP_1)
	v_cmpx_gt_i64_e64 s[4:5], v[5:6]
	s_cbranch_execz .LBB26_8
; %bb.32:                               ;   in Loop: Header=BB26_9 Depth=1
	v_mov_b32_e32 v0, v8
	s_mov_b32 s18, exec_lo
	s_delay_alu instid0(VALU_DEP_1)
	v_cmpx_le_u64_e64 s[0:1], v[0:1]
	s_cbranch_execz .LBB26_7
; %bb.33:                               ;   in Loop: Header=BB26_9 Depth=1
	v_cvt_f32_u32_e32 v5, s0
	s_sub_i32 s19, 0, s0
	s_delay_alu instid0(VALU_DEP_1) | instskip(SKIP_2) | instid1(VALU_DEP_1)
	v_rcp_iflag_f32_e32 v5, v5
	s_waitcnt_depctr 0xfff
	v_mul_f32_e32 v5, 0x4f7ffffe, v5
	v_cvt_u32_f32_e32 v5, v5
	s_delay_alu instid0(VALU_DEP_1) | instskip(NEXT) | instid1(VALU_DEP_1)
	v_mul_lo_u32 v6, s19, v5
	v_mul_hi_u32 v6, v5, v6
	s_delay_alu instid0(VALU_DEP_1) | instskip(NEXT) | instid1(VALU_DEP_1)
	v_add_nc_u32_e32 v5, v5, v6
	v_mul_hi_u32 v5, v0, v5
	s_delay_alu instid0(VALU_DEP_1) | instskip(NEXT) | instid1(VALU_DEP_1)
	v_mul_lo_u32 v5, v5, s0
	v_sub_nc_u32_e32 v0, v0, v5
	s_delay_alu instid0(VALU_DEP_1) | instskip(SKIP_1) | instid1(VALU_DEP_2)
	v_subrev_nc_u32_e32 v5, s0, v0
	v_cmp_le_u32_e32 vcc_lo, s0, v0
	v_cndmask_b32_e32 v0, v0, v5, vcc_lo
	s_delay_alu instid0(VALU_DEP_1) | instskip(SKIP_1) | instid1(VALU_DEP_2)
	v_subrev_nc_u32_e32 v5, s0, v0
	v_cmp_le_u32_e32 vcc_lo, s0, v0
	v_cndmask_b32_e32 v0, v0, v5, vcc_lo
	s_branch .LBB26_7
.LBB26_34:
	s_endpgm
.LBB26_35:
                                        ; implicit-def: $sgpr2_sgpr3
	s_branch .LBB26_4
	.section	.rodata,"a",@progbits
	.p2align	6, 0x0
	.amdhsa_kernel _ZN2at6native12_GLOBAL__N_143distribution_elementwise_grid_stride_kernelIjLi4EZZZNS0_9templates4cuda21random_from_to_kernelIPNS_17CUDAGeneratorImplEEEvRNS_18TensorIteratorBaseEmlT_ENKUlvE_clEvENKUlvE5_clEvEUlP25hiprandStatePhilox4_32_10E0_ZNS1_27distribution_nullary_kernelIfj15HIP_vector_typeIjLj4EES7_SF_ZZZNS5_IS7_EEvS9_mlSA_ENKSB_clEvENKSC_clEvEUljE_EEvS9_T2_RKT3_T4_EUlijE_EEvlNS_15PhiloxCudaStateET1_SK_
		.amdhsa_group_segment_fixed_size 0
		.amdhsa_private_segment_fixed_size 0
		.amdhsa_kernarg_size 336
		.amdhsa_user_sgpr_count 15
		.amdhsa_user_sgpr_dispatch_ptr 0
		.amdhsa_user_sgpr_queue_ptr 0
		.amdhsa_user_sgpr_kernarg_segment_ptr 1
		.amdhsa_user_sgpr_dispatch_id 0
		.amdhsa_user_sgpr_private_segment_size 0
		.amdhsa_wavefront_size32 1
		.amdhsa_uses_dynamic_stack 0
		.amdhsa_enable_private_segment 0
		.amdhsa_system_sgpr_workgroup_id_x 1
		.amdhsa_system_sgpr_workgroup_id_y 0
		.amdhsa_system_sgpr_workgroup_id_z 0
		.amdhsa_system_sgpr_workgroup_info 0
		.amdhsa_system_vgpr_workitem_id 0
		.amdhsa_next_free_vgpr 48
		.amdhsa_next_free_sgpr 23
		.amdhsa_reserve_vcc 1
		.amdhsa_float_round_mode_32 0
		.amdhsa_float_round_mode_16_64 0
		.amdhsa_float_denorm_mode_32 3
		.amdhsa_float_denorm_mode_16_64 3
		.amdhsa_dx10_clamp 1
		.amdhsa_ieee_mode 1
		.amdhsa_fp16_overflow 0
		.amdhsa_workgroup_processor_mode 1
		.amdhsa_memory_ordered 1
		.amdhsa_forward_progress 0
		.amdhsa_shared_vgpr_count 0
		.amdhsa_exception_fp_ieee_invalid_op 0
		.amdhsa_exception_fp_denorm_src 0
		.amdhsa_exception_fp_ieee_div_zero 0
		.amdhsa_exception_fp_ieee_overflow 0
		.amdhsa_exception_fp_ieee_underflow 0
		.amdhsa_exception_fp_ieee_inexact 0
		.amdhsa_exception_int_div_zero 0
	.end_amdhsa_kernel
	.section	.text._ZN2at6native12_GLOBAL__N_143distribution_elementwise_grid_stride_kernelIjLi4EZZZNS0_9templates4cuda21random_from_to_kernelIPNS_17CUDAGeneratorImplEEEvRNS_18TensorIteratorBaseEmlT_ENKUlvE_clEvENKUlvE5_clEvEUlP25hiprandStatePhilox4_32_10E0_ZNS1_27distribution_nullary_kernelIfj15HIP_vector_typeIjLj4EES7_SF_ZZZNS5_IS7_EEvS9_mlSA_ENKSB_clEvENKSC_clEvEUljE_EEvS9_T2_RKT3_T4_EUlijE_EEvlNS_15PhiloxCudaStateET1_SK_,"axG",@progbits,_ZN2at6native12_GLOBAL__N_143distribution_elementwise_grid_stride_kernelIjLi4EZZZNS0_9templates4cuda21random_from_to_kernelIPNS_17CUDAGeneratorImplEEEvRNS_18TensorIteratorBaseEmlT_ENKUlvE_clEvENKUlvE5_clEvEUlP25hiprandStatePhilox4_32_10E0_ZNS1_27distribution_nullary_kernelIfj15HIP_vector_typeIjLj4EES7_SF_ZZZNS5_IS7_EEvS9_mlSA_ENKSB_clEvENKSC_clEvEUljE_EEvS9_T2_RKT3_T4_EUlijE_EEvlNS_15PhiloxCudaStateET1_SK_,comdat
.Lfunc_end26:
	.size	_ZN2at6native12_GLOBAL__N_143distribution_elementwise_grid_stride_kernelIjLi4EZZZNS0_9templates4cuda21random_from_to_kernelIPNS_17CUDAGeneratorImplEEEvRNS_18TensorIteratorBaseEmlT_ENKUlvE_clEvENKUlvE5_clEvEUlP25hiprandStatePhilox4_32_10E0_ZNS1_27distribution_nullary_kernelIfj15HIP_vector_typeIjLj4EES7_SF_ZZZNS5_IS7_EEvS9_mlSA_ENKSB_clEvENKSC_clEvEUljE_EEvS9_T2_RKT3_T4_EUlijE_EEvlNS_15PhiloxCudaStateET1_SK_, .Lfunc_end26-_ZN2at6native12_GLOBAL__N_143distribution_elementwise_grid_stride_kernelIjLi4EZZZNS0_9templates4cuda21random_from_to_kernelIPNS_17CUDAGeneratorImplEEEvRNS_18TensorIteratorBaseEmlT_ENKUlvE_clEvENKUlvE5_clEvEUlP25hiprandStatePhilox4_32_10E0_ZNS1_27distribution_nullary_kernelIfj15HIP_vector_typeIjLj4EES7_SF_ZZZNS5_IS7_EEvS9_mlSA_ENKSB_clEvENKSC_clEvEUljE_EEvS9_T2_RKT3_T4_EUlijE_EEvlNS_15PhiloxCudaStateET1_SK_
                                        ; -- End function
	.section	.AMDGPU.csdata,"",@progbits
; Kernel info:
; codeLenInByte = 3752
; NumSgprs: 25
; NumVgprs: 48
; ScratchSize: 0
; MemoryBound: 0
; FloatMode: 240
; IeeeMode: 1
; LDSByteSize: 0 bytes/workgroup (compile time only)
; SGPRBlocks: 3
; VGPRBlocks: 5
; NumSGPRsForWavesPerEU: 25
; NumVGPRsForWavesPerEU: 48
; Occupancy: 16
; WaveLimiterHint : 0
; COMPUTE_PGM_RSRC2:SCRATCH_EN: 0
; COMPUTE_PGM_RSRC2:USER_SGPR: 15
; COMPUTE_PGM_RSRC2:TRAP_HANDLER: 0
; COMPUTE_PGM_RSRC2:TGID_X_EN: 1
; COMPUTE_PGM_RSRC2:TGID_Y_EN: 0
; COMPUTE_PGM_RSRC2:TGID_Z_EN: 0
; COMPUTE_PGM_RSRC2:TIDIG_COMP_CNT: 0
	.section	.text._ZN2at6native12_GLOBAL__N_143distribution_elementwise_grid_stride_kernelIjLi4EZZZNS0_9templates4cuda21random_from_to_kernelIPNS_17CUDAGeneratorImplEEEvRNS_18TensorIteratorBaseEmlT_ENKUlvE_clEvENKUlvE5_clEvEUlP25hiprandStatePhilox4_32_10E0_ZNS1_27distribution_nullary_kernelIfj15HIP_vector_typeIjLj4EES7_SF_ZZZNS5_IS7_EEvS9_mlSA_ENKSB_clEvENKSC_clEvEUljE_EEvS9_T2_RKT3_T4_EUlijE0_EEvlNS_15PhiloxCudaStateET1_SK_,"axG",@progbits,_ZN2at6native12_GLOBAL__N_143distribution_elementwise_grid_stride_kernelIjLi4EZZZNS0_9templates4cuda21random_from_to_kernelIPNS_17CUDAGeneratorImplEEEvRNS_18TensorIteratorBaseEmlT_ENKUlvE_clEvENKUlvE5_clEvEUlP25hiprandStatePhilox4_32_10E0_ZNS1_27distribution_nullary_kernelIfj15HIP_vector_typeIjLj4EES7_SF_ZZZNS5_IS7_EEvS9_mlSA_ENKSB_clEvENKSC_clEvEUljE_EEvS9_T2_RKT3_T4_EUlijE0_EEvlNS_15PhiloxCudaStateET1_SK_,comdat
	.globl	_ZN2at6native12_GLOBAL__N_143distribution_elementwise_grid_stride_kernelIjLi4EZZZNS0_9templates4cuda21random_from_to_kernelIPNS_17CUDAGeneratorImplEEEvRNS_18TensorIteratorBaseEmlT_ENKUlvE_clEvENKUlvE5_clEvEUlP25hiprandStatePhilox4_32_10E0_ZNS1_27distribution_nullary_kernelIfj15HIP_vector_typeIjLj4EES7_SF_ZZZNS5_IS7_EEvS9_mlSA_ENKSB_clEvENKSC_clEvEUljE_EEvS9_T2_RKT3_T4_EUlijE0_EEvlNS_15PhiloxCudaStateET1_SK_ ; -- Begin function _ZN2at6native12_GLOBAL__N_143distribution_elementwise_grid_stride_kernelIjLi4EZZZNS0_9templates4cuda21random_from_to_kernelIPNS_17CUDAGeneratorImplEEEvRNS_18TensorIteratorBaseEmlT_ENKUlvE_clEvENKUlvE5_clEvEUlP25hiprandStatePhilox4_32_10E0_ZNS1_27distribution_nullary_kernelIfj15HIP_vector_typeIjLj4EES7_SF_ZZZNS5_IS7_EEvS9_mlSA_ENKSB_clEvENKSC_clEvEUljE_EEvS9_T2_RKT3_T4_EUlijE0_EEvlNS_15PhiloxCudaStateET1_SK_
	.p2align	8
	.type	_ZN2at6native12_GLOBAL__N_143distribution_elementwise_grid_stride_kernelIjLi4EZZZNS0_9templates4cuda21random_from_to_kernelIPNS_17CUDAGeneratorImplEEEvRNS_18TensorIteratorBaseEmlT_ENKUlvE_clEvENKUlvE5_clEvEUlP25hiprandStatePhilox4_32_10E0_ZNS1_27distribution_nullary_kernelIfj15HIP_vector_typeIjLj4EES7_SF_ZZZNS5_IS7_EEvS9_mlSA_ENKSB_clEvENKSC_clEvEUljE_EEvS9_T2_RKT3_T4_EUlijE0_EEvlNS_15PhiloxCudaStateET1_SK_,@function
_ZN2at6native12_GLOBAL__N_143distribution_elementwise_grid_stride_kernelIjLi4EZZZNS0_9templates4cuda21random_from_to_kernelIPNS_17CUDAGeneratorImplEEEvRNS_18TensorIteratorBaseEmlT_ENKUlvE_clEvENKUlvE5_clEvEUlP25hiprandStatePhilox4_32_10E0_ZNS1_27distribution_nullary_kernelIfj15HIP_vector_typeIjLj4EES7_SF_ZZZNS5_IS7_EEvS9_mlSA_ENKSB_clEvENKSC_clEvEUljE_EEvS9_T2_RKT3_T4_EUlijE0_EEvlNS_15PhiloxCudaStateET1_SK_: ; @_ZN2at6native12_GLOBAL__N_143distribution_elementwise_grid_stride_kernelIjLi4EZZZNS0_9templates4cuda21random_from_to_kernelIPNS_17CUDAGeneratorImplEEEvRNS_18TensorIteratorBaseEmlT_ENKUlvE_clEvENKUlvE5_clEvEUlP25hiprandStatePhilox4_32_10E0_ZNS1_27distribution_nullary_kernelIfj15HIP_vector_typeIjLj4EES7_SF_ZZZNS5_IS7_EEvS9_mlSA_ENKSB_clEvENKSC_clEvEUljE_EEvS9_T2_RKT3_T4_EUlijE0_EEvlNS_15PhiloxCudaStateET1_SK_
; %bb.0:
	s_clause 0x2
	s_load_b64 s[4:5], s[0:1], 0x10
	s_load_b128 s[16:19], s[0:1], 0x0
	s_load_b32 s2, s[0:1], 0x20
	s_waitcnt lgkmcnt(0)
	v_dual_mov_b32 v2, s4 :: v_dual_mov_b32 v3, s5
	v_dual_mov_b32 v13, s18 :: v_dual_mov_b32 v14, s19
	s_bitcmp0_b32 s2, 0
	s_mov_b32 s2, 0
	s_cbranch_scc1 .LBB27_2
; %bb.1:
	v_dual_mov_b32 v1, s4 :: v_dual_mov_b32 v2, s5
	v_dual_mov_b32 v4, s18 :: v_dual_mov_b32 v5, s19
	s_load_b64 s[4:5], s[0:1], 0x18
	flat_load_b64 v[2:3], v[1:2]
	flat_load_b64 v[13:14], v[4:5]
	s_waitcnt vmcnt(1) lgkmcnt(0)
	v_add_co_u32 v2, vcc_lo, v2, s4
	v_add_co_ci_u32_e32 v3, vcc_lo, s5, v3, vcc_lo
.LBB27_2:
	s_clause 0x1
	s_load_b32 s3, s[0:1], 0x15c
	s_load_b32 s4, s[0:1], 0x150
	s_waitcnt lgkmcnt(0)
	s_and_b32 s5, s3, 0xffff
	s_add_u32 s6, s16, -1
	s_mul_i32 s28, s4, s5
	s_addc_u32 s3, s17, -1
	s_lshl_b32 s29, s28, 2
	s_cmp_lg_u64 s[2:3], 0
	s_cbranch_scc0 .LBB27_87
; %bb.3:
	v_cvt_f32_ubyte0_e32 v1, 0
	v_cvt_f32_u32_e32 v4, s29
	s_sub_u32 s8, 0, s29
	s_subb_u32 s9, 0, 0
	s_delay_alu instid0(VALU_DEP_1) | instskip(NEXT) | instid1(VALU_DEP_1)
	v_fmamk_f32 v1, v1, 0x4f800000, v4
	v_rcp_f32_e32 v1, v1
	s_waitcnt_depctr 0xfff
	v_mul_f32_e32 v1, 0x5f7ffffc, v1
	s_delay_alu instid0(VALU_DEP_1) | instskip(NEXT) | instid1(VALU_DEP_1)
	v_mul_f32_e32 v4, 0x2f800000, v1
	v_trunc_f32_e32 v4, v4
	s_delay_alu instid0(VALU_DEP_1) | instskip(SKIP_1) | instid1(VALU_DEP_2)
	v_fmamk_f32 v1, v4, 0xcf800000, v1
	v_cvt_u32_f32_e32 v4, v4
	v_cvt_u32_f32_e32 v1, v1
	s_delay_alu instid0(VALU_DEP_2) | instskip(NEXT) | instid1(VALU_DEP_2)
	v_readfirstlane_b32 s2, v4
	v_readfirstlane_b32 s7, v1
	s_delay_alu instid0(VALU_DEP_2) | instskip(NEXT) | instid1(VALU_DEP_1)
	s_mul_i32 s10, s8, s2
	s_mul_hi_u32 s12, s8, s7
	s_mul_i32 s11, s9, s7
	s_add_i32 s10, s12, s10
	s_mul_i32 s13, s8, s7
	s_add_i32 s10, s10, s11
	s_mul_hi_u32 s12, s7, s13
	s_mul_hi_u32 s14, s2, s13
	s_mul_i32 s11, s2, s13
	s_mul_hi_u32 s13, s7, s10
	s_mul_i32 s7, s7, s10
	s_mul_hi_u32 s18, s2, s10
	s_add_u32 s7, s12, s7
	s_addc_u32 s12, 0, s13
	s_add_u32 s7, s7, s11
	s_mul_i32 s10, s2, s10
	s_addc_u32 s7, s12, s14
	s_addc_u32 s11, s18, 0
	s_add_u32 s7, s7, s10
	s_addc_u32 s10, 0, s11
	v_add_co_u32 v1, s7, v1, s7
	s_delay_alu instid0(VALU_DEP_1) | instskip(SKIP_1) | instid1(VALU_DEP_1)
	s_cmp_lg_u32 s7, 0
	s_addc_u32 s2, s2, s10
	v_readfirstlane_b32 s7, v1
	s_mul_i32 s10, s8, s2
	s_delay_alu instid0(VALU_DEP_1)
	s_mul_hi_u32 s11, s8, s7
	s_mul_i32 s9, s9, s7
	s_add_i32 s10, s11, s10
	s_mul_i32 s8, s8, s7
	s_add_i32 s10, s10, s9
	s_mul_hi_u32 s11, s2, s8
	s_mul_i32 s12, s2, s8
	s_mul_hi_u32 s8, s7, s8
	s_mul_hi_u32 s13, s7, s10
	s_mul_i32 s7, s7, s10
	s_mul_hi_u32 s9, s2, s10
	s_add_u32 s7, s8, s7
	s_addc_u32 s8, 0, s13
	s_add_u32 s7, s7, s12
	s_mul_i32 s10, s2, s10
	s_addc_u32 s7, s8, s11
	s_addc_u32 s8, s9, 0
	s_add_u32 s7, s7, s10
	s_addc_u32 s8, 0, s8
	v_add_co_u32 v1, s7, v1, s7
	s_delay_alu instid0(VALU_DEP_1) | instskip(SKIP_2) | instid1(VALU_DEP_1)
	s_cmp_lg_u32 s7, 0
	s_addc_u32 s7, s2, s8
	s_ashr_i32 s8, s3, 31
	v_readfirstlane_b32 s10, v1
	s_add_u32 s2, s6, s8
	s_mov_b32 s9, s8
	s_addc_u32 s3, s3, s8
	s_delay_alu instid0(SALU_CYCLE_1) | instskip(NEXT) | instid1(SALU_CYCLE_1)
	s_xor_b64 s[2:3], s[2:3], s[8:9]
	s_mul_i32 s12, s2, s7
	s_mul_hi_u32 s13, s2, s10
	s_mul_hi_u32 s11, s2, s7
	;; [unrolled: 1-line block ×3, first 2 shown]
	s_mul_i32 s10, s3, s10
	s_add_u32 s12, s13, s12
	s_addc_u32 s11, 0, s11
	s_mul_hi_u32 s14, s3, s7
	s_add_u32 s10, s12, s10
	s_mul_i32 s7, s3, s7
	s_addc_u32 s10, s11, s18
	s_addc_u32 s11, s14, 0
	s_add_u32 s7, s10, s7
	s_addc_u32 s10, 0, s11
	s_mul_i32 s12, s29, s7
	s_add_u32 s11, s7, 1
	v_sub_co_u32 v1, s2, s2, s12
	s_mul_hi_u32 s12, s29, s7
	s_addc_u32 s13, s10, 0
	s_mul_i32 s14, s29, s10
	s_delay_alu instid0(VALU_DEP_1)
	v_sub_co_u32 v4, s18, v1, s29
	s_add_u32 s19, s7, 2
	s_addc_u32 s20, s10, 0
	s_add_i32 s12, s12, s14
	s_cmp_lg_u32 s2, 0
	v_readfirstlane_b32 s2, v4
	s_subb_u32 s3, s3, s12
	s_cmp_lg_u32 s18, 0
	s_subb_u32 s12, s3, 0
	s_delay_alu instid0(VALU_DEP_1) | instskip(SKIP_4) | instid1(SALU_CYCLE_1)
	s_cmp_ge_u32 s2, s29
	s_cselect_b32 s2, -1, 0
	s_cmp_eq_u32 s12, 0
	v_readfirstlane_b32 s12, v1
	s_cselect_b32 s2, s2, -1
	s_cmp_lg_u32 s2, 0
	s_cselect_b32 s2, s19, s11
	s_cselect_b32 s11, s20, s13
	s_cmp_ge_u32 s12, s29
	s_cselect_b32 s12, -1, 0
	s_cmp_eq_u32 s3, 0
	s_cselect_b32 s3, s12, -1
	s_delay_alu instid0(SALU_CYCLE_1) | instskip(SKIP_2) | instid1(SALU_CYCLE_1)
	s_cmp_lg_u32 s3, 0
	s_cselect_b32 s3, s11, s10
	s_cselect_b32 s2, s2, s7
	s_xor_b64 s[2:3], s[2:3], s[8:9]
	s_delay_alu instid0(SALU_CYCLE_1)
	s_sub_u32 s2, s2, s8
	s_subb_u32 s3, s3, s8
	s_cbranch_execnz .LBB27_5
.LBB27_4:
	v_cvt_f32_u32_e32 v1, s29
	s_sub_i32 s3, 0, s29
	s_delay_alu instid0(VALU_DEP_1) | instskip(SKIP_2) | instid1(VALU_DEP_1)
	v_rcp_iflag_f32_e32 v1, v1
	s_waitcnt_depctr 0xfff
	v_mul_f32_e32 v1, 0x4f7ffffe, v1
	v_cvt_u32_f32_e32 v1, v1
	s_delay_alu instid0(VALU_DEP_1) | instskip(NEXT) | instid1(VALU_DEP_1)
	v_readfirstlane_b32 s2, v1
	s_mul_i32 s3, s3, s2
	s_delay_alu instid0(SALU_CYCLE_1) | instskip(NEXT) | instid1(SALU_CYCLE_1)
	s_mul_hi_u32 s3, s2, s3
	s_add_i32 s2, s2, s3
	s_delay_alu instid0(SALU_CYCLE_1) | instskip(NEXT) | instid1(SALU_CYCLE_1)
	s_mul_hi_u32 s2, s6, s2
	s_mul_i32 s3, s2, s29
	s_delay_alu instid0(SALU_CYCLE_1)
	s_sub_i32 s3, s6, s3
	s_add_i32 s6, s2, 1
	s_sub_i32 s7, s3, s29
	s_cmp_ge_u32 s3, s29
	s_cselect_b32 s2, s6, s2
	s_cselect_b32 s3, s7, s3
	s_add_i32 s6, s2, 1
	s_cmp_ge_u32 s3, s29
	s_mov_b32 s3, 0
	s_cselect_b32 s2, s6, s2
.LBB27_5:
	v_mov_b32_e32 v1, 0
	s_add_u32 s2, s2, 1
	s_addc_u32 s3, s3, 0
	s_mul_hi_u32 s6, s28, s2
	s_mul_i32 s3, s28, s3
	v_mad_u64_u32 v[15:16], null, s5, s15, v[0:1]
	s_mul_hi_u32 s4, s4, s5
	s_add_i32 s3, s6, s3
	s_mul_i32 s4, s4, s2
	s_mul_i32 s2, s28, s2
	s_add_i32 s3, s3, s4
	s_mov_b32 s4, exec_lo
	s_lshl_b64 s[2:3], s[2:3], 2
	s_delay_alu instid0(SALU_CYCLE_1)
	v_cmpx_gt_i64_e64 s[2:3], v[15:16]
	s_cbranch_execz .LBB27_86
; %bb.6:
	v_alignbit_b32 v19, v3, v2, 2
	v_mad_u64_u32 v[6:7], null, 0xcd9e8d57, v15, 0
	v_lshrrev_b32_e32 v20, 2, v3
	s_waitcnt vmcnt(0)
	v_dual_mov_b32 v11, v14 :: v_dual_add_nc_u32 v28, 0x8ff34781, v13
	v_mad_u64_u32 v[4:5], null, 0xd2511f53, v19, 0
	v_add_co_u32 v22, null, 0x9e3779b9, v13
	v_xor3_b32 v3, v13, v7, v20
	s_delay_alu instid0(VALU_DEP_4) | instskip(SKIP_2) | instid1(VALU_DEP_4)
	v_add_co_u32 v21, null, 0xbb67ae85, v11
	v_add_co_u32 v23, null, 0x3c6ef372, v13
	v_xor_b32_e32 v0, v5, v14
	v_mad_u64_u32 v[7:8], null, 0xd2511f53, v3, 0
	v_add_co_u32 v24, null, 0x76cf5d0a, v11
	s_delay_alu instid0(VALU_DEP_3) | instskip(SKIP_2) | instid1(VALU_DEP_3)
	v_xor_b32_e32 v0, v0, v16
	v_add_co_u32 v25, null, 0x32370b8f, v11
	v_add_co_u32 v26, null, 0xdaa66d2b, v13
	v_mad_u64_u32 v[9:10], null, 0xcd9e8d57, v0, 0
	v_xor3_b32 v0, v21, v8, v4
	v_dual_mov_b32 v38, v15 :: v_dual_and_b32 v27, 3, v2
	v_add_co_u32 v29, null, 0x78dde6e4, v13
	s_delay_alu instid0(VALU_DEP_3) | instskip(SKIP_3) | instid1(VALU_DEP_3)
	v_mad_u64_u32 v[3:4], null, 0xcd9e8d57, v0, 0
	v_xor3_b32 v8, v22, v10, v6
	v_add_co_u32 v31, null, 0xed9eba14, v11
	v_add_co_u32 v33, null, 0xa9066899, v11
	v_mad_u64_u32 v[5:6], null, 0xd2511f53, v8, 0
	v_xor3_b32 v0, v23, v4, v9
	v_add_co_u32 v34, null, 0x1715609d, v13
	v_add_co_u32 v35, null, 0xb54cda56, v13
	;; [unrolled: 1-line block ×3, first 2 shown]
	v_xor3_b32 v4, v24, v6, v7
	v_mad_u64_u32 v[6:7], null, 0xd2511f53, v0, 0
	s_load_b256 s[4:11], s[0:1], 0x30
	v_add_co_u32 v32, null, 0x5384540f, v13
	s_delay_alu instid0(VALU_DEP_3) | instskip(SKIP_1) | instid1(VALU_DEP_4)
	v_mad_u64_u32 v[8:9], null, 0xcd9e8d57, v4, 0
	v_add_co_u32 v39, null, 0x1fd5c5a3, v11
	v_xor3_b32 v0, v25, v7, v5
	v_add_co_u32 v36, null, 0xf1bbcdc8, v13
	v_add_co_u32 v40, null, 0xdb3d7428, v11
	v_xor3_b32 v7, v26, v9, v3
	s_delay_alu instid0(VALU_DEP_4) | instskip(SKIP_2) | instid1(VALU_DEP_2)
	v_mad_u64_u32 v[2:3], null, 0xcd9e8d57, v0, 0
	s_add_u32 s18, s0, 48
	s_load_b64 s[20:21], s[0:1], 0x148
	v_mad_u64_u32 v[4:5], null, 0xd2511f53, v7, 0
	s_clause 0x1
	s_load_b64 s[22:23], s[0:1], 0xf4
	s_load_b128 s[12:15], s[0:1], 0x138
	s_addc_u32 s19, s1, 0
	v_xor3_b32 v0, v29, v3, v8
	s_waitcnt lgkmcnt(0)
	s_add_i32 s24, s4, -1
	v_mov_b32_e32 v41, v16
	s_cmp_gt_u32 s24, 1
	v_xor3_b32 v3, v31, v5, v6
	v_mad_u64_u32 v[5:6], null, 0xd2511f53, v0, 0
	s_cselect_b32 s11, -1, 0
	s_cmp_lg_u32 s4, 0
	s_delay_alu instid0(VALU_DEP_2) | instskip(SKIP_2) | instid1(VALU_DEP_2)
	v_mad_u64_u32 v[7:8], null, 0xcd9e8d57, v3, 0
	s_cselect_b32 s31, -1, 0
	s_add_u32 s0, s0, 0xf4
	v_xor3_b32 v0, v33, v6, v4
	s_addc_u32 s1, s1, 0
	s_min_u32 s25, s24, 15
	s_cmp_gt_u32 s4, 1
	s_delay_alu instid0(VALU_DEP_2) | instskip(SKIP_3) | instid1(VALU_DEP_2)
	v_xor3_b32 v4, v34, v8, v2
	v_mad_u64_u32 v[2:3], null, 0xcd9e8d57, v0, 0
	s_cselect_b32 s4, -1, 0
	s_add_i32 s25, s25, 1
	v_mad_u64_u32 v[8:9], null, 0xd2511f53, v4, 0
	s_lshl_b32 s33, s28, 1
	s_and_b32 s34, s25, 3
	s_delay_alu instid0(VALU_DEP_2) | instskip(SKIP_3) | instid1(VALU_DEP_2)
	v_xor3_b32 v0, v35, v3, v7
	s_cmp_lg_u32 s24, 2
	s_mov_b32 s30, 0
	s_cselect_b32 s35, -1, 0
	v_xor3_b32 v7, v37, v9, v5
	v_mad_u64_u32 v[3:4], null, 0xd2511f53, v0, 0
	s_and_b32 s36, s25, 28
	s_cmp_lg_u32 s34, 0
	s_delay_alu instid0(VALU_DEP_2) | instskip(SKIP_2) | instid1(VALU_DEP_2)
	v_mad_u64_u32 v[5:6], null, 0xcd9e8d57, v7, 0
	s_mul_i32 s37, s28, 3
	s_cselect_b32 s38, -1, 0
	v_xor3_b32 v0, v39, v4, v8
	s_delay_alu instid0(VALU_DEP_2) | instskip(NEXT) | instid1(VALU_DEP_2)
	v_xor3_b32 v2, v32, v6, v2
	v_mad_u64_u32 v[6:7], null, 0xcd9e8d57, v0, 0
	s_delay_alu instid0(VALU_DEP_2) | instskip(NEXT) | instid1(VALU_DEP_2)
	v_mad_u64_u32 v[8:9], null, 0xd2511f53, v2, 0
	v_xor3_b32 v0, v36, v7, v5
	s_delay_alu instid0(VALU_DEP_2) | instskip(NEXT) | instid1(VALU_DEP_2)
	v_xor3_b32 v2, v40, v9, v3
	v_mad_u64_u32 v[9:10], null, 0xd2511f53, v0, 0
	v_add_nc_u32_e32 v30, 0x96a522ad, v14
	s_delay_alu instid0(VALU_DEP_3) | instskip(NEXT) | instid1(VALU_DEP_3)
	v_mad_u64_u32 v[3:4], null, 0xcd9e8d57, v2, 0
	v_mov_b32_e32 v5, v9
	s_delay_alu instid0(VALU_DEP_2) | instskip(NEXT) | instid1(VALU_DEP_4)
	v_xor3_b32 v2, v4, v6, v28
	v_xor3_b32 v4, v10, v8, v30
	s_branch .LBB27_9
.LBB27_7:                               ;   in Loop: Header=BB27_9 Depth=1
	s_or_b32 exec_lo, exec_lo, s24
	s_delay_alu instid0(VALU_DEP_1) | instskip(SKIP_1) | instid1(VALU_DEP_1)
	v_add_co_u32 v3, vcc_lo, v0, s20
	v_add_co_ci_u32_e32 v4, vcc_lo, s21, v1, vcc_lo
	v_xor_b32_e32 v0, v3, v4
	v_cls_i32_e32 v5, v4
	s_delay_alu instid0(VALU_DEP_2) | instskip(NEXT) | instid1(VALU_DEP_2)
	v_ashrrev_i32_e32 v0, 31, v0
	v_add_nc_u32_e32 v5, -1, v5
	s_delay_alu instid0(VALU_DEP_2) | instskip(NEXT) | instid1(VALU_DEP_1)
	v_add_nc_u32_e32 v0, 32, v0
	v_min_u32_e32 v0, v5, v0
	s_delay_alu instid0(VALU_DEP_1) | instskip(SKIP_1) | instid1(VALU_DEP_2)
	v_lshlrev_b64 v[3:4], v0, v[3:4]
	v_sub_nc_u32_e32 v0, 32, v0
	v_min_u32_e32 v3, 1, v3
	s_delay_alu instid0(VALU_DEP_1) | instskip(NEXT) | instid1(VALU_DEP_1)
	v_or_b32_e32 v3, v4, v3
	v_cvt_f32_i32_e32 v3, v3
	s_delay_alu instid0(VALU_DEP_1)
	v_ldexp_f32 v0, v3, v0
	global_store_b32 v2, v0, s[12:13]
.LBB27_8:                               ;   in Loop: Header=BB27_9 Depth=1
	s_or_b32 exec_lo, exec_lo, s39
	v_add_co_u32 v15, vcc_lo, v15, s29
	v_add_co_ci_u32_e32 v16, vcc_lo, 0, v16, vcc_lo
	v_mov_b32_e32 v9, v17
	v_dual_mov_b32 v2, v6 :: v_dual_mov_b32 v3, v7
	s_delay_alu instid0(VALU_DEP_3) | instskip(NEXT) | instid1(VALU_DEP_3)
	v_cmp_le_i64_e32 vcc_lo, s[2:3], v[15:16]
	v_dual_mov_b32 v4, v8 :: v_dual_mov_b32 v5, v9
	s_waitcnt_vscnt null, 0x0
	s_barrier
	buffer_gl0_inv
	s_or_b32 s30, vcc_lo, s30
	s_delay_alu instid0(SALU_CYCLE_1)
	s_and_not1_b32 exec_lo, exec_lo, s30
	s_cbranch_execz .LBB27_86
.LBB27_9:                               ; =>This Loop Header: Depth=1
                                        ;     Child Loop BB27_24 Depth 2
                                        ;     Child Loop BB27_29 Depth 2
	;; [unrolled: 1-line block ×8, first 2 shown]
	v_add_co_u32 v19, vcc_lo, v19, 1
	s_delay_alu instid0(VALU_DEP_1) | instskip(SKIP_1) | instid1(VALU_DEP_3)
	v_cndmask_b32_e64 v0, 0, 1, vcc_lo
	v_add_co_ci_u32_e32 v20, vcc_lo, 0, v20, vcc_lo
	v_mad_u64_u32 v[6:7], null, 0xd2511f53, v19, 0
	s_mov_b32 s24, exec_lo
	s_delay_alu instid0(VALU_DEP_2) | instskip(SKIP_1) | instid1(VALU_DEP_1)
	v_cmp_eq_u32_e32 vcc_lo, 0, v20
	v_cndmask_b32_e32 v0, 0, v0, vcc_lo
	v_add_nc_u32_e32 v38, v0, v38
	s_delay_alu instid0(VALU_DEP_1) | instskip(SKIP_2) | instid1(VALU_DEP_1)
	v_cmp_eq_u32_e32 vcc_lo, 0, v38
	v_mad_u64_u32 v[8:9], null, 0xcd9e8d57, v38, 0
	v_cndmask_b32_e32 v0, 0, v0, vcc_lo
	v_add_nc_u32_e32 v41, v0, v41
	v_xor_b32_e32 v0, v7, v14
	s_delay_alu instid0(VALU_DEP_4) | instskip(NEXT) | instid1(VALU_DEP_2)
	v_xor3_b32 v7, v9, v13, v20
	v_xor_b32_e32 v0, v41, v0
	s_delay_alu instid0(VALU_DEP_2) | instskip(NEXT) | instid1(VALU_DEP_2)
	v_mad_u64_u32 v[9:10], null, 0xd2511f53, v7, 0
	v_mad_u64_u32 v[11:12], null, 0xcd9e8d57, v0, 0
	s_delay_alu instid0(VALU_DEP_2) | instskip(NEXT) | instid1(VALU_DEP_2)
	v_xor3_b32 v0, v21, v10, v6
	v_xor3_b32 v8, v22, v12, v8
	s_delay_alu instid0(VALU_DEP_2) | instskip(NEXT) | instid1(VALU_DEP_2)
	v_mad_u64_u32 v[6:7], null, 0xcd9e8d57, v0, 0
	v_mad_u64_u32 v[17:18], null, 0xd2511f53, v8, 0
	s_delay_alu instid0(VALU_DEP_2) | instskip(NEXT) | instid1(VALU_DEP_2)
	v_xor3_b32 v0, v23, v7, v11
	v_xor3_b32 v11, v24, v18, v9
	;; [unrolled: 6-line block ×9, first 2 shown]
	s_delay_alu instid0(VALU_DEP_2)
	v_mov_b32_e32 v8, v12
	v_cmpx_lt_i32_e32 1, v27
	s_xor_b32 s24, exec_lo, s24
	s_cbranch_execnz .LBB27_12
; %bb.10:                               ;   in Loop: Header=BB27_9 Depth=1
	s_and_not1_saveexec_b32 s24, s24
	s_cbranch_execnz .LBB27_17
.LBB27_11:                              ;   in Loop: Header=BB27_9 Depth=1
	s_or_b32 exec_lo, exec_lo, s24
	s_delay_alu instid0(SALU_CYCLE_1)
	s_mov_b32 s39, exec_lo
	v_cmpx_gt_i64_e64 s[16:17], v[15:16]
	s_cbranch_execnz .LBB27_20
	s_branch .LBB27_36
.LBB27_12:                              ;   in Loop: Header=BB27_9 Depth=1
	s_mov_b32 s25, exec_lo
	v_cmpx_lt_i32_e32 2, v27
	s_xor_b32 s25, exec_lo, s25
; %bb.13:                               ;   in Loop: Header=BB27_9 Depth=1
	v_dual_mov_b32 v9, v5 :: v_dual_mov_b32 v10, v6
	v_mov_b32_e32 v11, v7
	s_delay_alu instid0(VALU_DEP_2) | instskip(NEXT) | instid1(VALU_DEP_2)
	v_dual_mov_b32 v2, v9 :: v_dual_mov_b32 v3, v10
	v_dual_mov_b32 v4, v11 :: v_dual_mov_b32 v5, v12
; %bb.14:                               ;   in Loop: Header=BB27_9 Depth=1
	s_and_not1_saveexec_b32 s25, s25
; %bb.15:                               ;   in Loop: Header=BB27_9 Depth=1
	s_delay_alu instid0(VALU_DEP_1)
	v_dual_mov_b32 v2, v4 :: v_dual_mov_b32 v3, v5
	v_dual_mov_b32 v4, v6 :: v_dual_mov_b32 v5, v7
; %bb.16:                               ;   in Loop: Header=BB27_9 Depth=1
	s_or_b32 exec_lo, exec_lo, s25
	s_and_not1_saveexec_b32 s24, s24
	s_cbranch_execz .LBB27_11
.LBB27_17:                              ;   in Loop: Header=BB27_9 Depth=1
	s_mov_b32 s25, exec_lo
	v_cmpx_eq_u32_e32 1, v27
; %bb.18:                               ;   in Loop: Header=BB27_9 Depth=1
	v_dual_mov_b32 v2, v3 :: v_dual_mov_b32 v3, v4
	v_dual_mov_b32 v4, v5 :: v_dual_mov_b32 v5, v6
; %bb.19:                               ;   in Loop: Header=BB27_9 Depth=1
	s_or_b32 exec_lo, exec_lo, s25
	s_delay_alu instid0(SALU_CYCLE_1) | instskip(NEXT) | instid1(SALU_CYCLE_1)
	s_or_b32 exec_lo, exec_lo, s24
	s_mov_b32 s39, exec_lo
	v_cmpx_gt_i64_e64 s[16:17], v[15:16]
	s_cbranch_execz .LBB27_36
.LBB27_20:                              ;   in Loop: Header=BB27_9 Depth=1
	s_and_not1_b32 vcc_lo, exec_lo, s11
	s_cbranch_vccnz .LBB27_26
; %bb.21:                               ;   in Loop: Header=BB27_9 Depth=1
	v_mov_b32_e32 v9, 0
	s_and_not1_b32 vcc_lo, exec_lo, s31
	s_cbranch_vccnz .LBB27_30
; %bb.22:                               ;   in Loop: Header=BB27_9 Depth=1
	s_and_not1_b32 vcc_lo, exec_lo, s35
	s_mov_b32 s24, 0
	s_cbranch_vccnz .LBB27_27
; %bb.23:                               ;   in Loop: Header=BB27_9 Depth=1
	v_dual_mov_b32 v9, 0 :: v_dual_mov_b32 v0, v15
	s_mov_b32 s40, 0
	s_mov_b64 s[24:25], s[18:19]
	s_mov_b64 s[26:27], s[0:1]
.LBB27_24:                              ;   Parent Loop BB27_9 Depth=1
                                        ; =>  This Inner Loop Header: Depth=2
	s_clause 0x1
	s_load_b256 s[44:51], s[24:25], 0x4
	s_load_b128 s[52:55], s[24:25], 0x24
	s_load_b128 s[56:59], s[26:27], 0x0
	s_add_u32 s24, s24, 48
	s_addc_u32 s25, s25, 0
	s_add_i32 s40, s40, 4
	s_add_u32 s26, s26, 16
	s_addc_u32 s27, s27, 0
	s_cmp_lg_u32 s36, s40
	s_waitcnt lgkmcnt(0)
	v_mul_hi_u32 v10, s45, v0
	s_delay_alu instid0(VALU_DEP_1) | instskip(NEXT) | instid1(VALU_DEP_1)
	v_add_nc_u32_e32 v10, v0, v10
	v_lshrrev_b32_e32 v10, s46, v10
	s_delay_alu instid0(VALU_DEP_1) | instskip(SKIP_1) | instid1(VALU_DEP_2)
	v_mul_hi_u32 v11, s48, v10
	v_mul_lo_u32 v42, v10, s44
	v_add_nc_u32_e32 v11, v10, v11
	s_delay_alu instid0(VALU_DEP_2) | instskip(NEXT) | instid1(VALU_DEP_2)
	v_sub_nc_u32_e32 v42, v0, v42
	v_lshrrev_b32_e32 v11, s49, v11
	s_delay_alu instid0(VALU_DEP_2) | instskip(NEXT) | instid1(VALU_DEP_2)
	v_mul_lo_u32 v42, v42, s56
	v_mul_hi_u32 v12, s51, v11
	v_mul_lo_u32 v43, v11, s47
	s_delay_alu instid0(VALU_DEP_2) | instskip(NEXT) | instid1(VALU_DEP_2)
	v_add_nc_u32_e32 v12, v11, v12
	v_sub_nc_u32_e32 v10, v10, v43
	s_delay_alu instid0(VALU_DEP_2) | instskip(NEXT) | instid1(VALU_DEP_2)
	v_lshrrev_b32_e32 v12, s52, v12
	v_mul_lo_u32 v10, v10, s57
	s_delay_alu instid0(VALU_DEP_2) | instskip(NEXT) | instid1(VALU_DEP_2)
	v_mul_hi_u32 v18, s54, v12
	v_add3_u32 v9, v42, v9, v10
	s_delay_alu instid0(VALU_DEP_2) | instskip(NEXT) | instid1(VALU_DEP_1)
	v_add_nc_u32_e32 v18, v12, v18
	v_lshrrev_b32_e32 v0, s55, v18
	v_mul_lo_u32 v18, v12, s50
	s_delay_alu instid0(VALU_DEP_2) | instskip(NEXT) | instid1(VALU_DEP_2)
	v_mul_lo_u32 v44, v0, s53
	v_sub_nc_u32_e32 v11, v11, v18
	s_delay_alu instid0(VALU_DEP_2) | instskip(NEXT) | instid1(VALU_DEP_2)
	v_sub_nc_u32_e32 v12, v12, v44
	v_mul_lo_u32 v11, v11, s58
	s_delay_alu instid0(VALU_DEP_2) | instskip(NEXT) | instid1(VALU_DEP_1)
	v_mul_lo_u32 v12, v12, s59
	v_add3_u32 v9, v11, v9, v12
	s_cbranch_scc1 .LBB27_24
; %bb.25:                               ;   in Loop: Header=BB27_9 Depth=1
	s_mov_b32 s24, s36
	s_and_not1_b32 vcc_lo, exec_lo, s38
	s_cbranch_vccz .LBB27_28
	s_branch .LBB27_30
.LBB27_26:                              ;   in Loop: Header=BB27_9 Depth=1
                                        ; implicit-def: $vgpr9
	s_branch .LBB27_31
.LBB27_27:                              ;   in Loop: Header=BB27_9 Depth=1
	v_mov_b32_e32 v0, v15
	s_and_not1_b32 vcc_lo, exec_lo, s38
	s_cbranch_vccnz .LBB27_30
.LBB27_28:                              ;   in Loop: Header=BB27_9 Depth=1
	s_lshl_b32 s25, s24, 2
	s_mul_i32 s26, s24, 12
	s_add_u32 s24, s0, s25
	s_addc_u32 s25, s1, 0
	s_add_u32 s26, s18, s26
	s_addc_u32 s27, s19, 0
	s_mov_b32 s40, s34
	.p2align	6
.LBB27_29:                              ;   Parent Loop BB27_9 Depth=1
                                        ; =>  This Inner Loop Header: Depth=2
	s_clause 0x1
	s_load_b64 s[42:43], s[26:27], 0x4
	s_load_b32 s41, s[26:27], 0xc
	s_add_u32 s26, s26, 12
	s_addc_u32 s27, s27, 0
	s_waitcnt lgkmcnt(0)
	v_mul_hi_u32 v10, s43, v0
	s_load_b32 s43, s[24:25], 0x0
	s_add_u32 s24, s24, 4
	s_addc_u32 s25, s25, 0
	s_add_i32 s40, s40, -1
	s_delay_alu instid0(SALU_CYCLE_1) | instskip(NEXT) | instid1(VALU_DEP_1)
	s_cmp_lg_u32 s40, 0
	v_add_nc_u32_e32 v10, v0, v10
	s_delay_alu instid0(VALU_DEP_1) | instskip(NEXT) | instid1(VALU_DEP_1)
	v_lshrrev_b32_e32 v12, s41, v10
	v_mul_lo_u32 v10, v12, s42
	s_delay_alu instid0(VALU_DEP_1) | instskip(SKIP_1) | instid1(VALU_DEP_1)
	v_sub_nc_u32_e32 v0, v0, v10
	s_waitcnt lgkmcnt(0)
	v_mad_u64_u32 v[10:11], null, v0, s43, v[9:10]
	s_delay_alu instid0(VALU_DEP_1)
	v_dual_mov_b32 v0, v12 :: v_dual_mov_b32 v9, v10
	s_cbranch_scc1 .LBB27_29
.LBB27_30:                              ;   in Loop: Header=BB27_9 Depth=1
	s_cbranch_execnz .LBB27_33
.LBB27_31:                              ;   in Loop: Header=BB27_9 Depth=1
	v_mul_hi_u32 v0, v15, s6
	s_and_not1_b32 vcc_lo, exec_lo, s4
	s_delay_alu instid0(VALU_DEP_1) | instskip(NEXT) | instid1(VALU_DEP_1)
	v_add_nc_u32_e32 v0, v0, v15
	v_lshrrev_b32_e32 v0, s7, v0
	s_delay_alu instid0(VALU_DEP_1) | instskip(NEXT) | instid1(VALU_DEP_1)
	v_mul_lo_u32 v9, v0, s5
	v_sub_nc_u32_e32 v9, v15, v9
	s_delay_alu instid0(VALU_DEP_1)
	v_mul_lo_u32 v9, v9, s22
	s_cbranch_vccnz .LBB27_33
; %bb.32:                               ;   in Loop: Header=BB27_9 Depth=1
	v_mul_hi_u32 v10, s9, v0
	s_delay_alu instid0(VALU_DEP_1) | instskip(NEXT) | instid1(VALU_DEP_1)
	v_add_nc_u32_e32 v10, v0, v10
	v_lshrrev_b32_e32 v10, s10, v10
	s_delay_alu instid0(VALU_DEP_1) | instskip(NEXT) | instid1(VALU_DEP_1)
	v_mul_lo_u32 v10, v10, s8
	v_sub_nc_u32_e32 v0, v0, v10
	s_delay_alu instid0(VALU_DEP_1) | instskip(NEXT) | instid1(VALU_DEP_1)
	v_mad_u64_u32 v[10:11], null, v0, s23, v[9:10]
	v_mov_b32_e32 v9, v10
.LBB27_33:                              ;   in Loop: Header=BB27_9 Depth=1
	v_mov_b32_e32 v0, v2
	s_mov_b32 s24, exec_lo
	s_delay_alu instid0(VALU_DEP_1)
	v_cmpx_le_u64_e64 s[14:15], v[0:1]
	s_cbranch_execz .LBB27_35
; %bb.34:                               ;   in Loop: Header=BB27_9 Depth=1
	v_cvt_f32_u32_e32 v2, s14
	s_sub_i32 s25, 0, s14
	s_delay_alu instid0(VALU_DEP_1) | instskip(SKIP_2) | instid1(VALU_DEP_1)
	v_rcp_iflag_f32_e32 v2, v2
	s_waitcnt_depctr 0xfff
	v_mul_f32_e32 v2, 0x4f7ffffe, v2
	v_cvt_u32_f32_e32 v2, v2
	s_delay_alu instid0(VALU_DEP_1) | instskip(NEXT) | instid1(VALU_DEP_1)
	v_mul_lo_u32 v10, s25, v2
	v_mul_hi_u32 v10, v2, v10
	s_delay_alu instid0(VALU_DEP_1) | instskip(NEXT) | instid1(VALU_DEP_1)
	v_add_nc_u32_e32 v2, v2, v10
	v_mul_hi_u32 v2, v0, v2
	s_delay_alu instid0(VALU_DEP_1) | instskip(NEXT) | instid1(VALU_DEP_1)
	v_mul_lo_u32 v2, v2, s14
	v_sub_nc_u32_e32 v0, v0, v2
	s_delay_alu instid0(VALU_DEP_1) | instskip(SKIP_1) | instid1(VALU_DEP_2)
	v_subrev_nc_u32_e32 v2, s14, v0
	v_cmp_le_u32_e32 vcc_lo, s14, v0
	v_cndmask_b32_e32 v0, v0, v2, vcc_lo
	s_delay_alu instid0(VALU_DEP_1) | instskip(SKIP_1) | instid1(VALU_DEP_2)
	v_subrev_nc_u32_e32 v2, s14, v0
	v_cmp_le_u32_e32 vcc_lo, s14, v0
	v_cndmask_b32_e32 v0, v0, v2, vcc_lo
.LBB27_35:                              ;   in Loop: Header=BB27_9 Depth=1
	s_or_b32 exec_lo, exec_lo, s24
	s_delay_alu instid0(VALU_DEP_1) | instskip(SKIP_1) | instid1(VALU_DEP_1)
	v_add_co_u32 v10, vcc_lo, v0, s20
	v_add_co_ci_u32_e32 v11, vcc_lo, s21, v1, vcc_lo
	v_xor_b32_e32 v0, v10, v11
	v_cls_i32_e32 v2, v11
	s_delay_alu instid0(VALU_DEP_2) | instskip(NEXT) | instid1(VALU_DEP_2)
	v_ashrrev_i32_e32 v0, 31, v0
	v_add_nc_u32_e32 v2, -1, v2
	s_delay_alu instid0(VALU_DEP_2) | instskip(NEXT) | instid1(VALU_DEP_1)
	v_add_nc_u32_e32 v0, 32, v0
	v_min_u32_e32 v0, v2, v0
	s_delay_alu instid0(VALU_DEP_1) | instskip(SKIP_1) | instid1(VALU_DEP_2)
	v_lshlrev_b64 v[10:11], v0, v[10:11]
	v_sub_nc_u32_e32 v0, 32, v0
	v_min_u32_e32 v2, 1, v10
	s_delay_alu instid0(VALU_DEP_1) | instskip(NEXT) | instid1(VALU_DEP_1)
	v_or_b32_e32 v2, v11, v2
	v_cvt_f32_i32_e32 v2, v2
	s_delay_alu instid0(VALU_DEP_1)
	v_ldexp_f32 v0, v2, v0
	global_store_b32 v9, v0, s[12:13]
.LBB27_36:                              ;   in Loop: Header=BB27_9 Depth=1
	s_or_b32 exec_lo, exec_lo, s39
	v_add_co_u32 v9, vcc_lo, v15, s28
	v_add_co_ci_u32_e32 v10, vcc_lo, 0, v16, vcc_lo
	s_mov_b32 s39, exec_lo
	s_delay_alu instid0(VALU_DEP_1)
	v_cmpx_gt_i64_e64 s[16:17], v[9:10]
	s_cbranch_execz .LBB27_53
; %bb.37:                               ;   in Loop: Header=BB27_9 Depth=1
	s_and_not1_b32 vcc_lo, exec_lo, s11
	s_cbranch_vccnz .LBB27_43
; %bb.38:                               ;   in Loop: Header=BB27_9 Depth=1
	v_mov_b32_e32 v2, 0
	s_and_not1_b32 vcc_lo, exec_lo, s31
	s_cbranch_vccnz .LBB27_47
; %bb.39:                               ;   in Loop: Header=BB27_9 Depth=1
	s_and_not1_b32 vcc_lo, exec_lo, s35
	s_mov_b32 s24, 0
	s_cbranch_vccnz .LBB27_44
; %bb.40:                               ;   in Loop: Header=BB27_9 Depth=1
	v_mov_b32_e32 v2, 0
	v_mov_b32_e32 v0, v9
	s_mov_b32 s40, 0
	s_mov_b64 s[24:25], s[18:19]
	s_mov_b64 s[26:27], s[0:1]
.LBB27_41:                              ;   Parent Loop BB27_9 Depth=1
                                        ; =>  This Inner Loop Header: Depth=2
	s_clause 0x1
	s_load_b256 s[44:51], s[24:25], 0x4
	s_load_b128 s[52:55], s[24:25], 0x24
	s_load_b128 s[56:59], s[26:27], 0x0
	s_add_u32 s24, s24, 48
	s_addc_u32 s25, s25, 0
	s_add_i32 s40, s40, 4
	s_add_u32 s26, s26, 16
	s_addc_u32 s27, s27, 0
	s_cmp_eq_u32 s36, s40
	s_waitcnt lgkmcnt(0)
	v_mul_hi_u32 v10, s45, v0
	s_delay_alu instid0(VALU_DEP_1) | instskip(NEXT) | instid1(VALU_DEP_1)
	v_add_nc_u32_e32 v10, v0, v10
	v_lshrrev_b32_e32 v10, s46, v10
	s_delay_alu instid0(VALU_DEP_1) | instskip(SKIP_1) | instid1(VALU_DEP_2)
	v_mul_hi_u32 v11, s48, v10
	v_mul_lo_u32 v42, v10, s44
	v_add_nc_u32_e32 v11, v10, v11
	s_delay_alu instid0(VALU_DEP_2) | instskip(NEXT) | instid1(VALU_DEP_2)
	v_sub_nc_u32_e32 v42, v0, v42
	v_lshrrev_b32_e32 v11, s49, v11
	s_delay_alu instid0(VALU_DEP_2) | instskip(NEXT) | instid1(VALU_DEP_2)
	v_mul_lo_u32 v42, v42, s56
	v_mul_hi_u32 v12, s51, v11
	v_mul_lo_u32 v43, v11, s47
	s_delay_alu instid0(VALU_DEP_2) | instskip(NEXT) | instid1(VALU_DEP_2)
	v_add_nc_u32_e32 v12, v11, v12
	v_sub_nc_u32_e32 v10, v10, v43
	s_delay_alu instid0(VALU_DEP_2) | instskip(NEXT) | instid1(VALU_DEP_2)
	v_lshrrev_b32_e32 v12, s52, v12
	v_mul_lo_u32 v10, v10, s57
	s_delay_alu instid0(VALU_DEP_2) | instskip(NEXT) | instid1(VALU_DEP_2)
	v_mul_hi_u32 v18, s54, v12
	v_add3_u32 v2, v42, v2, v10
	s_delay_alu instid0(VALU_DEP_2) | instskip(NEXT) | instid1(VALU_DEP_1)
	v_add_nc_u32_e32 v18, v12, v18
	v_lshrrev_b32_e32 v0, s55, v18
	v_mul_lo_u32 v18, v12, s50
	s_delay_alu instid0(VALU_DEP_2) | instskip(NEXT) | instid1(VALU_DEP_2)
	v_mul_lo_u32 v44, v0, s53
	v_sub_nc_u32_e32 v11, v11, v18
	s_delay_alu instid0(VALU_DEP_2) | instskip(NEXT) | instid1(VALU_DEP_2)
	v_sub_nc_u32_e32 v12, v12, v44
	v_mul_lo_u32 v11, v11, s58
	s_delay_alu instid0(VALU_DEP_2) | instskip(NEXT) | instid1(VALU_DEP_1)
	v_mul_lo_u32 v12, v12, s59
	v_add3_u32 v2, v11, v2, v12
	s_cbranch_scc0 .LBB27_41
; %bb.42:                               ;   in Loop: Header=BB27_9 Depth=1
	s_mov_b32 s24, s36
	s_and_not1_b32 vcc_lo, exec_lo, s38
	s_cbranch_vccz .LBB27_45
	s_branch .LBB27_47
.LBB27_43:                              ;   in Loop: Header=BB27_9 Depth=1
                                        ; implicit-def: $vgpr2
	s_branch .LBB27_48
.LBB27_44:                              ;   in Loop: Header=BB27_9 Depth=1
	v_mov_b32_e32 v0, v9
	s_and_not1_b32 vcc_lo, exec_lo, s38
	s_cbranch_vccnz .LBB27_47
.LBB27_45:                              ;   in Loop: Header=BB27_9 Depth=1
	s_lshl_b32 s25, s24, 2
	s_mul_i32 s26, s24, 12
	s_add_u32 s24, s0, s25
	s_addc_u32 s25, s1, 0
	s_add_u32 s26, s18, s26
	s_addc_u32 s27, s19, 0
	s_mov_b32 s40, s34
	.p2align	6
.LBB27_46:                              ;   Parent Loop BB27_9 Depth=1
                                        ; =>  This Inner Loop Header: Depth=2
	s_clause 0x1
	s_load_b64 s[42:43], s[26:27], 0x4
	s_load_b32 s41, s[26:27], 0xc
	s_add_u32 s26, s26, 12
	s_addc_u32 s27, s27, 0
	s_waitcnt lgkmcnt(0)
	v_mul_hi_u32 v10, s43, v0
	s_load_b32 s43, s[24:25], 0x0
	s_add_u32 s24, s24, 4
	s_addc_u32 s25, s25, 0
	s_add_i32 s40, s40, -1
	s_delay_alu instid0(SALU_CYCLE_1) | instskip(NEXT) | instid1(VALU_DEP_1)
	s_cmp_lg_u32 s40, 0
	v_add_nc_u32_e32 v10, v0, v10
	s_delay_alu instid0(VALU_DEP_1) | instskip(NEXT) | instid1(VALU_DEP_1)
	v_lshrrev_b32_e32 v12, s41, v10
	v_mul_lo_u32 v10, v12, s42
	s_delay_alu instid0(VALU_DEP_1) | instskip(SKIP_1) | instid1(VALU_DEP_1)
	v_sub_nc_u32_e32 v0, v0, v10
	s_waitcnt lgkmcnt(0)
	v_mad_u64_u32 v[10:11], null, v0, s43, v[2:3]
	v_mov_b32_e32 v0, v12
	s_delay_alu instid0(VALU_DEP_2)
	v_mov_b32_e32 v2, v10
	s_cbranch_scc1 .LBB27_46
.LBB27_47:                              ;   in Loop: Header=BB27_9 Depth=1
	s_cbranch_execnz .LBB27_50
.LBB27_48:                              ;   in Loop: Header=BB27_9 Depth=1
	v_mul_hi_u32 v0, v9, s6
	s_and_not1_b32 vcc_lo, exec_lo, s4
	s_delay_alu instid0(VALU_DEP_1) | instskip(NEXT) | instid1(VALU_DEP_1)
	v_add_nc_u32_e32 v0, v0, v9
	v_lshrrev_b32_e32 v0, s7, v0
	s_delay_alu instid0(VALU_DEP_1) | instskip(NEXT) | instid1(VALU_DEP_1)
	v_mul_lo_u32 v2, v0, s5
	v_sub_nc_u32_e32 v2, v9, v2
	s_delay_alu instid0(VALU_DEP_1)
	v_mul_lo_u32 v2, v2, s22
	s_cbranch_vccnz .LBB27_50
; %bb.49:                               ;   in Loop: Header=BB27_9 Depth=1
	v_mul_hi_u32 v9, s9, v0
	s_delay_alu instid0(VALU_DEP_1) | instskip(NEXT) | instid1(VALU_DEP_1)
	v_add_nc_u32_e32 v9, v0, v9
	v_lshrrev_b32_e32 v9, s10, v9
	s_delay_alu instid0(VALU_DEP_1) | instskip(NEXT) | instid1(VALU_DEP_1)
	v_mul_lo_u32 v9, v9, s8
	v_sub_nc_u32_e32 v0, v0, v9
	s_delay_alu instid0(VALU_DEP_1) | instskip(NEXT) | instid1(VALU_DEP_1)
	v_mad_u64_u32 v[9:10], null, v0, s23, v[2:3]
	v_mov_b32_e32 v2, v9
.LBB27_50:                              ;   in Loop: Header=BB27_9 Depth=1
	v_mov_b32_e32 v0, v3
	s_mov_b32 s24, exec_lo
	s_delay_alu instid0(VALU_DEP_1)
	v_cmpx_le_u64_e64 s[14:15], v[0:1]
	s_cbranch_execz .LBB27_52
; %bb.51:                               ;   in Loop: Header=BB27_9 Depth=1
	v_cvt_f32_u32_e32 v3, s14
	s_sub_i32 s25, 0, s14
	s_delay_alu instid0(VALU_DEP_1) | instskip(SKIP_2) | instid1(VALU_DEP_1)
	v_rcp_iflag_f32_e32 v3, v3
	s_waitcnt_depctr 0xfff
	v_mul_f32_e32 v3, 0x4f7ffffe, v3
	v_cvt_u32_f32_e32 v3, v3
	s_delay_alu instid0(VALU_DEP_1) | instskip(NEXT) | instid1(VALU_DEP_1)
	v_mul_lo_u32 v9, s25, v3
	v_mul_hi_u32 v9, v3, v9
	s_delay_alu instid0(VALU_DEP_1) | instskip(NEXT) | instid1(VALU_DEP_1)
	v_add_nc_u32_e32 v3, v3, v9
	v_mul_hi_u32 v3, v0, v3
	s_delay_alu instid0(VALU_DEP_1) | instskip(NEXT) | instid1(VALU_DEP_1)
	v_mul_lo_u32 v3, v3, s14
	v_sub_nc_u32_e32 v0, v0, v3
	s_delay_alu instid0(VALU_DEP_1) | instskip(SKIP_1) | instid1(VALU_DEP_2)
	v_subrev_nc_u32_e32 v3, s14, v0
	v_cmp_le_u32_e32 vcc_lo, s14, v0
	v_cndmask_b32_e32 v0, v0, v3, vcc_lo
	s_delay_alu instid0(VALU_DEP_1) | instskip(SKIP_1) | instid1(VALU_DEP_2)
	v_subrev_nc_u32_e32 v3, s14, v0
	v_cmp_le_u32_e32 vcc_lo, s14, v0
	v_cndmask_b32_e32 v0, v0, v3, vcc_lo
.LBB27_52:                              ;   in Loop: Header=BB27_9 Depth=1
	s_or_b32 exec_lo, exec_lo, s24
	s_delay_alu instid0(VALU_DEP_1) | instskip(SKIP_1) | instid1(VALU_DEP_1)
	v_add_co_u32 v9, vcc_lo, v0, s20
	v_add_co_ci_u32_e32 v10, vcc_lo, s21, v1, vcc_lo
	v_xor_b32_e32 v0, v9, v10
	v_cls_i32_e32 v3, v10
	s_delay_alu instid0(VALU_DEP_2) | instskip(NEXT) | instid1(VALU_DEP_2)
	v_ashrrev_i32_e32 v0, 31, v0
	v_add_nc_u32_e32 v3, -1, v3
	s_delay_alu instid0(VALU_DEP_2) | instskip(NEXT) | instid1(VALU_DEP_1)
	v_add_nc_u32_e32 v0, 32, v0
	v_min_u32_e32 v0, v3, v0
	s_delay_alu instid0(VALU_DEP_1) | instskip(SKIP_1) | instid1(VALU_DEP_2)
	v_lshlrev_b64 v[9:10], v0, v[9:10]
	v_sub_nc_u32_e32 v0, 32, v0
	v_min_u32_e32 v3, 1, v9
	s_delay_alu instid0(VALU_DEP_1) | instskip(NEXT) | instid1(VALU_DEP_1)
	v_or_b32_e32 v3, v10, v3
	v_cvt_f32_i32_e32 v3, v3
	s_delay_alu instid0(VALU_DEP_1)
	v_ldexp_f32 v0, v3, v0
	global_store_b32 v2, v0, s[12:13]
.LBB27_53:                              ;   in Loop: Header=BB27_9 Depth=1
	s_or_b32 exec_lo, exec_lo, s39
	v_add_co_u32 v9, vcc_lo, v15, s33
	v_add_co_ci_u32_e32 v10, vcc_lo, 0, v16, vcc_lo
	s_mov_b32 s39, exec_lo
	s_delay_alu instid0(VALU_DEP_1)
	v_cmpx_gt_i64_e64 s[16:17], v[9:10]
	s_cbranch_execz .LBB27_70
; %bb.54:                               ;   in Loop: Header=BB27_9 Depth=1
	s_and_not1_b32 vcc_lo, exec_lo, s11
	s_cbranch_vccnz .LBB27_60
; %bb.55:                               ;   in Loop: Header=BB27_9 Depth=1
	v_mov_b32_e32 v2, 0
	s_and_not1_b32 vcc_lo, exec_lo, s31
	s_cbranch_vccnz .LBB27_64
; %bb.56:                               ;   in Loop: Header=BB27_9 Depth=1
	s_and_not1_b32 vcc_lo, exec_lo, s35
	s_mov_b32 s24, 0
	s_cbranch_vccnz .LBB27_61
; %bb.57:                               ;   in Loop: Header=BB27_9 Depth=1
	v_mov_b32_e32 v2, 0
	v_mov_b32_e32 v0, v9
	s_mov_b32 s40, 0
	s_mov_b64 s[24:25], s[18:19]
	s_mov_b64 s[26:27], s[0:1]
.LBB27_58:                              ;   Parent Loop BB27_9 Depth=1
                                        ; =>  This Inner Loop Header: Depth=2
	s_clause 0x1
	s_load_b256 s[44:51], s[24:25], 0x4
	s_load_b128 s[52:55], s[24:25], 0x24
	s_load_b128 s[56:59], s[26:27], 0x0
	s_add_u32 s24, s24, 48
	s_addc_u32 s25, s25, 0
	s_add_i32 s40, s40, 4
	s_add_u32 s26, s26, 16
	s_addc_u32 s27, s27, 0
	s_cmp_eq_u32 s36, s40
	s_waitcnt lgkmcnt(0)
	v_mul_hi_u32 v3, s45, v0
	s_delay_alu instid0(VALU_DEP_1) | instskip(NEXT) | instid1(VALU_DEP_1)
	v_add_nc_u32_e32 v3, v0, v3
	v_lshrrev_b32_e32 v3, s46, v3
	s_delay_alu instid0(VALU_DEP_1) | instskip(SKIP_1) | instid1(VALU_DEP_2)
	v_mul_hi_u32 v10, s48, v3
	v_mul_lo_u32 v18, v3, s44
	v_add_nc_u32_e32 v10, v3, v10
	s_delay_alu instid0(VALU_DEP_2) | instskip(NEXT) | instid1(VALU_DEP_2)
	v_sub_nc_u32_e32 v18, v0, v18
	v_lshrrev_b32_e32 v10, s49, v10
	s_delay_alu instid0(VALU_DEP_2) | instskip(NEXT) | instid1(VALU_DEP_2)
	v_mul_lo_u32 v18, v18, s56
	v_mul_hi_u32 v11, s51, v10
	v_mul_lo_u32 v42, v10, s47
	s_delay_alu instid0(VALU_DEP_2) | instskip(NEXT) | instid1(VALU_DEP_2)
	v_add_nc_u32_e32 v11, v10, v11
	v_sub_nc_u32_e32 v3, v3, v42
	s_delay_alu instid0(VALU_DEP_2) | instskip(NEXT) | instid1(VALU_DEP_2)
	v_lshrrev_b32_e32 v11, s52, v11
	v_mul_lo_u32 v3, v3, s57
	s_delay_alu instid0(VALU_DEP_2) | instskip(NEXT) | instid1(VALU_DEP_2)
	v_mul_hi_u32 v12, s54, v11
	v_add3_u32 v2, v18, v2, v3
	s_delay_alu instid0(VALU_DEP_2) | instskip(NEXT) | instid1(VALU_DEP_1)
	v_add_nc_u32_e32 v12, v11, v12
	v_lshrrev_b32_e32 v0, s55, v12
	v_mul_lo_u32 v12, v11, s50
	s_delay_alu instid0(VALU_DEP_2) | instskip(NEXT) | instid1(VALU_DEP_2)
	v_mul_lo_u32 v43, v0, s53
	v_sub_nc_u32_e32 v10, v10, v12
	s_delay_alu instid0(VALU_DEP_2) | instskip(NEXT) | instid1(VALU_DEP_2)
	v_sub_nc_u32_e32 v11, v11, v43
	v_mul_lo_u32 v10, v10, s58
	s_delay_alu instid0(VALU_DEP_2) | instskip(NEXT) | instid1(VALU_DEP_1)
	v_mul_lo_u32 v11, v11, s59
	v_add3_u32 v2, v10, v2, v11
	s_cbranch_scc0 .LBB27_58
; %bb.59:                               ;   in Loop: Header=BB27_9 Depth=1
	s_mov_b32 s24, s36
	s_and_not1_b32 vcc_lo, exec_lo, s38
	s_cbranch_vccz .LBB27_62
	s_branch .LBB27_64
.LBB27_60:                              ;   in Loop: Header=BB27_9 Depth=1
                                        ; implicit-def: $vgpr2
	s_branch .LBB27_65
.LBB27_61:                              ;   in Loop: Header=BB27_9 Depth=1
	v_mov_b32_e32 v0, v9
	s_and_not1_b32 vcc_lo, exec_lo, s38
	s_cbranch_vccnz .LBB27_64
.LBB27_62:                              ;   in Loop: Header=BB27_9 Depth=1
	s_lshl_b32 s25, s24, 2
	s_mul_i32 s26, s24, 12
	s_add_u32 s24, s0, s25
	s_addc_u32 s25, s1, 0
	s_add_u32 s26, s18, s26
	s_addc_u32 s27, s19, 0
	s_mov_b32 s40, s34
	.p2align	6
.LBB27_63:                              ;   Parent Loop BB27_9 Depth=1
                                        ; =>  This Inner Loop Header: Depth=2
	s_clause 0x1
	s_load_b64 s[42:43], s[26:27], 0x4
	s_load_b32 s41, s[26:27], 0xc
	s_add_u32 s26, s26, 12
	s_addc_u32 s27, s27, 0
	s_waitcnt lgkmcnt(0)
	v_mul_hi_u32 v3, s43, v0
	s_load_b32 s43, s[24:25], 0x0
	s_add_u32 s24, s24, 4
	s_addc_u32 s25, s25, 0
	s_add_i32 s40, s40, -1
	s_delay_alu instid0(SALU_CYCLE_1) | instskip(NEXT) | instid1(VALU_DEP_1)
	s_cmp_lg_u32 s40, 0
	v_add_nc_u32_e32 v3, v0, v3
	s_delay_alu instid0(VALU_DEP_1) | instskip(NEXT) | instid1(VALU_DEP_1)
	v_lshrrev_b32_e32 v3, s41, v3
	v_mul_lo_u32 v10, v3, s42
	s_delay_alu instid0(VALU_DEP_1) | instskip(SKIP_1) | instid1(VALU_DEP_1)
	v_sub_nc_u32_e32 v0, v0, v10
	s_waitcnt lgkmcnt(0)
	v_mad_u64_u32 v[10:11], null, v0, s43, v[2:3]
	v_mov_b32_e32 v0, v3
	s_delay_alu instid0(VALU_DEP_2)
	v_mov_b32_e32 v2, v10
	s_cbranch_scc1 .LBB27_63
.LBB27_64:                              ;   in Loop: Header=BB27_9 Depth=1
	s_cbranch_execnz .LBB27_67
.LBB27_65:                              ;   in Loop: Header=BB27_9 Depth=1
	v_mul_hi_u32 v0, v9, s6
	s_and_not1_b32 vcc_lo, exec_lo, s4
	s_delay_alu instid0(VALU_DEP_1) | instskip(NEXT) | instid1(VALU_DEP_1)
	v_add_nc_u32_e32 v0, v0, v9
	v_lshrrev_b32_e32 v0, s7, v0
	s_delay_alu instid0(VALU_DEP_1) | instskip(NEXT) | instid1(VALU_DEP_1)
	v_mul_lo_u32 v2, v0, s5
	v_sub_nc_u32_e32 v2, v9, v2
	s_delay_alu instid0(VALU_DEP_1)
	v_mul_lo_u32 v2, v2, s22
	s_cbranch_vccnz .LBB27_67
; %bb.66:                               ;   in Loop: Header=BB27_9 Depth=1
	v_mul_hi_u32 v3, s9, v0
	s_delay_alu instid0(VALU_DEP_1) | instskip(NEXT) | instid1(VALU_DEP_1)
	v_add_nc_u32_e32 v3, v0, v3
	v_lshrrev_b32_e32 v3, s10, v3
	s_delay_alu instid0(VALU_DEP_1) | instskip(NEXT) | instid1(VALU_DEP_1)
	v_mul_lo_u32 v3, v3, s8
	v_sub_nc_u32_e32 v0, v0, v3
	s_delay_alu instid0(VALU_DEP_1) | instskip(NEXT) | instid1(VALU_DEP_1)
	v_mad_u64_u32 v[9:10], null, v0, s23, v[2:3]
	v_mov_b32_e32 v2, v9
.LBB27_67:                              ;   in Loop: Header=BB27_9 Depth=1
	v_mov_b32_e32 v0, v4
	s_mov_b32 s24, exec_lo
	s_delay_alu instid0(VALU_DEP_1)
	v_cmpx_le_u64_e64 s[14:15], v[0:1]
	s_cbranch_execz .LBB27_69
; %bb.68:                               ;   in Loop: Header=BB27_9 Depth=1
	v_cvt_f32_u32_e32 v3, s14
	s_sub_i32 s25, 0, s14
	s_delay_alu instid0(VALU_DEP_1) | instskip(SKIP_2) | instid1(VALU_DEP_1)
	v_rcp_iflag_f32_e32 v3, v3
	s_waitcnt_depctr 0xfff
	v_mul_f32_e32 v3, 0x4f7ffffe, v3
	v_cvt_u32_f32_e32 v3, v3
	s_delay_alu instid0(VALU_DEP_1) | instskip(NEXT) | instid1(VALU_DEP_1)
	v_mul_lo_u32 v4, s25, v3
	v_mul_hi_u32 v4, v3, v4
	s_delay_alu instid0(VALU_DEP_1) | instskip(NEXT) | instid1(VALU_DEP_1)
	v_add_nc_u32_e32 v3, v3, v4
	v_mul_hi_u32 v3, v0, v3
	s_delay_alu instid0(VALU_DEP_1) | instskip(NEXT) | instid1(VALU_DEP_1)
	v_mul_lo_u32 v3, v3, s14
	v_sub_nc_u32_e32 v0, v0, v3
	s_delay_alu instid0(VALU_DEP_1) | instskip(SKIP_1) | instid1(VALU_DEP_2)
	v_subrev_nc_u32_e32 v3, s14, v0
	v_cmp_le_u32_e32 vcc_lo, s14, v0
	v_cndmask_b32_e32 v0, v0, v3, vcc_lo
	s_delay_alu instid0(VALU_DEP_1) | instskip(SKIP_1) | instid1(VALU_DEP_2)
	v_subrev_nc_u32_e32 v3, s14, v0
	v_cmp_le_u32_e32 vcc_lo, s14, v0
	v_cndmask_b32_e32 v0, v0, v3, vcc_lo
.LBB27_69:                              ;   in Loop: Header=BB27_9 Depth=1
	s_or_b32 exec_lo, exec_lo, s24
	s_delay_alu instid0(VALU_DEP_1) | instskip(SKIP_1) | instid1(VALU_DEP_1)
	v_add_co_u32 v3, vcc_lo, v0, s20
	v_add_co_ci_u32_e32 v4, vcc_lo, s21, v1, vcc_lo
	v_xor_b32_e32 v0, v3, v4
	v_cls_i32_e32 v9, v4
	s_delay_alu instid0(VALU_DEP_2) | instskip(NEXT) | instid1(VALU_DEP_2)
	v_ashrrev_i32_e32 v0, 31, v0
	v_add_nc_u32_e32 v9, -1, v9
	s_delay_alu instid0(VALU_DEP_2) | instskip(NEXT) | instid1(VALU_DEP_1)
	v_add_nc_u32_e32 v0, 32, v0
	v_min_u32_e32 v0, v9, v0
	s_delay_alu instid0(VALU_DEP_1) | instskip(SKIP_1) | instid1(VALU_DEP_2)
	v_lshlrev_b64 v[3:4], v0, v[3:4]
	v_sub_nc_u32_e32 v0, 32, v0
	v_min_u32_e32 v3, 1, v3
	s_delay_alu instid0(VALU_DEP_1) | instskip(NEXT) | instid1(VALU_DEP_1)
	v_or_b32_e32 v3, v4, v3
	v_cvt_f32_i32_e32 v3, v3
	s_delay_alu instid0(VALU_DEP_1)
	v_ldexp_f32 v0, v3, v0
	global_store_b32 v2, v0, s[12:13]
.LBB27_70:                              ;   in Loop: Header=BB27_9 Depth=1
	s_or_b32 exec_lo, exec_lo, s39
	v_add_co_u32 v3, vcc_lo, v15, s37
	v_add_co_ci_u32_e32 v4, vcc_lo, 0, v16, vcc_lo
	s_mov_b32 s39, exec_lo
	s_delay_alu instid0(VALU_DEP_1)
	v_cmpx_gt_i64_e64 s[16:17], v[3:4]
	s_cbranch_execz .LBB27_8
; %bb.71:                               ;   in Loop: Header=BB27_9 Depth=1
	s_and_not1_b32 vcc_lo, exec_lo, s11
	s_cbranch_vccnz .LBB27_77
; %bb.72:                               ;   in Loop: Header=BB27_9 Depth=1
	v_mov_b32_e32 v2, 0
	s_and_not1_b32 vcc_lo, exec_lo, s31
	s_cbranch_vccnz .LBB27_81
; %bb.73:                               ;   in Loop: Header=BB27_9 Depth=1
	s_and_not1_b32 vcc_lo, exec_lo, s35
	s_mov_b32 s24, 0
	s_cbranch_vccnz .LBB27_78
; %bb.74:                               ;   in Loop: Header=BB27_9 Depth=1
	v_mov_b32_e32 v2, 0
	v_mov_b32_e32 v0, v3
	s_mov_b32 s40, 0
	s_mov_b64 s[24:25], s[18:19]
	s_mov_b64 s[26:27], s[0:1]
.LBB27_75:                              ;   Parent Loop BB27_9 Depth=1
                                        ; =>  This Inner Loop Header: Depth=2
	s_clause 0x1
	s_load_b256 s[44:51], s[24:25], 0x4
	s_load_b128 s[52:55], s[24:25], 0x24
	s_load_b128 s[56:59], s[26:27], 0x0
	s_add_u32 s24, s24, 48
	s_addc_u32 s25, s25, 0
	s_add_i32 s40, s40, 4
	s_add_u32 s26, s26, 16
	s_addc_u32 s27, s27, 0
	s_cmp_eq_u32 s36, s40
	s_waitcnt lgkmcnt(0)
	v_mul_hi_u32 v4, s45, v0
	s_delay_alu instid0(VALU_DEP_1) | instskip(NEXT) | instid1(VALU_DEP_1)
	v_add_nc_u32_e32 v4, v0, v4
	v_lshrrev_b32_e32 v4, s46, v4
	s_delay_alu instid0(VALU_DEP_1) | instskip(SKIP_1) | instid1(VALU_DEP_2)
	v_mul_hi_u32 v9, s48, v4
	v_mul_lo_u32 v12, v4, s44
	v_add_nc_u32_e32 v9, v4, v9
	s_delay_alu instid0(VALU_DEP_2) | instskip(NEXT) | instid1(VALU_DEP_2)
	v_sub_nc_u32_e32 v12, v0, v12
	v_lshrrev_b32_e32 v9, s49, v9
	s_delay_alu instid0(VALU_DEP_2) | instskip(NEXT) | instid1(VALU_DEP_2)
	v_mul_lo_u32 v12, v12, s56
	v_mul_hi_u32 v10, s51, v9
	v_mul_lo_u32 v18, v9, s47
	s_delay_alu instid0(VALU_DEP_2) | instskip(NEXT) | instid1(VALU_DEP_2)
	v_add_nc_u32_e32 v10, v9, v10
	v_sub_nc_u32_e32 v4, v4, v18
	s_delay_alu instid0(VALU_DEP_2) | instskip(NEXT) | instid1(VALU_DEP_2)
	v_lshrrev_b32_e32 v10, s52, v10
	v_mul_lo_u32 v4, v4, s57
	s_delay_alu instid0(VALU_DEP_2) | instskip(NEXT) | instid1(VALU_DEP_2)
	v_mul_hi_u32 v11, s54, v10
	v_add3_u32 v2, v12, v2, v4
	s_delay_alu instid0(VALU_DEP_2) | instskip(NEXT) | instid1(VALU_DEP_1)
	v_add_nc_u32_e32 v11, v10, v11
	v_lshrrev_b32_e32 v0, s55, v11
	v_mul_lo_u32 v11, v10, s50
	s_delay_alu instid0(VALU_DEP_2) | instskip(NEXT) | instid1(VALU_DEP_2)
	v_mul_lo_u32 v42, v0, s53
	v_sub_nc_u32_e32 v9, v9, v11
	s_delay_alu instid0(VALU_DEP_2) | instskip(NEXT) | instid1(VALU_DEP_2)
	v_sub_nc_u32_e32 v10, v10, v42
	v_mul_lo_u32 v9, v9, s58
	s_delay_alu instid0(VALU_DEP_2) | instskip(NEXT) | instid1(VALU_DEP_1)
	v_mul_lo_u32 v10, v10, s59
	v_add3_u32 v2, v9, v2, v10
	s_cbranch_scc0 .LBB27_75
; %bb.76:                               ;   in Loop: Header=BB27_9 Depth=1
	s_mov_b32 s24, s36
	s_and_not1_b32 vcc_lo, exec_lo, s38
	s_cbranch_vccz .LBB27_79
	s_branch .LBB27_81
.LBB27_77:                              ;   in Loop: Header=BB27_9 Depth=1
                                        ; implicit-def: $vgpr2
	s_branch .LBB27_82
.LBB27_78:                              ;   in Loop: Header=BB27_9 Depth=1
	v_mov_b32_e32 v0, v3
	s_and_not1_b32 vcc_lo, exec_lo, s38
	s_cbranch_vccnz .LBB27_81
.LBB27_79:                              ;   in Loop: Header=BB27_9 Depth=1
	s_lshl_b32 s25, s24, 2
	s_mul_i32 s26, s24, 12
	s_add_u32 s24, s0, s25
	s_addc_u32 s25, s1, 0
	s_add_u32 s26, s18, s26
	s_addc_u32 s27, s19, 0
	s_mov_b32 s40, s34
	.p2align	6
.LBB27_80:                              ;   Parent Loop BB27_9 Depth=1
                                        ; =>  This Inner Loop Header: Depth=2
	s_clause 0x1
	s_load_b64 s[42:43], s[26:27], 0x4
	s_load_b32 s41, s[26:27], 0xc
	s_add_u32 s26, s26, 12
	s_addc_u32 s27, s27, 0
	s_waitcnt lgkmcnt(0)
	v_mul_hi_u32 v4, s43, v0
	s_load_b32 s43, s[24:25], 0x0
	s_add_u32 s24, s24, 4
	s_addc_u32 s25, s25, 0
	s_add_i32 s40, s40, -1
	s_delay_alu instid0(SALU_CYCLE_1) | instskip(NEXT) | instid1(VALU_DEP_1)
	s_cmp_lg_u32 s40, 0
	v_add_nc_u32_e32 v4, v0, v4
	s_delay_alu instid0(VALU_DEP_1) | instskip(NEXT) | instid1(VALU_DEP_1)
	v_lshrrev_b32_e32 v4, s41, v4
	v_mul_lo_u32 v9, v4, s42
	s_delay_alu instid0(VALU_DEP_1) | instskip(SKIP_1) | instid1(VALU_DEP_1)
	v_sub_nc_u32_e32 v0, v0, v9
	s_waitcnt lgkmcnt(0)
	v_mad_u64_u32 v[9:10], null, v0, s43, v[2:3]
	v_mov_b32_e32 v0, v4
	s_delay_alu instid0(VALU_DEP_2)
	v_mov_b32_e32 v2, v9
	s_cbranch_scc1 .LBB27_80
.LBB27_81:                              ;   in Loop: Header=BB27_9 Depth=1
	s_cbranch_execnz .LBB27_84
.LBB27_82:                              ;   in Loop: Header=BB27_9 Depth=1
	v_mul_hi_u32 v0, v3, s6
	s_and_not1_b32 vcc_lo, exec_lo, s4
	s_delay_alu instid0(VALU_DEP_1) | instskip(NEXT) | instid1(VALU_DEP_1)
	v_add_nc_u32_e32 v0, v0, v3
	v_lshrrev_b32_e32 v0, s7, v0
	s_delay_alu instid0(VALU_DEP_1) | instskip(NEXT) | instid1(VALU_DEP_1)
	v_mul_lo_u32 v2, v0, s5
	v_sub_nc_u32_e32 v2, v3, v2
	s_delay_alu instid0(VALU_DEP_1)
	v_mul_lo_u32 v2, v2, s22
	s_cbranch_vccnz .LBB27_84
; %bb.83:                               ;   in Loop: Header=BB27_9 Depth=1
	v_mul_hi_u32 v3, s9, v0
	s_delay_alu instid0(VALU_DEP_1) | instskip(NEXT) | instid1(VALU_DEP_1)
	v_add_nc_u32_e32 v3, v0, v3
	v_lshrrev_b32_e32 v3, s10, v3
	s_delay_alu instid0(VALU_DEP_1) | instskip(NEXT) | instid1(VALU_DEP_1)
	v_mul_lo_u32 v3, v3, s8
	v_sub_nc_u32_e32 v0, v0, v3
	s_delay_alu instid0(VALU_DEP_1) | instskip(NEXT) | instid1(VALU_DEP_1)
	v_mad_u64_u32 v[3:4], null, v0, s23, v[2:3]
	v_mov_b32_e32 v2, v3
.LBB27_84:                              ;   in Loop: Header=BB27_9 Depth=1
	v_mov_b32_e32 v0, v5
	s_mov_b32 s24, exec_lo
	s_delay_alu instid0(VALU_DEP_1)
	v_cmpx_le_u64_e64 s[14:15], v[0:1]
	s_cbranch_execz .LBB27_7
; %bb.85:                               ;   in Loop: Header=BB27_9 Depth=1
	v_cvt_f32_u32_e32 v3, s14
	s_sub_i32 s25, 0, s14
	s_delay_alu instid0(VALU_DEP_1) | instskip(SKIP_2) | instid1(VALU_DEP_1)
	v_rcp_iflag_f32_e32 v3, v3
	s_waitcnt_depctr 0xfff
	v_mul_f32_e32 v3, 0x4f7ffffe, v3
	v_cvt_u32_f32_e32 v3, v3
	s_delay_alu instid0(VALU_DEP_1) | instskip(NEXT) | instid1(VALU_DEP_1)
	v_mul_lo_u32 v4, s25, v3
	v_mul_hi_u32 v4, v3, v4
	s_delay_alu instid0(VALU_DEP_1) | instskip(NEXT) | instid1(VALU_DEP_1)
	v_add_nc_u32_e32 v3, v3, v4
	v_mul_hi_u32 v3, v0, v3
	s_delay_alu instid0(VALU_DEP_1) | instskip(NEXT) | instid1(VALU_DEP_1)
	v_mul_lo_u32 v3, v3, s14
	v_sub_nc_u32_e32 v0, v0, v3
	s_delay_alu instid0(VALU_DEP_1) | instskip(SKIP_1) | instid1(VALU_DEP_2)
	v_subrev_nc_u32_e32 v3, s14, v0
	v_cmp_le_u32_e32 vcc_lo, s14, v0
	v_cndmask_b32_e32 v0, v0, v3, vcc_lo
	s_delay_alu instid0(VALU_DEP_1) | instskip(SKIP_1) | instid1(VALU_DEP_2)
	v_subrev_nc_u32_e32 v3, s14, v0
	v_cmp_le_u32_e32 vcc_lo, s14, v0
	v_cndmask_b32_e32 v0, v0, v3, vcc_lo
	s_branch .LBB27_7
.LBB27_86:
	s_endpgm
.LBB27_87:
                                        ; implicit-def: $sgpr2_sgpr3
	s_branch .LBB27_4
	.section	.rodata,"a",@progbits
	.p2align	6, 0x0
	.amdhsa_kernel _ZN2at6native12_GLOBAL__N_143distribution_elementwise_grid_stride_kernelIjLi4EZZZNS0_9templates4cuda21random_from_to_kernelIPNS_17CUDAGeneratorImplEEEvRNS_18TensorIteratorBaseEmlT_ENKUlvE_clEvENKUlvE5_clEvEUlP25hiprandStatePhilox4_32_10E0_ZNS1_27distribution_nullary_kernelIfj15HIP_vector_typeIjLj4EES7_SF_ZZZNS5_IS7_EEvS9_mlSA_ENKSB_clEvENKSC_clEvEUljE_EEvS9_T2_RKT3_T4_EUlijE0_EEvlNS_15PhiloxCudaStateET1_SK_
		.amdhsa_group_segment_fixed_size 0
		.amdhsa_private_segment_fixed_size 0
		.amdhsa_kernarg_size 592
		.amdhsa_user_sgpr_count 15
		.amdhsa_user_sgpr_dispatch_ptr 0
		.amdhsa_user_sgpr_queue_ptr 0
		.amdhsa_user_sgpr_kernarg_segment_ptr 1
		.amdhsa_user_sgpr_dispatch_id 0
		.amdhsa_user_sgpr_private_segment_size 0
		.amdhsa_wavefront_size32 1
		.amdhsa_uses_dynamic_stack 0
		.amdhsa_enable_private_segment 0
		.amdhsa_system_sgpr_workgroup_id_x 1
		.amdhsa_system_sgpr_workgroup_id_y 0
		.amdhsa_system_sgpr_workgroup_id_z 0
		.amdhsa_system_sgpr_workgroup_info 0
		.amdhsa_system_vgpr_workitem_id 0
		.amdhsa_next_free_vgpr 45
		.amdhsa_next_free_sgpr 60
		.amdhsa_reserve_vcc 1
		.amdhsa_float_round_mode_32 0
		.amdhsa_float_round_mode_16_64 0
		.amdhsa_float_denorm_mode_32 3
		.amdhsa_float_denorm_mode_16_64 3
		.amdhsa_dx10_clamp 1
		.amdhsa_ieee_mode 1
		.amdhsa_fp16_overflow 0
		.amdhsa_workgroup_processor_mode 1
		.amdhsa_memory_ordered 1
		.amdhsa_forward_progress 0
		.amdhsa_shared_vgpr_count 0
		.amdhsa_exception_fp_ieee_invalid_op 0
		.amdhsa_exception_fp_denorm_src 0
		.amdhsa_exception_fp_ieee_div_zero 0
		.amdhsa_exception_fp_ieee_overflow 0
		.amdhsa_exception_fp_ieee_underflow 0
		.amdhsa_exception_fp_ieee_inexact 0
		.amdhsa_exception_int_div_zero 0
	.end_amdhsa_kernel
	.section	.text._ZN2at6native12_GLOBAL__N_143distribution_elementwise_grid_stride_kernelIjLi4EZZZNS0_9templates4cuda21random_from_to_kernelIPNS_17CUDAGeneratorImplEEEvRNS_18TensorIteratorBaseEmlT_ENKUlvE_clEvENKUlvE5_clEvEUlP25hiprandStatePhilox4_32_10E0_ZNS1_27distribution_nullary_kernelIfj15HIP_vector_typeIjLj4EES7_SF_ZZZNS5_IS7_EEvS9_mlSA_ENKSB_clEvENKSC_clEvEUljE_EEvS9_T2_RKT3_T4_EUlijE0_EEvlNS_15PhiloxCudaStateET1_SK_,"axG",@progbits,_ZN2at6native12_GLOBAL__N_143distribution_elementwise_grid_stride_kernelIjLi4EZZZNS0_9templates4cuda21random_from_to_kernelIPNS_17CUDAGeneratorImplEEEvRNS_18TensorIteratorBaseEmlT_ENKUlvE_clEvENKUlvE5_clEvEUlP25hiprandStatePhilox4_32_10E0_ZNS1_27distribution_nullary_kernelIfj15HIP_vector_typeIjLj4EES7_SF_ZZZNS5_IS7_EEvS9_mlSA_ENKSB_clEvENKSC_clEvEUljE_EEvS9_T2_RKT3_T4_EUlijE0_EEvlNS_15PhiloxCudaStateET1_SK_,comdat
.Lfunc_end27:
	.size	_ZN2at6native12_GLOBAL__N_143distribution_elementwise_grid_stride_kernelIjLi4EZZZNS0_9templates4cuda21random_from_to_kernelIPNS_17CUDAGeneratorImplEEEvRNS_18TensorIteratorBaseEmlT_ENKUlvE_clEvENKUlvE5_clEvEUlP25hiprandStatePhilox4_32_10E0_ZNS1_27distribution_nullary_kernelIfj15HIP_vector_typeIjLj4EES7_SF_ZZZNS5_IS7_EEvS9_mlSA_ENKSB_clEvENKSC_clEvEUljE_EEvS9_T2_RKT3_T4_EUlijE0_EEvlNS_15PhiloxCudaStateET1_SK_, .Lfunc_end27-_ZN2at6native12_GLOBAL__N_143distribution_elementwise_grid_stride_kernelIjLi4EZZZNS0_9templates4cuda21random_from_to_kernelIPNS_17CUDAGeneratorImplEEEvRNS_18TensorIteratorBaseEmlT_ENKUlvE_clEvENKUlvE5_clEvEUlP25hiprandStatePhilox4_32_10E0_ZNS1_27distribution_nullary_kernelIfj15HIP_vector_typeIjLj4EES7_SF_ZZZNS5_IS7_EEvS9_mlSA_ENKSB_clEvENKSC_clEvEUljE_EEvS9_T2_RKT3_T4_EUlijE0_EEvlNS_15PhiloxCudaStateET1_SK_
                                        ; -- End function
	.section	.AMDGPU.csdata,"",@progbits
; Kernel info:
; codeLenInByte = 6084
; NumSgprs: 62
; NumVgprs: 45
; ScratchSize: 0
; MemoryBound: 0
; FloatMode: 240
; IeeeMode: 1
; LDSByteSize: 0 bytes/workgroup (compile time only)
; SGPRBlocks: 7
; VGPRBlocks: 5
; NumSGPRsForWavesPerEU: 62
; NumVGPRsForWavesPerEU: 45
; Occupancy: 16
; WaveLimiterHint : 1
; COMPUTE_PGM_RSRC2:SCRATCH_EN: 0
; COMPUTE_PGM_RSRC2:USER_SGPR: 15
; COMPUTE_PGM_RSRC2:TRAP_HANDLER: 0
; COMPUTE_PGM_RSRC2:TGID_X_EN: 1
; COMPUTE_PGM_RSRC2:TGID_Y_EN: 0
; COMPUTE_PGM_RSRC2:TGID_Z_EN: 0
; COMPUTE_PGM_RSRC2:TIDIG_COMP_CNT: 0
	.section	.text._ZN2at6native12_GLOBAL__N_143distribution_elementwise_grid_stride_kernelImLi2EZZZNS0_9templates4cuda21random_from_to_kernelIPNS_17CUDAGeneratorImplEEEvRNS_18TensorIteratorBaseEmlT_ENKUlvE_clEvENKUlvE6_clEvEUlP25hiprandStatePhilox4_32_10E_ZNS1_27distribution_nullary_kernelIbm15HIP_vector_typeIyLj2EES7_SF_ZZZNS5_IS7_EEvS9_mlSA_ENKSB_clEvENKSC_clEvEUlmE_EEvS9_T2_RKT3_T4_EUlimE_EEvlNS_15PhiloxCudaStateET1_SK_,"axG",@progbits,_ZN2at6native12_GLOBAL__N_143distribution_elementwise_grid_stride_kernelImLi2EZZZNS0_9templates4cuda21random_from_to_kernelIPNS_17CUDAGeneratorImplEEEvRNS_18TensorIteratorBaseEmlT_ENKUlvE_clEvENKUlvE6_clEvEUlP25hiprandStatePhilox4_32_10E_ZNS1_27distribution_nullary_kernelIbm15HIP_vector_typeIyLj2EES7_SF_ZZZNS5_IS7_EEvS9_mlSA_ENKSB_clEvENKSC_clEvEUlmE_EEvS9_T2_RKT3_T4_EUlimE_EEvlNS_15PhiloxCudaStateET1_SK_,comdat
	.globl	_ZN2at6native12_GLOBAL__N_143distribution_elementwise_grid_stride_kernelImLi2EZZZNS0_9templates4cuda21random_from_to_kernelIPNS_17CUDAGeneratorImplEEEvRNS_18TensorIteratorBaseEmlT_ENKUlvE_clEvENKUlvE6_clEvEUlP25hiprandStatePhilox4_32_10E_ZNS1_27distribution_nullary_kernelIbm15HIP_vector_typeIyLj2EES7_SF_ZZZNS5_IS7_EEvS9_mlSA_ENKSB_clEvENKSC_clEvEUlmE_EEvS9_T2_RKT3_T4_EUlimE_EEvlNS_15PhiloxCudaStateET1_SK_ ; -- Begin function _ZN2at6native12_GLOBAL__N_143distribution_elementwise_grid_stride_kernelImLi2EZZZNS0_9templates4cuda21random_from_to_kernelIPNS_17CUDAGeneratorImplEEEvRNS_18TensorIteratorBaseEmlT_ENKUlvE_clEvENKUlvE6_clEvEUlP25hiprandStatePhilox4_32_10E_ZNS1_27distribution_nullary_kernelIbm15HIP_vector_typeIyLj2EES7_SF_ZZZNS5_IS7_EEvS9_mlSA_ENKSB_clEvENKSC_clEvEUlmE_EEvS9_T2_RKT3_T4_EUlimE_EEvlNS_15PhiloxCudaStateET1_SK_
	.p2align	8
	.type	_ZN2at6native12_GLOBAL__N_143distribution_elementwise_grid_stride_kernelImLi2EZZZNS0_9templates4cuda21random_from_to_kernelIPNS_17CUDAGeneratorImplEEEvRNS_18TensorIteratorBaseEmlT_ENKUlvE_clEvENKUlvE6_clEvEUlP25hiprandStatePhilox4_32_10E_ZNS1_27distribution_nullary_kernelIbm15HIP_vector_typeIyLj2EES7_SF_ZZZNS5_IS7_EEvS9_mlSA_ENKSB_clEvENKSC_clEvEUlmE_EEvS9_T2_RKT3_T4_EUlimE_EEvlNS_15PhiloxCudaStateET1_SK_,@function
_ZN2at6native12_GLOBAL__N_143distribution_elementwise_grid_stride_kernelImLi2EZZZNS0_9templates4cuda21random_from_to_kernelIPNS_17CUDAGeneratorImplEEEvRNS_18TensorIteratorBaseEmlT_ENKUlvE_clEvENKUlvE6_clEvEUlP25hiprandStatePhilox4_32_10E_ZNS1_27distribution_nullary_kernelIbm15HIP_vector_typeIyLj2EES7_SF_ZZZNS5_IS7_EEvS9_mlSA_ENKSB_clEvENKSC_clEvEUlmE_EEvS9_T2_RKT3_T4_EUlimE_EEvlNS_15PhiloxCudaStateET1_SK_: ; @_ZN2at6native12_GLOBAL__N_143distribution_elementwise_grid_stride_kernelImLi2EZZZNS0_9templates4cuda21random_from_to_kernelIPNS_17CUDAGeneratorImplEEEvRNS_18TensorIteratorBaseEmlT_ENKUlvE_clEvENKUlvE6_clEvEUlP25hiprandStatePhilox4_32_10E_ZNS1_27distribution_nullary_kernelIbm15HIP_vector_typeIyLj2EES7_SF_ZZZNS5_IS7_EEvS9_mlSA_ENKSB_clEvENKSC_clEvEUlmE_EEvS9_T2_RKT3_T4_EUlimE_EEvlNS_15PhiloxCudaStateET1_SK_
; %bb.0:
	s_clause 0x2
	s_load_b64 s[8:9], s[0:1], 0x10
	s_load_b128 s[4:7], s[0:1], 0x0
	s_load_b32 s2, s[0:1], 0x20
	s_waitcnt lgkmcnt(0)
	v_dual_mov_b32 v2, s8 :: v_dual_mov_b32 v3, s9
	v_dual_mov_b32 v12, s7 :: v_dual_mov_b32 v11, s6
	s_bitcmp0_b32 s2, 0
	s_mov_b32 s2, 0
	s_cbranch_scc1 .LBB28_2
; %bb.1:
	v_dual_mov_b32 v1, s8 :: v_dual_mov_b32 v2, s9
	v_dual_mov_b32 v4, s6 :: v_dual_mov_b32 v5, s7
	s_load_b64 s[6:7], s[0:1], 0x18
	flat_load_b64 v[2:3], v[1:2]
	flat_load_b64 v[11:12], v[4:5]
	s_waitcnt vmcnt(1) lgkmcnt(0)
	v_add_co_u32 v2, vcc_lo, v2, s6
	v_add_co_ci_u32_e32 v3, vcc_lo, s7, v3, vcc_lo
.LBB28_2:
	s_clause 0x1
	s_load_b32 s3, s[0:1], 0x5c
	s_load_b32 s16, s[0:1], 0x50
	s_waitcnt lgkmcnt(0)
	s_and_b32 s14, s3, 0xffff
	s_add_u32 s6, s4, -1
	s_mul_i32 s12, s16, s14
	s_addc_u32 s3, s5, -1
	s_lshl_b32 s13, s12, 1
	s_cmp_lg_u64 s[2:3], 0
	s_cbranch_scc0 .LBB28_31
; %bb.3:
	v_cvt_f32_ubyte0_e32 v1, 0
	v_cvt_f32_u32_e32 v4, s13
	s_sub_u32 s8, 0, s13
	s_subb_u32 s9, 0, 0
	s_delay_alu instid0(VALU_DEP_1) | instskip(NEXT) | instid1(VALU_DEP_1)
	v_fmamk_f32 v1, v1, 0x4f800000, v4
	v_rcp_f32_e32 v1, v1
	s_waitcnt_depctr 0xfff
	v_mul_f32_e32 v1, 0x5f7ffffc, v1
	s_delay_alu instid0(VALU_DEP_1) | instskip(NEXT) | instid1(VALU_DEP_1)
	v_mul_f32_e32 v4, 0x2f800000, v1
	v_trunc_f32_e32 v4, v4
	s_delay_alu instid0(VALU_DEP_1) | instskip(SKIP_1) | instid1(VALU_DEP_2)
	v_fmamk_f32 v1, v4, 0xcf800000, v1
	v_cvt_u32_f32_e32 v4, v4
	v_cvt_u32_f32_e32 v1, v1
	s_delay_alu instid0(VALU_DEP_2) | instskip(NEXT) | instid1(VALU_DEP_2)
	v_readfirstlane_b32 s2, v4
	v_readfirstlane_b32 s7, v1
	s_delay_alu instid0(VALU_DEP_2) | instskip(NEXT) | instid1(VALU_DEP_1)
	s_mul_i32 s10, s8, s2
	s_mul_hi_u32 s17, s8, s7
	s_mul_i32 s11, s9, s7
	s_add_i32 s10, s17, s10
	s_mul_i32 s18, s8, s7
	s_add_i32 s10, s10, s11
	s_mul_hi_u32 s17, s7, s18
	s_mul_hi_u32 s19, s2, s18
	s_mul_i32 s11, s2, s18
	s_mul_hi_u32 s18, s7, s10
	s_mul_i32 s7, s7, s10
	s_mul_hi_u32 s20, s2, s10
	s_add_u32 s7, s17, s7
	s_addc_u32 s17, 0, s18
	s_add_u32 s7, s7, s11
	s_mul_i32 s10, s2, s10
	s_addc_u32 s7, s17, s19
	s_addc_u32 s11, s20, 0
	s_add_u32 s7, s7, s10
	s_addc_u32 s10, 0, s11
	v_add_co_u32 v1, s7, v1, s7
	s_delay_alu instid0(VALU_DEP_1) | instskip(SKIP_1) | instid1(VALU_DEP_1)
	s_cmp_lg_u32 s7, 0
	s_addc_u32 s2, s2, s10
	v_readfirstlane_b32 s7, v1
	s_mul_i32 s10, s8, s2
	s_delay_alu instid0(VALU_DEP_1)
	s_mul_hi_u32 s11, s8, s7
	s_mul_i32 s9, s9, s7
	s_add_i32 s10, s11, s10
	s_mul_i32 s8, s8, s7
	s_add_i32 s10, s10, s9
	s_mul_hi_u32 s11, s2, s8
	s_mul_i32 s17, s2, s8
	s_mul_hi_u32 s8, s7, s8
	s_mul_hi_u32 s18, s7, s10
	s_mul_i32 s7, s7, s10
	s_mul_hi_u32 s9, s2, s10
	s_add_u32 s7, s8, s7
	s_addc_u32 s8, 0, s18
	s_add_u32 s7, s7, s17
	s_mul_i32 s10, s2, s10
	s_addc_u32 s7, s8, s11
	s_addc_u32 s8, s9, 0
	s_add_u32 s7, s7, s10
	s_addc_u32 s8, 0, s8
	v_add_co_u32 v1, s7, v1, s7
	s_delay_alu instid0(VALU_DEP_1) | instskip(SKIP_2) | instid1(VALU_DEP_1)
	s_cmp_lg_u32 s7, 0
	s_addc_u32 s7, s2, s8
	s_ashr_i32 s8, s3, 31
	v_readfirstlane_b32 s10, v1
	s_add_u32 s2, s6, s8
	s_mov_b32 s9, s8
	s_addc_u32 s3, s3, s8
	s_delay_alu instid0(SALU_CYCLE_1) | instskip(NEXT) | instid1(SALU_CYCLE_1)
	s_xor_b64 s[2:3], s[2:3], s[8:9]
	s_mul_i32 s17, s2, s7
	s_mul_hi_u32 s18, s2, s10
	s_mul_hi_u32 s11, s2, s7
	;; [unrolled: 1-line block ×3, first 2 shown]
	s_mul_i32 s10, s3, s10
	s_add_u32 s17, s18, s17
	s_addc_u32 s11, 0, s11
	s_mul_hi_u32 s19, s3, s7
	s_add_u32 s10, s17, s10
	s_mul_i32 s7, s3, s7
	s_addc_u32 s10, s11, s20
	s_addc_u32 s11, s19, 0
	s_add_u32 s7, s10, s7
	s_addc_u32 s10, 0, s11
	s_mul_i32 s17, s13, s7
	s_add_u32 s11, s7, 1
	v_sub_co_u32 v1, s2, s2, s17
	s_mul_hi_u32 s17, s13, s7
	s_addc_u32 s18, s10, 0
	s_mul_i32 s19, s13, s10
	s_delay_alu instid0(VALU_DEP_1)
	v_sub_co_u32 v4, s20, v1, s13
	s_add_u32 s21, s7, 2
	s_addc_u32 s22, s10, 0
	s_add_i32 s17, s17, s19
	s_cmp_lg_u32 s2, 0
	v_readfirstlane_b32 s2, v4
	s_subb_u32 s3, s3, s17
	s_cmp_lg_u32 s20, 0
	s_subb_u32 s17, s3, 0
	s_delay_alu instid0(VALU_DEP_1) | instskip(SKIP_4) | instid1(SALU_CYCLE_1)
	s_cmp_ge_u32 s2, s13
	s_cselect_b32 s2, -1, 0
	s_cmp_eq_u32 s17, 0
	v_readfirstlane_b32 s17, v1
	s_cselect_b32 s2, s2, -1
	s_cmp_lg_u32 s2, 0
	s_cselect_b32 s2, s21, s11
	s_cselect_b32 s11, s22, s18
	s_cmp_ge_u32 s17, s13
	s_cselect_b32 s17, -1, 0
	s_cmp_eq_u32 s3, 0
	s_cselect_b32 s3, s17, -1
	s_delay_alu instid0(SALU_CYCLE_1) | instskip(SKIP_2) | instid1(SALU_CYCLE_1)
	s_cmp_lg_u32 s3, 0
	s_cselect_b32 s3, s11, s10
	s_cselect_b32 s2, s2, s7
	s_xor_b64 s[2:3], s[2:3], s[8:9]
	s_delay_alu instid0(SALU_CYCLE_1)
	s_sub_u32 s2, s2, s8
	s_subb_u32 s3, s3, s8
	s_cbranch_execnz .LBB28_5
.LBB28_4:
	v_cvt_f32_u32_e32 v1, s13
	s_sub_i32 s3, 0, s13
	s_delay_alu instid0(VALU_DEP_1) | instskip(SKIP_2) | instid1(VALU_DEP_1)
	v_rcp_iflag_f32_e32 v1, v1
	s_waitcnt_depctr 0xfff
	v_mul_f32_e32 v1, 0x4f7ffffe, v1
	v_cvt_u32_f32_e32 v1, v1
	s_delay_alu instid0(VALU_DEP_1) | instskip(NEXT) | instid1(VALU_DEP_1)
	v_readfirstlane_b32 s2, v1
	s_mul_i32 s3, s3, s2
	s_delay_alu instid0(SALU_CYCLE_1) | instskip(NEXT) | instid1(SALU_CYCLE_1)
	s_mul_hi_u32 s3, s2, s3
	s_add_i32 s2, s2, s3
	s_delay_alu instid0(SALU_CYCLE_1) | instskip(NEXT) | instid1(SALU_CYCLE_1)
	s_mul_hi_u32 s2, s6, s2
	s_mul_i32 s3, s2, s13
	s_delay_alu instid0(SALU_CYCLE_1)
	s_sub_i32 s3, s6, s3
	s_add_i32 s6, s2, 1
	s_sub_i32 s7, s3, s13
	s_cmp_ge_u32 s3, s13
	s_cselect_b32 s2, s6, s2
	s_cselect_b32 s3, s7, s3
	s_add_i32 s6, s2, 1
	s_cmp_ge_u32 s3, s13
	s_mov_b32 s3, 0
	s_cselect_b32 s2, s6, s2
.LBB28_5:
	v_mov_b32_e32 v13, 0
	s_add_u32 s2, s2, 1
	s_addc_u32 s3, s3, 0
	s_mul_hi_u32 s6, s16, s14
	s_mul_hi_u32 s7, s12, s2
	v_mov_b32_e32 v1, v13
	s_mul_i32 s3, s12, s3
	s_mul_i32 s6, s6, s2
	s_add_i32 s3, s7, s3
	s_mul_i32 s2, s12, s2
	v_mad_u64_u32 v[15:16], null, s14, s15, v[0:1]
	s_add_i32 s3, s3, s6
	s_mov_b32 s6, exec_lo
	s_lshl_b64 s[2:3], s[2:3], 1
	s_delay_alu instid0(VALU_DEP_1) | instid1(SALU_CYCLE_1)
	v_cmpx_gt_i64_e64 s[2:3], v[15:16]
	s_cbranch_execz .LBB28_30
; %bb.6:
	v_alignbit_b32 v19, v3, v2, 2
	v_mad_u64_u32 v[6:7], null, 0xcd9e8d57, v15, 0
	v_lshrrev_b32_e32 v20, 2, v3
	s_waitcnt vmcnt(0)
	v_dual_mov_b32 v14, v12 :: v_dual_and_b32 v35, 3, v2
	v_mad_u64_u32 v[4:5], null, 0xd2511f53, v19, 0
	v_add_co_u32 v22, null, 0x9e3779b9, v11
	v_xor3_b32 v3, v11, v7, v20
	s_delay_alu instid0(VALU_DEP_4) | instskip(SKIP_2) | instid1(VALU_DEP_4)
	v_add_co_u32 v21, null, 0xbb67ae85, v14
	v_add_co_u32 v23, null, 0x3c6ef372, v11
	v_xor_b32_e32 v1, v5, v12
	v_mad_u64_u32 v[7:8], null, 0xd2511f53, v3, 0
	v_add_co_u32 v24, null, 0x76cf5d0a, v14
	s_delay_alu instid0(VALU_DEP_3) | instskip(SKIP_2) | instid1(VALU_DEP_3)
	v_xor_b32_e32 v1, v1, v16
	v_add_co_u32 v25, null, 0x32370b8f, v14
	v_add_co_u32 v26, null, 0xdaa66d2b, v11
	v_mad_u64_u32 v[9:10], null, 0xcd9e8d57, v1, 0
	v_xor3_b32 v1, v21, v8, v4
	v_add_co_u32 v27, null, 0x78dde6e4, v11
	v_add_co_u32 v28, null, 0xed9eba14, v14
	s_delay_alu instid0(VALU_DEP_3) | instskip(SKIP_3) | instid1(VALU_DEP_3)
	v_mad_u64_u32 v[3:4], null, 0xcd9e8d57, v1, 0
	v_xor3_b32 v8, v22, v10, v6
	v_add_co_u32 v29, null, 0xa9066899, v14
	v_add_co_u32 v30, null, 0x1715609d, v11
	v_mad_u64_u32 v[5:6], null, 0xd2511f53, v8, 0
	v_xor3_b32 v1, v23, v4, v9
	v_add_co_u32 v31, null, 0xb54cda56, v11
	v_add_co_u32 v32, null, 0x646e171e, v14
	s_load_b128 s[8:11], s[0:1], 0x40
	s_delay_alu instid0(VALU_DEP_4) | instskip(SKIP_2) | instid1(VALU_DEP_3)
	v_xor3_b32 v4, v24, v6, v7
	v_mad_u64_u32 v[6:7], null, 0xd2511f53, v1, 0
	v_add_co_u32 v34, null, 0x1fd5c5a3, v14
	v_mad_u64_u32 v[8:9], null, 0xcd9e8d57, v4, 0
	v_add_co_u32 v33, null, 0x5384540f, v11
	s_delay_alu instid0(VALU_DEP_4) | instskip(SKIP_4) | instid1(VALU_DEP_4)
	v_xor3_b32 v1, v25, v7, v5
	s_clause 0x1
	s_load_b64 s[6:7], s[0:1], 0x30
	s_load_b32 s0, s[0:1], 0x38
	v_add_co_u32 v37, null, 0xf1bbcdc8, v11
	v_xor3_b32 v5, v26, v9, v3
	v_mad_u64_u32 v[3:4], null, 0xcd9e8d57, v1, 0
	v_add_co_u32 v38, null, 0xdb3d7428, v14
	s_delay_alu instid0(VALU_DEP_3) | instskip(SKIP_3) | instid1(VALU_DEP_3)
	v_mad_u64_u32 v[9:10], null, 0xd2511f53, v5, 0
	s_waitcnt lgkmcnt(0)
	s_sub_u32 s10, 0, s10
	s_subb_u32 s11, 0, s11
	v_xor3_b32 v1, v27, v4, v8
	v_dual_mov_b32 v40, v15 :: v_dual_add_nc_u32 v39, 0x96a522ad, v12
	v_mov_b32_e32 v43, v16
	s_delay_alu instid0(VALU_DEP_4) | instskip(NEXT) | instid1(VALU_DEP_4)
	v_xor3_b32 v8, v28, v10, v6
	v_mad_u64_u32 v[4:5], null, 0xd2511f53, v1, 0
	s_mul_i32 s1, s16, s0
	s_delay_alu instid0(VALU_DEP_2) | instskip(NEXT) | instid1(VALU_DEP_2)
	v_mad_u64_u32 v[6:7], null, 0xcd9e8d57, v8, 0
	v_xor3_b32 v1, v29, v5, v9
	s_delay_alu instid0(VALU_DEP_2) | instskip(NEXT) | instid1(VALU_DEP_2)
	v_xor3_b32 v3, v30, v7, v3
	v_mad_u64_u32 v[7:8], null, 0xcd9e8d57, v1, 0
	s_delay_alu instid0(VALU_DEP_2) | instskip(NEXT) | instid1(VALU_DEP_2)
	v_mad_u64_u32 v[9:10], null, 0xd2511f53, v3, 0
	v_xor3_b32 v1, v31, v8, v6
	s_delay_alu instid0(VALU_DEP_2) | instskip(NEXT) | instid1(VALU_DEP_2)
	v_xor3_b32 v8, v32, v10, v4
	v_mad_u64_u32 v[3:4], null, 0xd2511f53, v1, 0
	;; [unrolled: 6-line block ×3, first 2 shown]
	v_mad_u64_u32 v[17:18], null, s15, s14, v[0:1]
	s_delay_alu instid0(VALU_DEP_3) | instskip(SKIP_1) | instid1(VALU_DEP_3)
	v_mad_u64_u32 v[8:9], null, 0xd2511f53, v2, 0
	s_add_i32 s15, s15, s16
	v_xor3_b32 v1, v37, v7, v5
	s_delay_alu instid0(VALU_DEP_3) | instskip(NEXT) | instid1(VALU_DEP_3)
	v_mul_lo_u32 v41, s0, v17
	v_xor3_b32 v7, v38, v9, v3
	s_delay_alu instid0(VALU_DEP_3) | instskip(SKIP_1) | instid1(VALU_DEP_3)
	v_mad_u64_u32 v[3:4], null, s15, s14, v[0:1]
	v_mad_u64_u32 v[4:5], null, 0xd2511f53, v1, 0
	;; [unrolled: 1-line block ×3, first 2 shown]
	v_add_nc_u32_e32 v36, 0x8ff34781, v11
	s_mul_i32 s14, s1, s14
	s_delay_alu instid0(VALU_DEP_4) | instskip(SKIP_1) | instid1(VALU_DEP_4)
	v_mul_lo_u32 v42, s0, v3
	s_mov_b32 s1, 0
	v_mov_b32_e32 v3, v4
	s_lshl_b32 s14, s14, 1
	s_delay_alu instid0(VALU_DEP_4)
	v_xor3_b32 v0, v2, v6, v36
	v_xor3_b32 v2, v5, v8, v39
	s_mov_b32 s15, 0
	s_branch .LBB28_9
.LBB28_7:                               ;   in Loop: Header=BB28_9 Depth=1
	s_or_b32 exec_lo, exec_lo, s0
	v_add_nc_u32_e32 v0, s15, v42
	s_delay_alu instid0(VALU_DEP_1) | instskip(SKIP_1) | instid1(VALU_DEP_2)
	v_ashrrev_i32_e32 v1, 31, v0
	v_add_co_u32 v0, vcc_lo, s6, v0
	v_add_co_ci_u32_e32 v1, vcc_lo, s7, v1, vcc_lo
	v_cmp_ne_u64_e32 vcc_lo, s[10:11], v[7:8]
	v_cndmask_b32_e64 v2, 0, 1, vcc_lo
	global_store_b8 v[0:1], v2, off
.LBB28_8:                               ;   in Loop: Header=BB28_9 Depth=1
	s_or_b32 exec_lo, exec_lo, s16
	v_add_co_u32 v15, vcc_lo, v15, s13
	v_add_co_ci_u32_e32 v16, vcc_lo, 0, v16, vcc_lo
	v_mov_b32_e32 v7, v17
	v_dual_mov_b32 v0, v4 :: v_dual_mov_b32 v1, v5
	s_delay_alu instid0(VALU_DEP_3) | instskip(NEXT) | instid1(VALU_DEP_3)
	v_cmp_le_i64_e32 vcc_lo, s[2:3], v[15:16]
	v_dual_mov_b32 v2, v6 :: v_dual_mov_b32 v3, v7
	s_add_i32 s15, s15, s14
	s_waitcnt_vscnt null, 0x0
	s_barrier
	s_or_b32 s1, vcc_lo, s1
	buffer_gl0_inv
	s_and_not1_b32 exec_lo, exec_lo, s1
	s_cbranch_execz .LBB28_30
.LBB28_9:                               ; =>This Inner Loop Header: Depth=1
	v_add_co_u32 v19, vcc_lo, v19, 1
	s_delay_alu instid0(VALU_DEP_1) | instskip(SKIP_2) | instid1(VALU_DEP_1)
	v_cndmask_b32_e64 v4, 0, 1, vcc_lo
	v_add_co_ci_u32_e32 v20, vcc_lo, 0, v20, vcc_lo
	s_mov_b32 s0, exec_lo
	v_cmp_eq_u32_e32 vcc_lo, 0, v20
	s_delay_alu instid0(VALU_DEP_3) | instskip(NEXT) | instid1(VALU_DEP_1)
	v_cndmask_b32_e32 v4, 0, v4, vcc_lo
	v_add_nc_u32_e32 v40, v4, v40
	s_delay_alu instid0(VALU_DEP_1) | instskip(SKIP_2) | instid1(VALU_DEP_2)
	v_cmp_eq_u32_e32 vcc_lo, 0, v40
	v_mad_u64_u32 v[6:7], null, 0xcd9e8d57, v40, 0
	v_cndmask_b32_e32 v4, 0, v4, vcc_lo
	v_xor3_b32 v9, v7, v11, v20
	s_delay_alu instid0(VALU_DEP_2) | instskip(SKIP_1) | instid1(VALU_DEP_3)
	v_add_nc_u32_e32 v43, v4, v43
	v_mad_u64_u32 v[4:5], null, 0xd2511f53, v19, 0
	v_mad_u64_u32 v[7:8], null, 0xd2511f53, v9, 0
	s_delay_alu instid0(VALU_DEP_2) | instskip(NEXT) | instid1(VALU_DEP_2)
	v_xor_b32_e32 v5, v5, v12
	v_xor3_b32 v8, v21, v8, v4
	s_delay_alu instid0(VALU_DEP_2) | instskip(NEXT) | instid1(VALU_DEP_1)
	v_xor_b32_e32 v5, v43, v5
	v_mad_u64_u32 v[9:10], null, 0xcd9e8d57, v5, 0
	s_delay_alu instid0(VALU_DEP_3) | instskip(NEXT) | instid1(VALU_DEP_2)
	v_mad_u64_u32 v[4:5], null, 0xcd9e8d57, v8, 0
	v_xor3_b32 v6, v22, v10, v6
	s_delay_alu instid0(VALU_DEP_2) | instskip(NEXT) | instid1(VALU_DEP_2)
	v_xor3_b32 v8, v23, v5, v9
	v_mad_u64_u32 v[17:18], null, 0xd2511f53, v6, 0
	s_delay_alu instid0(VALU_DEP_2) | instskip(NEXT) | instid1(VALU_DEP_2)
	v_mad_u64_u32 v[5:6], null, 0xd2511f53, v8, 0
	v_xor3_b32 v9, v24, v18, v7
	s_delay_alu instid0(VALU_DEP_2) | instskip(NEXT) | instid1(VALU_DEP_2)
	v_xor3_b32 v6, v25, v6, v17
	v_mad_u64_u32 v[7:8], null, 0xcd9e8d57, v9, 0
	s_delay_alu instid0(VALU_DEP_1) | instskip(NEXT) | instid1(VALU_DEP_3)
	v_xor3_b32 v4, v26, v8, v4
	v_mad_u64_u32 v[8:9], null, 0xcd9e8d57, v6, 0
	s_delay_alu instid0(VALU_DEP_2) | instskip(NEXT) | instid1(VALU_DEP_2)
	v_mad_u64_u32 v[17:18], null, 0xd2511f53, v4, 0
	v_xor3_b32 v6, v27, v9, v7
	s_delay_alu instid0(VALU_DEP_2) | instskip(NEXT) | instid1(VALU_DEP_2)
	v_xor3_b32 v9, v28, v18, v5
	v_mad_u64_u32 v[4:5], null, 0xd2511f53, v6, 0
	s_delay_alu instid0(VALU_DEP_2) | instskip(NEXT) | instid1(VALU_DEP_2)
	v_mad_u64_u32 v[6:7], null, 0xcd9e8d57, v9, 0
	v_xor3_b32 v5, v29, v5, v17
	s_delay_alu instid0(VALU_DEP_2) | instskip(NEXT) | instid1(VALU_DEP_2)
	;; [unrolled: 6-line block ×6, first 2 shown]
	v_xor3_b32 v4, v6, v7, v36
	v_mov_b32_e32 v6, v10
	v_cmpx_lt_i32_e32 1, v35
	s_xor_b32 s0, exec_lo, s0
	s_cbranch_execnz .LBB28_12
; %bb.10:                               ;   in Loop: Header=BB28_9 Depth=1
	s_and_not1_saveexec_b32 s0, s0
	s_cbranch_execnz .LBB28_17
.LBB28_11:                              ;   in Loop: Header=BB28_9 Depth=1
	s_or_b32 exec_lo, exec_lo, s0
	s_delay_alu instid0(SALU_CYCLE_1)
	s_mov_b32 s16, exec_lo
	v_cmpx_gt_i64_e64 s[4:5], v[15:16]
	s_cbranch_execnz .LBB28_20
	s_branch .LBB28_25
.LBB28_12:                              ;   in Loop: Header=BB28_9 Depth=1
	s_mov_b32 s16, exec_lo
	v_cmpx_lt_i32_e32 2, v35
	s_xor_b32 s16, exec_lo, s16
; %bb.13:                               ;   in Loop: Header=BB28_9 Depth=1
	v_dual_mov_b32 v7, v3 :: v_dual_mov_b32 v8, v4
	v_mov_b32_e32 v9, v5
	s_delay_alu instid0(VALU_DEP_2) | instskip(NEXT) | instid1(VALU_DEP_2)
	v_dual_mov_b32 v0, v7 :: v_dual_mov_b32 v1, v8
	v_dual_mov_b32 v2, v9 :: v_dual_mov_b32 v3, v10
; %bb.14:                               ;   in Loop: Header=BB28_9 Depth=1
	s_and_not1_saveexec_b32 s16, s16
; %bb.15:                               ;   in Loop: Header=BB28_9 Depth=1
	s_delay_alu instid0(VALU_DEP_1)
	v_dual_mov_b32 v0, v2 :: v_dual_mov_b32 v1, v3
	v_dual_mov_b32 v2, v4 :: v_dual_mov_b32 v3, v5
; %bb.16:                               ;   in Loop: Header=BB28_9 Depth=1
	s_or_b32 exec_lo, exec_lo, s16
	s_and_not1_saveexec_b32 s0, s0
	s_cbranch_execz .LBB28_11
.LBB28_17:                              ;   in Loop: Header=BB28_9 Depth=1
	s_mov_b32 s16, exec_lo
	v_cmpx_eq_u32_e32 1, v35
; %bb.18:                               ;   in Loop: Header=BB28_9 Depth=1
	v_dual_mov_b32 v0, v1 :: v_dual_mov_b32 v1, v2
	v_dual_mov_b32 v2, v3 :: v_dual_mov_b32 v3, v4
; %bb.19:                               ;   in Loop: Header=BB28_9 Depth=1
	s_or_b32 exec_lo, exec_lo, s16
	s_delay_alu instid0(SALU_CYCLE_1) | instskip(NEXT) | instid1(SALU_CYCLE_1)
	s_or_b32 exec_lo, exec_lo, s0
	s_mov_b32 s16, exec_lo
	v_cmpx_gt_i64_e64 s[4:5], v[15:16]
	s_cbranch_execz .LBB28_25
.LBB28_20:                              ;   in Loop: Header=BB28_9 Depth=1
	v_or_b32_e32 v14, s9, v0
                                        ; implicit-def: $vgpr7_vgpr8
	s_mov_b32 s0, exec_lo
	s_delay_alu instid0(VALU_DEP_1)
	v_cmpx_ne_u64_e32 0, v[13:14]
	s_xor_b32 s17, exec_lo, s0
	s_cbranch_execz .LBB28_22
; %bb.21:                               ;   in Loop: Header=BB28_9 Depth=1
	v_cvt_f32_u32_e32 v7, s8
	v_cvt_f32_u32_e32 v8, s9
	s_sub_u32 s0, 0, s8
	s_subb_u32 s18, 0, s9
	s_delay_alu instid0(VALU_DEP_1) | instskip(NEXT) | instid1(VALU_DEP_1)
	v_fmac_f32_e32 v7, 0x4f800000, v8
	v_rcp_f32_e32 v7, v7
	s_waitcnt_depctr 0xfff
	v_mul_f32_e32 v7, 0x5f7ffffc, v7
	s_delay_alu instid0(VALU_DEP_1) | instskip(NEXT) | instid1(VALU_DEP_1)
	v_mul_f32_e32 v8, 0x2f800000, v7
	v_trunc_f32_e32 v8, v8
	s_delay_alu instid0(VALU_DEP_1) | instskip(SKIP_1) | instid1(VALU_DEP_2)
	v_fmac_f32_e32 v7, 0xcf800000, v8
	v_cvt_u32_f32_e32 v8, v8
	v_cvt_u32_f32_e32 v7, v7
	s_delay_alu instid0(VALU_DEP_2) | instskip(NEXT) | instid1(VALU_DEP_2)
	v_mul_lo_u32 v9, s0, v8
	v_mul_hi_u32 v10, s0, v7
	v_mul_lo_u32 v14, s18, v7
	s_delay_alu instid0(VALU_DEP_2) | instskip(SKIP_1) | instid1(VALU_DEP_2)
	v_add_nc_u32_e32 v9, v10, v9
	v_mul_lo_u32 v10, s0, v7
	v_add_nc_u32_e32 v9, v9, v14
	s_delay_alu instid0(VALU_DEP_2) | instskip(NEXT) | instid1(VALU_DEP_2)
	v_mul_hi_u32 v14, v7, v10
	v_mul_lo_u32 v18, v7, v9
	v_mul_hi_u32 v44, v7, v9
	v_mul_hi_u32 v45, v8, v10
	v_mul_lo_u32 v10, v8, v10
	v_mul_hi_u32 v46, v8, v9
	v_mul_lo_u32 v9, v8, v9
	v_add_co_u32 v14, vcc_lo, v14, v18
	v_add_co_ci_u32_e32 v18, vcc_lo, 0, v44, vcc_lo
	s_delay_alu instid0(VALU_DEP_2) | instskip(NEXT) | instid1(VALU_DEP_2)
	v_add_co_u32 v10, vcc_lo, v14, v10
	v_add_co_ci_u32_e32 v10, vcc_lo, v18, v45, vcc_lo
	v_add_co_ci_u32_e32 v14, vcc_lo, 0, v46, vcc_lo
	s_delay_alu instid0(VALU_DEP_2) | instskip(NEXT) | instid1(VALU_DEP_2)
	v_add_co_u32 v9, vcc_lo, v10, v9
	v_add_co_ci_u32_e32 v10, vcc_lo, 0, v14, vcc_lo
	s_delay_alu instid0(VALU_DEP_2) | instskip(NEXT) | instid1(VALU_DEP_2)
	v_add_co_u32 v7, vcc_lo, v7, v9
	v_add_co_ci_u32_e32 v8, vcc_lo, v8, v10, vcc_lo
	s_delay_alu instid0(VALU_DEP_2) | instskip(SKIP_1) | instid1(VALU_DEP_3)
	v_mul_hi_u32 v9, s0, v7
	v_mul_lo_u32 v14, s18, v7
	v_mul_lo_u32 v10, s0, v8
	s_delay_alu instid0(VALU_DEP_1) | instskip(SKIP_1) | instid1(VALU_DEP_2)
	v_add_nc_u32_e32 v9, v9, v10
	v_mul_lo_u32 v10, s0, v7
	v_add_nc_u32_e32 v9, v9, v14
	s_delay_alu instid0(VALU_DEP_2) | instskip(NEXT) | instid1(VALU_DEP_2)
	v_mul_hi_u32 v14, v7, v10
	v_mul_lo_u32 v18, v7, v9
	v_mul_hi_u32 v44, v7, v9
	v_mul_hi_u32 v45, v8, v10
	v_mul_lo_u32 v10, v8, v10
	v_mul_hi_u32 v46, v8, v9
	v_mul_lo_u32 v9, v8, v9
	v_add_co_u32 v14, vcc_lo, v14, v18
	v_add_co_ci_u32_e32 v18, vcc_lo, 0, v44, vcc_lo
	s_delay_alu instid0(VALU_DEP_2) | instskip(NEXT) | instid1(VALU_DEP_2)
	v_add_co_u32 v10, vcc_lo, v14, v10
	v_add_co_ci_u32_e32 v10, vcc_lo, v18, v45, vcc_lo
	v_add_co_ci_u32_e32 v14, vcc_lo, 0, v46, vcc_lo
	s_delay_alu instid0(VALU_DEP_2) | instskip(NEXT) | instid1(VALU_DEP_2)
	v_add_co_u32 v9, vcc_lo, v10, v9
	v_add_co_ci_u32_e32 v10, vcc_lo, 0, v14, vcc_lo
	s_delay_alu instid0(VALU_DEP_2) | instskip(NEXT) | instid1(VALU_DEP_2)
	v_add_co_u32 v14, vcc_lo, v7, v9
	v_add_co_ci_u32_e32 v18, vcc_lo, v8, v10, vcc_lo
	s_delay_alu instid0(VALU_DEP_2) | instskip(SKIP_1) | instid1(VALU_DEP_3)
	v_mul_hi_u32 v46, v1, v14
	v_mad_u64_u32 v[9:10], null, v0, v14, 0
	v_mad_u64_u32 v[7:8], null, v1, v18, 0
	;; [unrolled: 1-line block ×3, first 2 shown]
	s_delay_alu instid0(VALU_DEP_2) | instskip(NEXT) | instid1(VALU_DEP_3)
	v_add_co_u32 v7, vcc_lo, v46, v7
	v_add_co_ci_u32_e32 v8, vcc_lo, 0, v8, vcc_lo
	s_delay_alu instid0(VALU_DEP_2) | instskip(NEXT) | instid1(VALU_DEP_2)
	v_add_co_u32 v7, vcc_lo, v7, v9
	v_add_co_ci_u32_e32 v7, vcc_lo, v8, v10, vcc_lo
	v_add_co_ci_u32_e32 v8, vcc_lo, 0, v45, vcc_lo
	s_delay_alu instid0(VALU_DEP_2) | instskip(NEXT) | instid1(VALU_DEP_2)
	v_add_co_u32 v9, vcc_lo, v7, v44
	v_add_co_ci_u32_e32 v10, vcc_lo, 0, v8, vcc_lo
	s_delay_alu instid0(VALU_DEP_2) | instskip(SKIP_1) | instid1(VALU_DEP_3)
	v_mul_lo_u32 v14, s9, v9
	v_mad_u64_u32 v[7:8], null, s8, v9, 0
	v_mul_lo_u32 v9, s8, v10
	s_delay_alu instid0(VALU_DEP_2) | instskip(NEXT) | instid1(VALU_DEP_2)
	v_sub_co_u32 v7, vcc_lo, v1, v7
	v_add3_u32 v8, v8, v9, v14
	s_delay_alu instid0(VALU_DEP_1) | instskip(NEXT) | instid1(VALU_DEP_1)
	v_sub_nc_u32_e32 v9, v0, v8
	v_subrev_co_ci_u32_e64 v9, s0, s9, v9, vcc_lo
	v_sub_co_ci_u32_e32 v0, vcc_lo, v0, v8, vcc_lo
	v_sub_co_u32 v8, vcc_lo, v7, s8
	s_delay_alu instid0(VALU_DEP_1) | instskip(SKIP_3) | instid1(VALU_DEP_3)
	v_subrev_co_ci_u32_e64 v10, s0, 0, v9, vcc_lo
	v_cmp_le_u32_e64 s0, s8, v7
	v_subrev_co_ci_u32_e32 v9, vcc_lo, s9, v9, vcc_lo
	v_cmp_le_u32_e32 vcc_lo, s9, v0
	v_cndmask_b32_e64 v14, 0, -1, s0
	v_cmp_le_u32_e64 s0, s8, v8
	v_cndmask_b32_e64 v45, 0, -1, vcc_lo
	v_cmp_eq_u32_e32 vcc_lo, s9, v10
	s_delay_alu instid0(VALU_DEP_3) | instskip(SKIP_1) | instid1(VALU_DEP_1)
	v_cndmask_b32_e64 v18, 0, -1, s0
	v_cmp_le_u32_e64 s0, s9, v10
	v_cndmask_b32_e64 v44, 0, -1, s0
	v_cmp_eq_u32_e64 s0, s9, v0
	s_delay_alu instid0(VALU_DEP_2) | instskip(SKIP_2) | instid1(VALU_DEP_3)
	v_cndmask_b32_e32 v18, v44, v18, vcc_lo
	v_sub_co_u32 v44, vcc_lo, v8, s8
	v_subrev_co_ci_u32_e32 v9, vcc_lo, 0, v9, vcc_lo
	v_cmp_ne_u32_e32 vcc_lo, 0, v18
	v_cndmask_b32_e64 v14, v45, v14, s0
	s_delay_alu instid0(VALU_DEP_3) | instskip(NEXT) | instid1(VALU_DEP_2)
	v_dual_cndmask_b32 v9, v10, v9 :: v_dual_cndmask_b32 v10, v8, v44
	v_cmp_ne_u32_e32 vcc_lo, 0, v14
	s_delay_alu instid0(VALU_DEP_2)
	v_dual_cndmask_b32 v8, v0, v9 :: v_dual_cndmask_b32 v7, v7, v10
.LBB28_22:                              ;   in Loop: Header=BB28_9 Depth=1
	s_and_not1_saveexec_b32 s0, s17
	s_cbranch_execz .LBB28_24
; %bb.23:                               ;   in Loop: Header=BB28_9 Depth=1
	v_cvt_f32_u32_e32 v0, s8
	s_sub_i32 s17, 0, s8
	v_mov_b32_e32 v8, v13
	s_delay_alu instid0(VALU_DEP_2) | instskip(SKIP_2) | instid1(VALU_DEP_1)
	v_rcp_iflag_f32_e32 v0, v0
	s_waitcnt_depctr 0xfff
	v_mul_f32_e32 v0, 0x4f7ffffe, v0
	v_cvt_u32_f32_e32 v0, v0
	s_delay_alu instid0(VALU_DEP_1) | instskip(NEXT) | instid1(VALU_DEP_1)
	v_mul_lo_u32 v7, s17, v0
	v_mul_hi_u32 v7, v0, v7
	s_delay_alu instid0(VALU_DEP_1) | instskip(NEXT) | instid1(VALU_DEP_1)
	v_add_nc_u32_e32 v0, v0, v7
	v_mul_hi_u32 v0, v1, v0
	s_delay_alu instid0(VALU_DEP_1) | instskip(NEXT) | instid1(VALU_DEP_1)
	v_mul_lo_u32 v0, v0, s8
	v_sub_nc_u32_e32 v0, v1, v0
	s_delay_alu instid0(VALU_DEP_1) | instskip(SKIP_1) | instid1(VALU_DEP_2)
	v_subrev_nc_u32_e32 v1, s8, v0
	v_cmp_le_u32_e32 vcc_lo, s8, v0
	v_cndmask_b32_e32 v0, v0, v1, vcc_lo
	s_delay_alu instid0(VALU_DEP_1) | instskip(SKIP_1) | instid1(VALU_DEP_2)
	v_subrev_nc_u32_e32 v1, s8, v0
	v_cmp_le_u32_e32 vcc_lo, s8, v0
	v_cndmask_b32_e32 v7, v0, v1, vcc_lo
.LBB28_24:                              ;   in Loop: Header=BB28_9 Depth=1
	s_or_b32 exec_lo, exec_lo, s0
	v_add_nc_u32_e32 v0, s15, v41
	s_delay_alu instid0(VALU_DEP_1) | instskip(SKIP_1) | instid1(VALU_DEP_2)
	v_ashrrev_i32_e32 v1, 31, v0
	v_add_co_u32 v0, vcc_lo, s6, v0
	v_add_co_ci_u32_e32 v1, vcc_lo, s7, v1, vcc_lo
	v_cmp_ne_u64_e32 vcc_lo, s[10:11], v[7:8]
	v_cndmask_b32_e64 v7, 0, 1, vcc_lo
	global_store_b8 v[0:1], v7, off
.LBB28_25:                              ;   in Loop: Header=BB28_9 Depth=1
	s_or_b32 exec_lo, exec_lo, s16
	v_add_co_u32 v0, vcc_lo, s12, v15
	v_add_co_ci_u32_e32 v1, vcc_lo, 0, v16, vcc_lo
	s_mov_b32 s16, exec_lo
	s_delay_alu instid0(VALU_DEP_1)
	v_cmpx_gt_i64_e64 s[4:5], v[0:1]
	s_cbranch_execz .LBB28_8
; %bb.26:                               ;   in Loop: Header=BB28_9 Depth=1
	v_or_b32_e32 v14, s9, v2
                                        ; implicit-def: $vgpr7_vgpr8
	s_mov_b32 s0, exec_lo
	s_delay_alu instid0(VALU_DEP_1)
	v_cmpx_ne_u64_e32 0, v[13:14]
	s_xor_b32 s17, exec_lo, s0
	s_cbranch_execz .LBB28_28
; %bb.27:                               ;   in Loop: Header=BB28_9 Depth=1
	v_cvt_f32_u32_e32 v0, s8
	v_cvt_f32_u32_e32 v1, s9
	s_sub_u32 s0, 0, s8
	s_subb_u32 s18, 0, s9
	s_delay_alu instid0(VALU_DEP_1) | instskip(NEXT) | instid1(VALU_DEP_1)
	v_fmac_f32_e32 v0, 0x4f800000, v1
	v_rcp_f32_e32 v0, v0
	s_waitcnt_depctr 0xfff
	v_mul_f32_e32 v0, 0x5f7ffffc, v0
	s_delay_alu instid0(VALU_DEP_1) | instskip(NEXT) | instid1(VALU_DEP_1)
	v_mul_f32_e32 v1, 0x2f800000, v0
	v_trunc_f32_e32 v1, v1
	s_delay_alu instid0(VALU_DEP_1) | instskip(SKIP_1) | instid1(VALU_DEP_2)
	v_fmac_f32_e32 v0, 0xcf800000, v1
	v_cvt_u32_f32_e32 v1, v1
	v_cvt_u32_f32_e32 v0, v0
	s_delay_alu instid0(VALU_DEP_2) | instskip(NEXT) | instid1(VALU_DEP_2)
	v_mul_lo_u32 v7, s0, v1
	v_mul_hi_u32 v8, s0, v0
	v_mul_lo_u32 v9, s18, v0
	s_delay_alu instid0(VALU_DEP_2) | instskip(SKIP_1) | instid1(VALU_DEP_2)
	v_add_nc_u32_e32 v7, v8, v7
	v_mul_lo_u32 v8, s0, v0
	v_add_nc_u32_e32 v7, v7, v9
	s_delay_alu instid0(VALU_DEP_2) | instskip(NEXT) | instid1(VALU_DEP_2)
	v_mul_hi_u32 v9, v0, v8
	v_mul_lo_u32 v10, v0, v7
	v_mul_hi_u32 v14, v0, v7
	v_mul_hi_u32 v18, v1, v8
	v_mul_lo_u32 v8, v1, v8
	v_mul_hi_u32 v44, v1, v7
	v_mul_lo_u32 v7, v1, v7
	v_add_co_u32 v9, vcc_lo, v9, v10
	v_add_co_ci_u32_e32 v10, vcc_lo, 0, v14, vcc_lo
	s_delay_alu instid0(VALU_DEP_2) | instskip(NEXT) | instid1(VALU_DEP_2)
	v_add_co_u32 v8, vcc_lo, v9, v8
	v_add_co_ci_u32_e32 v8, vcc_lo, v10, v18, vcc_lo
	v_add_co_ci_u32_e32 v9, vcc_lo, 0, v44, vcc_lo
	s_delay_alu instid0(VALU_DEP_2) | instskip(NEXT) | instid1(VALU_DEP_2)
	v_add_co_u32 v7, vcc_lo, v8, v7
	v_add_co_ci_u32_e32 v8, vcc_lo, 0, v9, vcc_lo
	s_delay_alu instid0(VALU_DEP_2) | instskip(NEXT) | instid1(VALU_DEP_2)
	v_add_co_u32 v0, vcc_lo, v0, v7
	v_add_co_ci_u32_e32 v1, vcc_lo, v1, v8, vcc_lo
	s_delay_alu instid0(VALU_DEP_2) | instskip(SKIP_1) | instid1(VALU_DEP_3)
	v_mul_hi_u32 v7, s0, v0
	v_mul_lo_u32 v9, s18, v0
	v_mul_lo_u32 v8, s0, v1
	s_delay_alu instid0(VALU_DEP_1) | instskip(SKIP_1) | instid1(VALU_DEP_2)
	v_add_nc_u32_e32 v7, v7, v8
	v_mul_lo_u32 v8, s0, v0
	v_add_nc_u32_e32 v7, v7, v9
	s_delay_alu instid0(VALU_DEP_2) | instskip(NEXT) | instid1(VALU_DEP_2)
	v_mul_hi_u32 v9, v0, v8
	v_mul_lo_u32 v10, v0, v7
	v_mul_hi_u32 v14, v0, v7
	v_mul_hi_u32 v18, v1, v8
	v_mul_lo_u32 v8, v1, v8
	v_mul_hi_u32 v44, v1, v7
	v_mul_lo_u32 v7, v1, v7
	v_add_co_u32 v9, vcc_lo, v9, v10
	v_add_co_ci_u32_e32 v10, vcc_lo, 0, v14, vcc_lo
	s_delay_alu instid0(VALU_DEP_2) | instskip(NEXT) | instid1(VALU_DEP_2)
	v_add_co_u32 v8, vcc_lo, v9, v8
	v_add_co_ci_u32_e32 v8, vcc_lo, v10, v18, vcc_lo
	v_add_co_ci_u32_e32 v9, vcc_lo, 0, v44, vcc_lo
	s_delay_alu instid0(VALU_DEP_2) | instskip(NEXT) | instid1(VALU_DEP_2)
	v_add_co_u32 v7, vcc_lo, v8, v7
	v_add_co_ci_u32_e32 v8, vcc_lo, 0, v9, vcc_lo
	s_delay_alu instid0(VALU_DEP_2) | instskip(NEXT) | instid1(VALU_DEP_2)
	v_add_co_u32 v9, vcc_lo, v0, v7
	v_add_co_ci_u32_e32 v14, vcc_lo, v1, v8, vcc_lo
	s_delay_alu instid0(VALU_DEP_2) | instskip(SKIP_1) | instid1(VALU_DEP_3)
	v_mul_hi_u32 v18, v3, v9
	v_mad_u64_u32 v[7:8], null, v2, v9, 0
	v_mad_u64_u32 v[0:1], null, v3, v14, 0
	;; [unrolled: 1-line block ×3, first 2 shown]
	s_delay_alu instid0(VALU_DEP_2) | instskip(NEXT) | instid1(VALU_DEP_3)
	v_add_co_u32 v0, vcc_lo, v18, v0
	v_add_co_ci_u32_e32 v1, vcc_lo, 0, v1, vcc_lo
	s_delay_alu instid0(VALU_DEP_2) | instskip(NEXT) | instid1(VALU_DEP_2)
	v_add_co_u32 v0, vcc_lo, v0, v7
	v_add_co_ci_u32_e32 v0, vcc_lo, v1, v8, vcc_lo
	v_add_co_ci_u32_e32 v1, vcc_lo, 0, v10, vcc_lo
	s_delay_alu instid0(VALU_DEP_2) | instskip(NEXT) | instid1(VALU_DEP_2)
	v_add_co_u32 v7, vcc_lo, v0, v9
	v_add_co_ci_u32_e32 v8, vcc_lo, 0, v1, vcc_lo
	s_delay_alu instid0(VALU_DEP_2) | instskip(SKIP_1) | instid1(VALU_DEP_3)
	v_mul_lo_u32 v9, s9, v7
	v_mad_u64_u32 v[0:1], null, s8, v7, 0
	v_mul_lo_u32 v7, s8, v8
	s_delay_alu instid0(VALU_DEP_2) | instskip(NEXT) | instid1(VALU_DEP_2)
	v_sub_co_u32 v0, vcc_lo, v3, v0
	v_add3_u32 v1, v1, v7, v9
	s_delay_alu instid0(VALU_DEP_1) | instskip(NEXT) | instid1(VALU_DEP_1)
	v_sub_nc_u32_e32 v7, v2, v1
	v_subrev_co_ci_u32_e64 v3, s0, s9, v7, vcc_lo
	v_sub_co_ci_u32_e32 v1, vcc_lo, v2, v1, vcc_lo
	v_sub_co_u32 v2, vcc_lo, v0, s8
	s_delay_alu instid0(VALU_DEP_1) | instskip(SKIP_3) | instid1(VALU_DEP_3)
	v_subrev_co_ci_u32_e64 v7, s0, 0, v3, vcc_lo
	v_cmp_le_u32_e64 s0, s8, v0
	v_subrev_co_ci_u32_e32 v3, vcc_lo, s9, v3, vcc_lo
	v_cmp_le_u32_e32 vcc_lo, s9, v1
	v_cndmask_b32_e64 v8, 0, -1, s0
	v_cmp_le_u32_e64 s0, s8, v2
	v_cndmask_b32_e64 v14, 0, -1, vcc_lo
	v_cmp_eq_u32_e32 vcc_lo, s9, v7
	s_delay_alu instid0(VALU_DEP_3) | instskip(SKIP_1) | instid1(VALU_DEP_1)
	v_cndmask_b32_e64 v9, 0, -1, s0
	v_cmp_le_u32_e64 s0, s9, v7
	v_cndmask_b32_e64 v10, 0, -1, s0
	v_cmp_eq_u32_e64 s0, s9, v1
	s_delay_alu instid0(VALU_DEP_2) | instskip(SKIP_2) | instid1(VALU_DEP_3)
	v_cndmask_b32_e32 v9, v10, v9, vcc_lo
	v_sub_co_u32 v10, vcc_lo, v2, s8
	v_subrev_co_ci_u32_e32 v3, vcc_lo, 0, v3, vcc_lo
	v_cmp_ne_u32_e32 vcc_lo, 0, v9
	v_cndmask_b32_e64 v8, v14, v8, s0
	s_delay_alu instid0(VALU_DEP_3) | instskip(NEXT) | instid1(VALU_DEP_2)
	v_dual_cndmask_b32 v3, v7, v3 :: v_dual_cndmask_b32 v2, v2, v10
	v_cmp_ne_u32_e32 vcc_lo, 0, v8
	s_delay_alu instid0(VALU_DEP_2)
	v_dual_cndmask_b32 v8, v1, v3 :: v_dual_cndmask_b32 v7, v0, v2
                                        ; implicit-def: $vgpr0_vgpr1_vgpr2_vgpr3
.LBB28_28:                              ;   in Loop: Header=BB28_9 Depth=1
	s_and_not1_saveexec_b32 s0, s17
	s_cbranch_execz .LBB28_7
; %bb.29:                               ;   in Loop: Header=BB28_9 Depth=1
	v_cvt_f32_u32_e32 v0, s8
	s_sub_i32 s17, 0, s8
	v_mov_b32_e32 v8, v13
	s_delay_alu instid0(VALU_DEP_2) | instskip(SKIP_2) | instid1(VALU_DEP_1)
	v_rcp_iflag_f32_e32 v0, v0
	s_waitcnt_depctr 0xfff
	v_mul_f32_e32 v0, 0x4f7ffffe, v0
	v_cvt_u32_f32_e32 v0, v0
	s_delay_alu instid0(VALU_DEP_1) | instskip(NEXT) | instid1(VALU_DEP_1)
	v_mul_lo_u32 v1, s17, v0
	v_mul_hi_u32 v1, v0, v1
	s_delay_alu instid0(VALU_DEP_1) | instskip(NEXT) | instid1(VALU_DEP_1)
	v_add_nc_u32_e32 v0, v0, v1
	v_mul_hi_u32 v0, v3, v0
	s_delay_alu instid0(VALU_DEP_1) | instskip(NEXT) | instid1(VALU_DEP_1)
	v_mul_lo_u32 v0, v0, s8
	v_sub_nc_u32_e32 v0, v3, v0
	s_delay_alu instid0(VALU_DEP_1) | instskip(SKIP_1) | instid1(VALU_DEP_2)
	v_subrev_nc_u32_e32 v1, s8, v0
	v_cmp_le_u32_e32 vcc_lo, s8, v0
	v_cndmask_b32_e32 v0, v0, v1, vcc_lo
	s_delay_alu instid0(VALU_DEP_1) | instskip(SKIP_1) | instid1(VALU_DEP_2)
	v_subrev_nc_u32_e32 v1, s8, v0
	v_cmp_le_u32_e32 vcc_lo, s8, v0
	v_cndmask_b32_e32 v7, v0, v1, vcc_lo
	s_branch .LBB28_7
.LBB28_30:
	s_endpgm
.LBB28_31:
                                        ; implicit-def: $sgpr2_sgpr3
	s_branch .LBB28_4
	.section	.rodata,"a",@progbits
	.p2align	6, 0x0
	.amdhsa_kernel _ZN2at6native12_GLOBAL__N_143distribution_elementwise_grid_stride_kernelImLi2EZZZNS0_9templates4cuda21random_from_to_kernelIPNS_17CUDAGeneratorImplEEEvRNS_18TensorIteratorBaseEmlT_ENKUlvE_clEvENKUlvE6_clEvEUlP25hiprandStatePhilox4_32_10E_ZNS1_27distribution_nullary_kernelIbm15HIP_vector_typeIyLj2EES7_SF_ZZZNS5_IS7_EEvS9_mlSA_ENKSB_clEvENKSC_clEvEUlmE_EEvS9_T2_RKT3_T4_EUlimE_EEvlNS_15PhiloxCudaStateET1_SK_
		.amdhsa_group_segment_fixed_size 0
		.amdhsa_private_segment_fixed_size 0
		.amdhsa_kernarg_size 336
		.amdhsa_user_sgpr_count 15
		.amdhsa_user_sgpr_dispatch_ptr 0
		.amdhsa_user_sgpr_queue_ptr 0
		.amdhsa_user_sgpr_kernarg_segment_ptr 1
		.amdhsa_user_sgpr_dispatch_id 0
		.amdhsa_user_sgpr_private_segment_size 0
		.amdhsa_wavefront_size32 1
		.amdhsa_uses_dynamic_stack 0
		.amdhsa_enable_private_segment 0
		.amdhsa_system_sgpr_workgroup_id_x 1
		.amdhsa_system_sgpr_workgroup_id_y 0
		.amdhsa_system_sgpr_workgroup_id_z 0
		.amdhsa_system_sgpr_workgroup_info 0
		.amdhsa_system_vgpr_workitem_id 0
		.amdhsa_next_free_vgpr 47
		.amdhsa_next_free_sgpr 23
		.amdhsa_reserve_vcc 1
		.amdhsa_float_round_mode_32 0
		.amdhsa_float_round_mode_16_64 0
		.amdhsa_float_denorm_mode_32 3
		.amdhsa_float_denorm_mode_16_64 3
		.amdhsa_dx10_clamp 1
		.amdhsa_ieee_mode 1
		.amdhsa_fp16_overflow 0
		.amdhsa_workgroup_processor_mode 1
		.amdhsa_memory_ordered 1
		.amdhsa_forward_progress 0
		.amdhsa_shared_vgpr_count 0
		.amdhsa_exception_fp_ieee_invalid_op 0
		.amdhsa_exception_fp_denorm_src 0
		.amdhsa_exception_fp_ieee_div_zero 0
		.amdhsa_exception_fp_ieee_overflow 0
		.amdhsa_exception_fp_ieee_underflow 0
		.amdhsa_exception_fp_ieee_inexact 0
		.amdhsa_exception_int_div_zero 0
	.end_amdhsa_kernel
	.section	.text._ZN2at6native12_GLOBAL__N_143distribution_elementwise_grid_stride_kernelImLi2EZZZNS0_9templates4cuda21random_from_to_kernelIPNS_17CUDAGeneratorImplEEEvRNS_18TensorIteratorBaseEmlT_ENKUlvE_clEvENKUlvE6_clEvEUlP25hiprandStatePhilox4_32_10E_ZNS1_27distribution_nullary_kernelIbm15HIP_vector_typeIyLj2EES7_SF_ZZZNS5_IS7_EEvS9_mlSA_ENKSB_clEvENKSC_clEvEUlmE_EEvS9_T2_RKT3_T4_EUlimE_EEvlNS_15PhiloxCudaStateET1_SK_,"axG",@progbits,_ZN2at6native12_GLOBAL__N_143distribution_elementwise_grid_stride_kernelImLi2EZZZNS0_9templates4cuda21random_from_to_kernelIPNS_17CUDAGeneratorImplEEEvRNS_18TensorIteratorBaseEmlT_ENKUlvE_clEvENKUlvE6_clEvEUlP25hiprandStatePhilox4_32_10E_ZNS1_27distribution_nullary_kernelIbm15HIP_vector_typeIyLj2EES7_SF_ZZZNS5_IS7_EEvS9_mlSA_ENKSB_clEvENKSC_clEvEUlmE_EEvS9_T2_RKT3_T4_EUlimE_EEvlNS_15PhiloxCudaStateET1_SK_,comdat
.Lfunc_end28:
	.size	_ZN2at6native12_GLOBAL__N_143distribution_elementwise_grid_stride_kernelImLi2EZZZNS0_9templates4cuda21random_from_to_kernelIPNS_17CUDAGeneratorImplEEEvRNS_18TensorIteratorBaseEmlT_ENKUlvE_clEvENKUlvE6_clEvEUlP25hiprandStatePhilox4_32_10E_ZNS1_27distribution_nullary_kernelIbm15HIP_vector_typeIyLj2EES7_SF_ZZZNS5_IS7_EEvS9_mlSA_ENKSB_clEvENKSC_clEvEUlmE_EEvS9_T2_RKT3_T4_EUlimE_EEvlNS_15PhiloxCudaStateET1_SK_, .Lfunc_end28-_ZN2at6native12_GLOBAL__N_143distribution_elementwise_grid_stride_kernelImLi2EZZZNS0_9templates4cuda21random_from_to_kernelIPNS_17CUDAGeneratorImplEEEvRNS_18TensorIteratorBaseEmlT_ENKUlvE_clEvENKUlvE6_clEvEUlP25hiprandStatePhilox4_32_10E_ZNS1_27distribution_nullary_kernelIbm15HIP_vector_typeIyLj2EES7_SF_ZZZNS5_IS7_EEvS9_mlSA_ENKSB_clEvENKSC_clEvEUlmE_EEvS9_T2_RKT3_T4_EUlimE_EEvlNS_15PhiloxCudaStateET1_SK_
                                        ; -- End function
	.section	.AMDGPU.csdata,"",@progbits
; Kernel info:
; codeLenInByte = 4452
; NumSgprs: 25
; NumVgprs: 47
; ScratchSize: 0
; MemoryBound: 0
; FloatMode: 240
; IeeeMode: 1
; LDSByteSize: 0 bytes/workgroup (compile time only)
; SGPRBlocks: 3
; VGPRBlocks: 5
; NumSGPRsForWavesPerEU: 25
; NumVGPRsForWavesPerEU: 47
; Occupancy: 16
; WaveLimiterHint : 0
; COMPUTE_PGM_RSRC2:SCRATCH_EN: 0
; COMPUTE_PGM_RSRC2:USER_SGPR: 15
; COMPUTE_PGM_RSRC2:TRAP_HANDLER: 0
; COMPUTE_PGM_RSRC2:TGID_X_EN: 1
; COMPUTE_PGM_RSRC2:TGID_Y_EN: 0
; COMPUTE_PGM_RSRC2:TGID_Z_EN: 0
; COMPUTE_PGM_RSRC2:TIDIG_COMP_CNT: 0
	.section	.text._ZN2at6native12_GLOBAL__N_143distribution_elementwise_grid_stride_kernelImLi2EZZZNS0_9templates4cuda21random_from_to_kernelIPNS_17CUDAGeneratorImplEEEvRNS_18TensorIteratorBaseEmlT_ENKUlvE_clEvENKUlvE6_clEvEUlP25hiprandStatePhilox4_32_10E_ZNS1_27distribution_nullary_kernelIbm15HIP_vector_typeIyLj2EES7_SF_ZZZNS5_IS7_EEvS9_mlSA_ENKSB_clEvENKSC_clEvEUlmE_EEvS9_T2_RKT3_T4_EUlimE0_EEvlNS_15PhiloxCudaStateET1_SK_,"axG",@progbits,_ZN2at6native12_GLOBAL__N_143distribution_elementwise_grid_stride_kernelImLi2EZZZNS0_9templates4cuda21random_from_to_kernelIPNS_17CUDAGeneratorImplEEEvRNS_18TensorIteratorBaseEmlT_ENKUlvE_clEvENKUlvE6_clEvEUlP25hiprandStatePhilox4_32_10E_ZNS1_27distribution_nullary_kernelIbm15HIP_vector_typeIyLj2EES7_SF_ZZZNS5_IS7_EEvS9_mlSA_ENKSB_clEvENKSC_clEvEUlmE_EEvS9_T2_RKT3_T4_EUlimE0_EEvlNS_15PhiloxCudaStateET1_SK_,comdat
	.globl	_ZN2at6native12_GLOBAL__N_143distribution_elementwise_grid_stride_kernelImLi2EZZZNS0_9templates4cuda21random_from_to_kernelIPNS_17CUDAGeneratorImplEEEvRNS_18TensorIteratorBaseEmlT_ENKUlvE_clEvENKUlvE6_clEvEUlP25hiprandStatePhilox4_32_10E_ZNS1_27distribution_nullary_kernelIbm15HIP_vector_typeIyLj2EES7_SF_ZZZNS5_IS7_EEvS9_mlSA_ENKSB_clEvENKSC_clEvEUlmE_EEvS9_T2_RKT3_T4_EUlimE0_EEvlNS_15PhiloxCudaStateET1_SK_ ; -- Begin function _ZN2at6native12_GLOBAL__N_143distribution_elementwise_grid_stride_kernelImLi2EZZZNS0_9templates4cuda21random_from_to_kernelIPNS_17CUDAGeneratorImplEEEvRNS_18TensorIteratorBaseEmlT_ENKUlvE_clEvENKUlvE6_clEvEUlP25hiprandStatePhilox4_32_10E_ZNS1_27distribution_nullary_kernelIbm15HIP_vector_typeIyLj2EES7_SF_ZZZNS5_IS7_EEvS9_mlSA_ENKSB_clEvENKSC_clEvEUlmE_EEvS9_T2_RKT3_T4_EUlimE0_EEvlNS_15PhiloxCudaStateET1_SK_
	.p2align	8
	.type	_ZN2at6native12_GLOBAL__N_143distribution_elementwise_grid_stride_kernelImLi2EZZZNS0_9templates4cuda21random_from_to_kernelIPNS_17CUDAGeneratorImplEEEvRNS_18TensorIteratorBaseEmlT_ENKUlvE_clEvENKUlvE6_clEvEUlP25hiprandStatePhilox4_32_10E_ZNS1_27distribution_nullary_kernelIbm15HIP_vector_typeIyLj2EES7_SF_ZZZNS5_IS7_EEvS9_mlSA_ENKSB_clEvENKSC_clEvEUlmE_EEvS9_T2_RKT3_T4_EUlimE0_EEvlNS_15PhiloxCudaStateET1_SK_,@function
_ZN2at6native12_GLOBAL__N_143distribution_elementwise_grid_stride_kernelImLi2EZZZNS0_9templates4cuda21random_from_to_kernelIPNS_17CUDAGeneratorImplEEEvRNS_18TensorIteratorBaseEmlT_ENKUlvE_clEvENKUlvE6_clEvEUlP25hiprandStatePhilox4_32_10E_ZNS1_27distribution_nullary_kernelIbm15HIP_vector_typeIyLj2EES7_SF_ZZZNS5_IS7_EEvS9_mlSA_ENKSB_clEvENKSC_clEvEUlmE_EEvS9_T2_RKT3_T4_EUlimE0_EEvlNS_15PhiloxCudaStateET1_SK_: ; @_ZN2at6native12_GLOBAL__N_143distribution_elementwise_grid_stride_kernelImLi2EZZZNS0_9templates4cuda21random_from_to_kernelIPNS_17CUDAGeneratorImplEEEvRNS_18TensorIteratorBaseEmlT_ENKUlvE_clEvENKUlvE6_clEvEUlP25hiprandStatePhilox4_32_10E_ZNS1_27distribution_nullary_kernelIbm15HIP_vector_typeIyLj2EES7_SF_ZZZNS5_IS7_EEvS9_mlSA_ENKSB_clEvENKSC_clEvEUlmE_EEvS9_T2_RKT3_T4_EUlimE0_EEvlNS_15PhiloxCudaStateET1_SK_
; %bb.0:
	s_clause 0x2
	s_load_b64 s[4:5], s[0:1], 0x10
	s_load_b128 s[16:19], s[0:1], 0x0
	s_load_b32 s2, s[0:1], 0x20
	s_waitcnt lgkmcnt(0)
	v_dual_mov_b32 v2, s4 :: v_dual_mov_b32 v3, s5
	v_dual_mov_b32 v11, s18 :: v_dual_mov_b32 v12, s19
	s_bitcmp0_b32 s2, 0
	s_mov_b32 s2, 0
	s_cbranch_scc1 .LBB29_2
; %bb.1:
	v_dual_mov_b32 v1, s4 :: v_dual_mov_b32 v2, s5
	v_dual_mov_b32 v4, s18 :: v_dual_mov_b32 v5, s19
	s_load_b64 s[4:5], s[0:1], 0x18
	flat_load_b64 v[2:3], v[1:2]
	flat_load_b64 v[11:12], v[4:5]
	s_waitcnt vmcnt(1) lgkmcnt(0)
	v_add_co_u32 v2, vcc_lo, v2, s4
	v_add_co_ci_u32_e32 v3, vcc_lo, s5, v3, vcc_lo
.LBB29_2:
	s_clause 0x1
	s_load_b32 s3, s[0:1], 0x15c
	s_load_b32 s5, s[0:1], 0x150
	s_waitcnt lgkmcnt(0)
	s_and_b32 s4, s3, 0xffff
	s_add_u32 s6, s16, -1
	s_mul_i32 s28, s5, s4
	s_addc_u32 s3, s17, -1
	s_lshl_b32 s29, s28, 1
	s_cmp_lg_u64 s[2:3], 0
	s_cbranch_scc0 .LBB29_57
; %bb.3:
	v_cvt_f32_ubyte0_e32 v1, 0
	v_cvt_f32_u32_e32 v4, s29
	s_sub_u32 s8, 0, s29
	s_subb_u32 s9, 0, 0
	s_delay_alu instid0(VALU_DEP_1) | instskip(NEXT) | instid1(VALU_DEP_1)
	v_fmamk_f32 v1, v1, 0x4f800000, v4
	v_rcp_f32_e32 v1, v1
	s_waitcnt_depctr 0xfff
	v_mul_f32_e32 v1, 0x5f7ffffc, v1
	s_delay_alu instid0(VALU_DEP_1) | instskip(NEXT) | instid1(VALU_DEP_1)
	v_mul_f32_e32 v4, 0x2f800000, v1
	v_trunc_f32_e32 v4, v4
	s_delay_alu instid0(VALU_DEP_1) | instskip(SKIP_1) | instid1(VALU_DEP_2)
	v_fmamk_f32 v1, v4, 0xcf800000, v1
	v_cvt_u32_f32_e32 v4, v4
	v_cvt_u32_f32_e32 v1, v1
	s_delay_alu instid0(VALU_DEP_2) | instskip(NEXT) | instid1(VALU_DEP_2)
	v_readfirstlane_b32 s2, v4
	v_readfirstlane_b32 s7, v1
	s_delay_alu instid0(VALU_DEP_2) | instskip(NEXT) | instid1(VALU_DEP_1)
	s_mul_i32 s10, s8, s2
	s_mul_hi_u32 s12, s8, s7
	s_mul_i32 s11, s9, s7
	s_add_i32 s10, s12, s10
	s_mul_i32 s13, s8, s7
	s_add_i32 s10, s10, s11
	s_mul_hi_u32 s12, s7, s13
	s_mul_hi_u32 s14, s2, s13
	s_mul_i32 s11, s2, s13
	s_mul_hi_u32 s13, s7, s10
	s_mul_i32 s7, s7, s10
	s_mul_hi_u32 s18, s2, s10
	s_add_u32 s7, s12, s7
	s_addc_u32 s12, 0, s13
	s_add_u32 s7, s7, s11
	s_mul_i32 s10, s2, s10
	s_addc_u32 s7, s12, s14
	s_addc_u32 s11, s18, 0
	s_add_u32 s7, s7, s10
	s_addc_u32 s10, 0, s11
	v_add_co_u32 v1, s7, v1, s7
	s_delay_alu instid0(VALU_DEP_1) | instskip(SKIP_1) | instid1(VALU_DEP_1)
	s_cmp_lg_u32 s7, 0
	s_addc_u32 s2, s2, s10
	v_readfirstlane_b32 s7, v1
	s_mul_i32 s10, s8, s2
	s_delay_alu instid0(VALU_DEP_1)
	s_mul_hi_u32 s11, s8, s7
	s_mul_i32 s9, s9, s7
	s_add_i32 s10, s11, s10
	s_mul_i32 s8, s8, s7
	s_add_i32 s10, s10, s9
	s_mul_hi_u32 s11, s2, s8
	s_mul_i32 s12, s2, s8
	s_mul_hi_u32 s8, s7, s8
	s_mul_hi_u32 s13, s7, s10
	s_mul_i32 s7, s7, s10
	s_mul_hi_u32 s9, s2, s10
	s_add_u32 s7, s8, s7
	s_addc_u32 s8, 0, s13
	s_add_u32 s7, s7, s12
	s_mul_i32 s10, s2, s10
	s_addc_u32 s7, s8, s11
	s_addc_u32 s8, s9, 0
	s_add_u32 s7, s7, s10
	s_addc_u32 s8, 0, s8
	v_add_co_u32 v1, s7, v1, s7
	s_delay_alu instid0(VALU_DEP_1) | instskip(SKIP_2) | instid1(VALU_DEP_1)
	s_cmp_lg_u32 s7, 0
	s_addc_u32 s7, s2, s8
	s_ashr_i32 s8, s3, 31
	v_readfirstlane_b32 s10, v1
	s_add_u32 s2, s6, s8
	s_mov_b32 s9, s8
	s_addc_u32 s3, s3, s8
	s_delay_alu instid0(SALU_CYCLE_1) | instskip(NEXT) | instid1(SALU_CYCLE_1)
	s_xor_b64 s[2:3], s[2:3], s[8:9]
	s_mul_i32 s12, s2, s7
	s_mul_hi_u32 s13, s2, s10
	s_mul_hi_u32 s11, s2, s7
	;; [unrolled: 1-line block ×3, first 2 shown]
	s_mul_i32 s10, s3, s10
	s_add_u32 s12, s13, s12
	s_addc_u32 s11, 0, s11
	s_mul_hi_u32 s14, s3, s7
	s_add_u32 s10, s12, s10
	s_mul_i32 s7, s3, s7
	s_addc_u32 s10, s11, s18
	s_addc_u32 s11, s14, 0
	s_add_u32 s7, s10, s7
	s_addc_u32 s10, 0, s11
	s_mul_i32 s12, s29, s7
	s_add_u32 s11, s7, 1
	v_sub_co_u32 v1, s2, s2, s12
	s_mul_hi_u32 s12, s29, s7
	s_addc_u32 s13, s10, 0
	s_mul_i32 s14, s29, s10
	s_delay_alu instid0(VALU_DEP_1)
	v_sub_co_u32 v4, s18, v1, s29
	s_add_u32 s19, s7, 2
	s_addc_u32 s20, s10, 0
	s_add_i32 s12, s12, s14
	s_cmp_lg_u32 s2, 0
	v_readfirstlane_b32 s2, v4
	s_subb_u32 s3, s3, s12
	s_cmp_lg_u32 s18, 0
	s_subb_u32 s12, s3, 0
	s_delay_alu instid0(VALU_DEP_1) | instskip(SKIP_4) | instid1(SALU_CYCLE_1)
	s_cmp_ge_u32 s2, s29
	s_cselect_b32 s2, -1, 0
	s_cmp_eq_u32 s12, 0
	v_readfirstlane_b32 s12, v1
	s_cselect_b32 s2, s2, -1
	s_cmp_lg_u32 s2, 0
	s_cselect_b32 s2, s19, s11
	s_cselect_b32 s11, s20, s13
	s_cmp_ge_u32 s12, s29
	s_cselect_b32 s12, -1, 0
	s_cmp_eq_u32 s3, 0
	s_cselect_b32 s3, s12, -1
	s_delay_alu instid0(SALU_CYCLE_1) | instskip(SKIP_2) | instid1(SALU_CYCLE_1)
	s_cmp_lg_u32 s3, 0
	s_cselect_b32 s3, s11, s10
	s_cselect_b32 s2, s2, s7
	s_xor_b64 s[2:3], s[2:3], s[8:9]
	s_delay_alu instid0(SALU_CYCLE_1)
	s_sub_u32 s2, s2, s8
	s_subb_u32 s3, s3, s8
	s_cbranch_execnz .LBB29_5
.LBB29_4:
	v_cvt_f32_u32_e32 v1, s29
	s_sub_i32 s3, 0, s29
	s_delay_alu instid0(VALU_DEP_1) | instskip(SKIP_2) | instid1(VALU_DEP_1)
	v_rcp_iflag_f32_e32 v1, v1
	s_waitcnt_depctr 0xfff
	v_mul_f32_e32 v1, 0x4f7ffffe, v1
	v_cvt_u32_f32_e32 v1, v1
	s_delay_alu instid0(VALU_DEP_1) | instskip(NEXT) | instid1(VALU_DEP_1)
	v_readfirstlane_b32 s2, v1
	s_mul_i32 s3, s3, s2
	s_delay_alu instid0(SALU_CYCLE_1) | instskip(NEXT) | instid1(SALU_CYCLE_1)
	s_mul_hi_u32 s3, s2, s3
	s_add_i32 s2, s2, s3
	s_delay_alu instid0(SALU_CYCLE_1) | instskip(NEXT) | instid1(SALU_CYCLE_1)
	s_mul_hi_u32 s2, s6, s2
	s_mul_i32 s3, s2, s29
	s_delay_alu instid0(SALU_CYCLE_1)
	s_sub_i32 s3, s6, s3
	s_add_i32 s6, s2, 1
	s_sub_i32 s7, s3, s29
	s_cmp_ge_u32 s3, s29
	s_cselect_b32 s2, s6, s2
	s_cselect_b32 s3, s7, s3
	s_add_i32 s6, s2, 1
	s_cmp_ge_u32 s3, s29
	s_mov_b32 s3, 0
	s_cselect_b32 s2, s6, s2
.LBB29_5:
	v_mov_b32_e32 v13, 0
	s_add_u32 s2, s2, 1
	s_addc_u32 s3, s3, 0
	s_mul_hi_u32 s5, s5, s4
	s_mul_hi_u32 s6, s28, s2
	v_mov_b32_e32 v1, v13
	s_mul_i32 s3, s28, s3
	s_mul_i32 s5, s5, s2
	s_add_i32 s3, s6, s3
	s_mul_i32 s2, s28, s2
	v_mad_u64_u32 v[15:16], null, s4, s15, v[0:1]
	s_add_i32 s3, s3, s5
	s_mov_b32 s4, exec_lo
	s_lshl_b64 s[2:3], s[2:3], 1
	s_delay_alu instid0(VALU_DEP_1) | instid1(SALU_CYCLE_1)
	v_cmpx_gt_i64_e64 s[2:3], v[15:16]
	s_cbranch_execz .LBB29_56
; %bb.6:
	v_alignbit_b32 v19, v3, v2, 2
	v_mad_u64_u32 v[4:5], null, 0xcd9e8d57, v15, 0
	v_lshrrev_b32_e32 v20, 2, v3
	s_waitcnt vmcnt(0)
	v_dual_mov_b32 v9, v12 :: v_dual_add_nc_u32 v28, 0x8ff34781, v11
	v_mad_u64_u32 v[0:1], null, 0xd2511f53, v19, 0
	v_add_co_u32 v22, null, 0x9e3779b9, v11
	v_xor3_b32 v3, v11, v5, v20
	s_delay_alu instid0(VALU_DEP_4) | instskip(SKIP_2) | instid1(VALU_DEP_4)
	v_add_co_u32 v21, null, 0xbb67ae85, v9
	v_add_co_u32 v23, null, 0x3c6ef372, v11
	v_xor_b32_e32 v1, v1, v12
	v_mad_u64_u32 v[5:6], null, 0xd2511f53, v3, 0
	v_add_co_u32 v24, null, 0x76cf5d0a, v9
	s_delay_alu instid0(VALU_DEP_3) | instskip(SKIP_2) | instid1(VALU_DEP_3)
	v_xor_b32_e32 v1, v1, v16
	v_add_co_u32 v25, null, 0x32370b8f, v9
	v_add_co_u32 v26, null, 0xdaa66d2b, v11
	v_mad_u64_u32 v[7:8], null, 0xcd9e8d57, v1, 0
	v_xor3_b32 v3, v21, v6, v0
	v_dual_mov_b32 v40, v15 :: v_dual_and_b32 v27, 3, v2
	v_add_co_u32 v29, null, 0x78dde6e4, v11
	s_delay_alu instid0(VALU_DEP_3) | instskip(SKIP_3) | instid1(VALU_DEP_3)
	v_mad_u64_u32 v[0:1], null, 0xcd9e8d57, v3, 0
	v_xor3_b32 v6, v22, v8, v4
	v_add_co_u32 v30, null, 0xed9eba14, v9
	v_add_co_u32 v32, null, 0x1715609d, v11
	v_mad_u64_u32 v[3:4], null, 0xd2511f53, v6, 0
	v_xor3_b32 v1, v23, v1, v7
	v_add_co_u32 v33, null, 0xa9066899, v9
	v_add_co_u32 v34, null, 0xb54cda56, v11
	;; [unrolled: 1-line block ×3, first 2 shown]
	v_xor3_b32 v8, v24, v4, v5
	v_mad_u64_u32 v[4:5], null, 0xd2511f53, v1, 0
	s_load_b256 s[4:11], s[0:1], 0x30
	v_add_co_u32 v31, null, 0x5384540f, v11
	s_delay_alu instid0(VALU_DEP_3) | instskip(SKIP_1) | instid1(VALU_DEP_4)
	v_mad_u64_u32 v[6:7], null, 0xcd9e8d57, v8, 0
	v_add_co_u32 v37, null, 0x1fd5c5a3, v9
	v_xor3_b32 v2, v25, v5, v3
	s_load_b64 s[24:25], s[0:1], 0x148
	v_add_co_u32 v35, null, 0xf1bbcdc8, v11
	s_delay_alu instid0(VALU_DEP_4) | instskip(NEXT) | instid1(VALU_DEP_3)
	v_xor3_b32 v5, v26, v7, v0
	v_mad_u64_u32 v[0:1], null, 0xcd9e8d57, v2, 0
	v_add_co_u32 v38, null, 0xdb3d7428, v9
	s_delay_alu instid0(VALU_DEP_3) | instskip(SKIP_2) | instid1(VALU_DEP_3)
	v_mad_u64_u32 v[2:3], null, 0xd2511f53, v5, 0
	s_add_u32 s18, s0, 48
	s_addc_u32 s19, s1, 0
	v_xor3_b32 v1, v29, v1, v6
	s_waitcnt lgkmcnt(0)
	s_add_i32 s26, s4, -1
	s_clause 0x1
	s_load_b64 s[20:21], s[0:1], 0xf4
	s_load_b128 s[12:15], s[0:1], 0x138
	s_cmp_gt_u32 s26, 1
	v_xor3_b32 v7, v30, v3, v4
	v_mad_u64_u32 v[3:4], null, 0xd2511f53, v1, 0
	s_cselect_b32 s11, -1, 0
	s_cmp_lg_u32 s4, 0
	s_delay_alu instid0(VALU_DEP_2) | instskip(SKIP_2) | instid1(VALU_DEP_2)
	v_mad_u64_u32 v[5:6], null, 0xcd9e8d57, v7, 0
	s_cselect_b32 s31, -1, 0
	s_add_u32 s22, s0, 0xf4
	v_xor3_b32 v2, v33, v4, v2
	s_addc_u32 s23, s1, 0
	s_min_u32 s0, s26, 15
	s_cmp_gt_u32 s4, 1
	s_delay_alu instid0(VALU_DEP_2) | instskip(SKIP_3) | instid1(VALU_DEP_2)
	v_xor3_b32 v4, v32, v6, v0
	v_mad_u64_u32 v[0:1], null, 0xcd9e8d57, v2, 0
	s_cselect_b32 s4, -1, 0
	s_sub_u32 s24, 0, s24
	v_mad_u64_u32 v[6:7], null, 0xd2511f53, v4, 0
	s_subb_u32 s25, 0, s25
	s_add_i32 s0, s0, 1
	s_delay_alu instid0(VALU_DEP_2) | instskip(SKIP_3) | instid1(VALU_DEP_3)
	v_xor3_b32 v4, v34, v1, v5
	v_add_nc_u32_e32 v39, 0x96a522ad, v12
	s_and_b32 s33, s0, 3
	s_cmp_lg_u32 s26, 2
	v_xor3_b32 v5, v36, v7, v3
	v_mad_u64_u32 v[1:2], null, 0xd2511f53, v4, 0
	s_cselect_b32 s34, -1, 0
	s_and_b32 s35, s0, 28
	s_delay_alu instid0(VALU_DEP_2) | instskip(SKIP_2) | instid1(VALU_DEP_3)
	v_mad_u64_u32 v[3:4], null, 0xcd9e8d57, v5, 0
	v_mov_b32_e32 v41, v16
	s_cmp_lg_u32 s33, 0
	v_xor3_b32 v2, v37, v2, v6
	s_mov_b32 s30, 0
	s_cselect_b32 s36, -1, 0
	s_delay_alu instid0(VALU_DEP_3) | instskip(NEXT) | instid1(VALU_DEP_2)
	v_xor3_b32 v0, v31, v4, v0
	v_mad_u64_u32 v[4:5], null, 0xcd9e8d57, v2, 0
	s_delay_alu instid0(VALU_DEP_2) | instskip(NEXT) | instid1(VALU_DEP_2)
	v_mad_u64_u32 v[6:7], null, 0xd2511f53, v0, 0
	v_xor3_b32 v0, v35, v5, v3
	s_delay_alu instid0(VALU_DEP_2) | instskip(NEXT) | instid1(VALU_DEP_2)
	v_xor3_b32 v3, v38, v7, v1
	v_mad_u64_u32 v[7:8], null, 0xd2511f53, v0, 0
	s_delay_alu instid0(VALU_DEP_2) | instskip(NEXT) | instid1(VALU_DEP_2)
	v_mad_u64_u32 v[1:2], null, 0xcd9e8d57, v3, 0
	v_mov_b32_e32 v3, v7
	s_delay_alu instid0(VALU_DEP_2) | instskip(NEXT) | instid1(VALU_DEP_4)
	v_xor3_b32 v0, v2, v4, v28
	v_xor3_b32 v2, v8, v6, v39
	s_branch .LBB29_9
.LBB29_7:                               ;   in Loop: Header=BB29_9 Depth=1
	s_or_b32 exec_lo, exec_lo, s0
	s_delay_alu instid0(VALU_DEP_1)
	v_cmp_ne_u64_e32 vcc_lo, s[24:25], v[8:9]
	v_cndmask_b32_e64 v0, 0, 1, vcc_lo
	global_store_b8 v7, v0, s[12:13]
.LBB29_8:                               ;   in Loop: Header=BB29_9 Depth=1
	s_or_b32 exec_lo, exec_lo, s37
	v_add_co_u32 v15, vcc_lo, v15, s29
	v_add_co_ci_u32_e32 v16, vcc_lo, 0, v16, vcc_lo
	v_mov_b32_e32 v7, v17
	v_dual_mov_b32 v0, v4 :: v_dual_mov_b32 v1, v5
	s_delay_alu instid0(VALU_DEP_3) | instskip(NEXT) | instid1(VALU_DEP_3)
	v_cmp_le_i64_e32 vcc_lo, s[2:3], v[15:16]
	v_dual_mov_b32 v2, v6 :: v_dual_mov_b32 v3, v7
	s_waitcnt lgkmcnt(0)
	s_waitcnt_vscnt null, 0x0
	s_barrier
	buffer_gl0_inv
	s_or_b32 s30, vcc_lo, s30
	s_delay_alu instid0(SALU_CYCLE_1)
	s_and_not1_b32 exec_lo, exec_lo, s30
	s_cbranch_execz .LBB29_56
.LBB29_9:                               ; =>This Loop Header: Depth=1
                                        ;     Child Loop BB29_24 Depth 2
                                        ;     Child Loop BB29_29 Depth 2
	;; [unrolled: 1-line block ×4, first 2 shown]
	v_add_co_u32 v19, vcc_lo, v19, 1
	s_delay_alu instid0(VALU_DEP_1) | instskip(SKIP_2) | instid1(VALU_DEP_1)
	v_cndmask_b32_e64 v4, 0, 1, vcc_lo
	v_add_co_ci_u32_e32 v20, vcc_lo, 0, v20, vcc_lo
	s_mov_b32 s0, exec_lo
	v_cmp_eq_u32_e32 vcc_lo, 0, v20
	s_delay_alu instid0(VALU_DEP_3) | instskip(NEXT) | instid1(VALU_DEP_1)
	v_cndmask_b32_e32 v4, 0, v4, vcc_lo
	v_add_nc_u32_e32 v40, v4, v40
	s_delay_alu instid0(VALU_DEP_1) | instskip(SKIP_2) | instid1(VALU_DEP_2)
	v_cmp_eq_u32_e32 vcc_lo, 0, v40
	v_mad_u64_u32 v[6:7], null, 0xcd9e8d57, v40, 0
	v_cndmask_b32_e32 v4, 0, v4, vcc_lo
	v_xor3_b32 v9, v7, v11, v20
	s_delay_alu instid0(VALU_DEP_2) | instskip(SKIP_1) | instid1(VALU_DEP_3)
	v_add_nc_u32_e32 v41, v4, v41
	v_mad_u64_u32 v[4:5], null, 0xd2511f53, v19, 0
	v_mad_u64_u32 v[7:8], null, 0xd2511f53, v9, 0
	s_delay_alu instid0(VALU_DEP_2) | instskip(NEXT) | instid1(VALU_DEP_2)
	v_xor_b32_e32 v5, v5, v12
	v_xor3_b32 v8, v21, v8, v4
	s_delay_alu instid0(VALU_DEP_2) | instskip(NEXT) | instid1(VALU_DEP_1)
	v_xor_b32_e32 v5, v41, v5
	v_mad_u64_u32 v[9:10], null, 0xcd9e8d57, v5, 0
	s_delay_alu instid0(VALU_DEP_3) | instskip(NEXT) | instid1(VALU_DEP_2)
	v_mad_u64_u32 v[4:5], null, 0xcd9e8d57, v8, 0
	v_xor3_b32 v6, v22, v10, v6
	s_delay_alu instid0(VALU_DEP_2) | instskip(NEXT) | instid1(VALU_DEP_2)
	v_xor3_b32 v8, v23, v5, v9
	v_mad_u64_u32 v[17:18], null, 0xd2511f53, v6, 0
	s_delay_alu instid0(VALU_DEP_2) | instskip(NEXT) | instid1(VALU_DEP_2)
	v_mad_u64_u32 v[5:6], null, 0xd2511f53, v8, 0
	v_xor3_b32 v9, v24, v18, v7
	s_delay_alu instid0(VALU_DEP_2) | instskip(NEXT) | instid1(VALU_DEP_2)
	v_xor3_b32 v6, v25, v6, v17
	v_mad_u64_u32 v[7:8], null, 0xcd9e8d57, v9, 0
	s_delay_alu instid0(VALU_DEP_1) | instskip(NEXT) | instid1(VALU_DEP_3)
	v_xor3_b32 v4, v26, v8, v4
	v_mad_u64_u32 v[8:9], null, 0xcd9e8d57, v6, 0
	s_delay_alu instid0(VALU_DEP_2) | instskip(NEXT) | instid1(VALU_DEP_2)
	v_mad_u64_u32 v[17:18], null, 0xd2511f53, v4, 0
	v_xor3_b32 v6, v29, v9, v7
	s_delay_alu instid0(VALU_DEP_2) | instskip(NEXT) | instid1(VALU_DEP_2)
	v_xor3_b32 v9, v30, v18, v5
	v_mad_u64_u32 v[4:5], null, 0xd2511f53, v6, 0
	s_delay_alu instid0(VALU_DEP_2) | instskip(NEXT) | instid1(VALU_DEP_2)
	v_mad_u64_u32 v[6:7], null, 0xcd9e8d57, v9, 0
	v_xor3_b32 v5, v33, v5, v17
	s_delay_alu instid0(VALU_DEP_2) | instskip(NEXT) | instid1(VALU_DEP_2)
	;; [unrolled: 6-line block ×6, first 2 shown]
	v_xor3_b32 v4, v6, v7, v28
	v_mov_b32_e32 v6, v10
	v_cmpx_lt_i32_e32 1, v27
	s_xor_b32 s0, exec_lo, s0
	s_cbranch_execnz .LBB29_12
; %bb.10:                               ;   in Loop: Header=BB29_9 Depth=1
	s_and_not1_saveexec_b32 s0, s0
	s_cbranch_execnz .LBB29_17
.LBB29_11:                              ;   in Loop: Header=BB29_9 Depth=1
	s_or_b32 exec_lo, exec_lo, s0
	s_delay_alu instid0(SALU_CYCLE_1)
	s_mov_b32 s37, exec_lo
	v_cmpx_gt_i64_e64 s[16:17], v[15:16]
	s_cbranch_execnz .LBB29_20
	s_branch .LBB29_38
.LBB29_12:                              ;   in Loop: Header=BB29_9 Depth=1
	s_mov_b32 s1, exec_lo
	v_cmpx_lt_i32_e32 2, v27
	s_xor_b32 s1, exec_lo, s1
; %bb.13:                               ;   in Loop: Header=BB29_9 Depth=1
	v_dual_mov_b32 v7, v3 :: v_dual_mov_b32 v8, v4
	v_mov_b32_e32 v9, v5
	s_delay_alu instid0(VALU_DEP_2) | instskip(NEXT) | instid1(VALU_DEP_2)
	v_dual_mov_b32 v0, v7 :: v_dual_mov_b32 v1, v8
	v_dual_mov_b32 v2, v9 :: v_dual_mov_b32 v3, v10
; %bb.14:                               ;   in Loop: Header=BB29_9 Depth=1
	s_and_not1_saveexec_b32 s1, s1
; %bb.15:                               ;   in Loop: Header=BB29_9 Depth=1
	s_delay_alu instid0(VALU_DEP_1)
	v_dual_mov_b32 v0, v2 :: v_dual_mov_b32 v1, v3
	v_dual_mov_b32 v2, v4 :: v_dual_mov_b32 v3, v5
; %bb.16:                               ;   in Loop: Header=BB29_9 Depth=1
	s_or_b32 exec_lo, exec_lo, s1
	s_and_not1_saveexec_b32 s0, s0
	s_cbranch_execz .LBB29_11
.LBB29_17:                              ;   in Loop: Header=BB29_9 Depth=1
	s_mov_b32 s1, exec_lo
	v_cmpx_eq_u32_e32 1, v27
; %bb.18:                               ;   in Loop: Header=BB29_9 Depth=1
	v_dual_mov_b32 v0, v1 :: v_dual_mov_b32 v1, v2
	v_dual_mov_b32 v2, v3 :: v_dual_mov_b32 v3, v4
; %bb.19:                               ;   in Loop: Header=BB29_9 Depth=1
	s_or_b32 exec_lo, exec_lo, s1
	s_delay_alu instid0(SALU_CYCLE_1) | instskip(NEXT) | instid1(SALU_CYCLE_1)
	s_or_b32 exec_lo, exec_lo, s0
	s_mov_b32 s37, exec_lo
	v_cmpx_gt_i64_e64 s[16:17], v[15:16]
	s_cbranch_execz .LBB29_38
.LBB29_20:                              ;   in Loop: Header=BB29_9 Depth=1
	s_and_not1_b32 vcc_lo, exec_lo, s11
	s_cbranch_vccnz .LBB29_26
; %bb.21:                               ;   in Loop: Header=BB29_9 Depth=1
	v_mov_b32_e32 v7, 0
	s_and_not1_b32 vcc_lo, exec_lo, s31
	s_cbranch_vccnz .LBB29_30
; %bb.22:                               ;   in Loop: Header=BB29_9 Depth=1
	s_and_not1_b32 vcc_lo, exec_lo, s34
	s_mov_b32 s0, 0
	s_cbranch_vccnz .LBB29_27
; %bb.23:                               ;   in Loop: Header=BB29_9 Depth=1
	v_dual_mov_b32 v7, 0 :: v_dual_mov_b32 v8, v15
	s_mov_b32 s38, 0
	s_mov_b64 s[0:1], s[18:19]
	s_mov_b64 s[26:27], s[22:23]
.LBB29_24:                              ;   Parent Loop BB29_9 Depth=1
                                        ; =>  This Inner Loop Header: Depth=2
	s_clause 0x1
	s_load_b256 s[40:47], s[0:1], 0x4
	s_load_b128 s[48:51], s[0:1], 0x24
	s_load_b128 s[52:55], s[26:27], 0x0
	s_add_u32 s0, s0, 48
	s_addc_u32 s1, s1, 0
	s_add_i32 s38, s38, 4
	s_add_u32 s26, s26, 16
	s_addc_u32 s27, s27, 0
	s_cmp_lg_u32 s35, s38
	s_waitcnt lgkmcnt(0)
	v_mul_hi_u32 v9, s41, v8
	s_delay_alu instid0(VALU_DEP_1) | instskip(NEXT) | instid1(VALU_DEP_1)
	v_add_nc_u32_e32 v9, v8, v9
	v_lshrrev_b32_e32 v9, s42, v9
	s_delay_alu instid0(VALU_DEP_1) | instskip(SKIP_1) | instid1(VALU_DEP_2)
	v_mul_hi_u32 v10, s44, v9
	v_mul_lo_u32 v42, v9, s40
	v_add_nc_u32_e32 v10, v9, v10
	s_delay_alu instid0(VALU_DEP_2) | instskip(NEXT) | instid1(VALU_DEP_2)
	v_sub_nc_u32_e32 v42, v8, v42
	v_lshrrev_b32_e32 v10, s45, v10
	s_delay_alu instid0(VALU_DEP_2) | instskip(NEXT) | instid1(VALU_DEP_2)
	v_mul_lo_u32 v42, v42, s52
	v_mul_hi_u32 v14, s47, v10
	v_mul_lo_u32 v43, v10, s43
	s_delay_alu instid0(VALU_DEP_2) | instskip(NEXT) | instid1(VALU_DEP_2)
	v_add_nc_u32_e32 v14, v10, v14
	v_sub_nc_u32_e32 v9, v9, v43
	s_delay_alu instid0(VALU_DEP_2) | instskip(NEXT) | instid1(VALU_DEP_2)
	v_lshrrev_b32_e32 v14, s48, v14
	v_mul_lo_u32 v9, v9, s53
	s_delay_alu instid0(VALU_DEP_2) | instskip(NEXT) | instid1(VALU_DEP_2)
	v_mul_hi_u32 v18, s50, v14
	v_add3_u32 v7, v42, v7, v9
	s_delay_alu instid0(VALU_DEP_2) | instskip(NEXT) | instid1(VALU_DEP_1)
	v_add_nc_u32_e32 v18, v14, v18
	v_lshrrev_b32_e32 v8, s51, v18
	v_mul_lo_u32 v18, v14, s46
	s_delay_alu instid0(VALU_DEP_2) | instskip(NEXT) | instid1(VALU_DEP_2)
	v_mul_lo_u32 v44, v8, s49
	v_sub_nc_u32_e32 v10, v10, v18
	s_delay_alu instid0(VALU_DEP_2) | instskip(NEXT) | instid1(VALU_DEP_2)
	v_sub_nc_u32_e32 v14, v14, v44
	v_mul_lo_u32 v10, v10, s54
	s_delay_alu instid0(VALU_DEP_2) | instskip(NEXT) | instid1(VALU_DEP_1)
	v_mul_lo_u32 v14, v14, s55
	v_add3_u32 v7, v10, v7, v14
	s_cbranch_scc1 .LBB29_24
; %bb.25:                               ;   in Loop: Header=BB29_9 Depth=1
	s_mov_b32 s0, s35
	s_and_not1_b32 vcc_lo, exec_lo, s36
	s_cbranch_vccz .LBB29_28
	s_branch .LBB29_30
.LBB29_26:                              ;   in Loop: Header=BB29_9 Depth=1
                                        ; implicit-def: $vgpr7
	s_branch .LBB29_31
.LBB29_27:                              ;   in Loop: Header=BB29_9 Depth=1
	v_mov_b32_e32 v8, v15
	s_and_not1_b32 vcc_lo, exec_lo, s36
	s_cbranch_vccnz .LBB29_30
.LBB29_28:                              ;   in Loop: Header=BB29_9 Depth=1
	s_lshl_b32 s1, s0, 2
	s_mul_i32 s26, s0, 12
	s_add_u32 s0, s22, s1
	s_addc_u32 s1, s23, 0
	s_add_u32 s26, s18, s26
	s_addc_u32 s27, s19, 0
	s_mov_b32 s38, s33
	.p2align	6
.LBB29_29:                              ;   Parent Loop BB29_9 Depth=1
                                        ; =>  This Inner Loop Header: Depth=2
	s_clause 0x1
	s_load_b64 s[40:41], s[26:27], 0x4
	s_load_b32 s39, s[26:27], 0xc
	s_add_u32 s26, s26, 12
	s_addc_u32 s27, s27, 0
	s_waitcnt lgkmcnt(0)
	v_mul_hi_u32 v9, s41, v8
	s_load_b32 s41, s[0:1], 0x0
	s_add_u32 s0, s0, 4
	s_addc_u32 s1, s1, 0
	s_add_i32 s38, s38, -1
	s_delay_alu instid0(SALU_CYCLE_1) | instskip(NEXT) | instid1(VALU_DEP_1)
	s_cmp_lg_u32 s38, 0
	v_add_nc_u32_e32 v9, v8, v9
	s_delay_alu instid0(VALU_DEP_1) | instskip(NEXT) | instid1(VALU_DEP_1)
	v_lshrrev_b32_e32 v14, s39, v9
	v_mul_lo_u32 v9, v14, s40
	s_delay_alu instid0(VALU_DEP_1) | instskip(SKIP_1) | instid1(VALU_DEP_1)
	v_sub_nc_u32_e32 v8, v8, v9
	s_waitcnt lgkmcnt(0)
	v_mad_u64_u32 v[9:10], null, v8, s41, v[7:8]
	s_delay_alu instid0(VALU_DEP_1)
	v_dual_mov_b32 v8, v14 :: v_dual_mov_b32 v7, v9
	s_cbranch_scc1 .LBB29_29
.LBB29_30:                              ;   in Loop: Header=BB29_9 Depth=1
	s_cbranch_execnz .LBB29_33
.LBB29_31:                              ;   in Loop: Header=BB29_9 Depth=1
	v_mul_hi_u32 v7, v15, s6
	s_and_not1_b32 vcc_lo, exec_lo, s4
	s_delay_alu instid0(VALU_DEP_1) | instskip(NEXT) | instid1(VALU_DEP_1)
	v_add_nc_u32_e32 v7, v7, v15
	v_lshrrev_b32_e32 v8, s7, v7
	s_delay_alu instid0(VALU_DEP_1) | instskip(NEXT) | instid1(VALU_DEP_1)
	v_mul_lo_u32 v7, v8, s5
	v_sub_nc_u32_e32 v7, v15, v7
	s_waitcnt lgkmcnt(0)
	s_delay_alu instid0(VALU_DEP_1)
	v_mul_lo_u32 v7, v7, s20
	s_cbranch_vccnz .LBB29_33
; %bb.32:                               ;   in Loop: Header=BB29_9 Depth=1
	v_mul_hi_u32 v9, s9, v8
	s_delay_alu instid0(VALU_DEP_1) | instskip(NEXT) | instid1(VALU_DEP_1)
	v_add_nc_u32_e32 v9, v8, v9
	v_lshrrev_b32_e32 v9, s10, v9
	s_delay_alu instid0(VALU_DEP_1) | instskip(NEXT) | instid1(VALU_DEP_1)
	v_mul_lo_u32 v9, v9, s8
	v_sub_nc_u32_e32 v10, v8, v9
	s_delay_alu instid0(VALU_DEP_1) | instskip(NEXT) | instid1(VALU_DEP_1)
	v_mad_u64_u32 v[8:9], null, v10, s21, v[7:8]
	v_mov_b32_e32 v7, v8
.LBB29_33:                              ;   in Loop: Header=BB29_9 Depth=1
	s_waitcnt lgkmcnt(0)
	v_or_b32_e32 v14, s15, v0
                                        ; implicit-def: $vgpr8_vgpr9
	s_mov_b32 s0, exec_lo
	s_delay_alu instid0(VALU_DEP_1)
	v_cmpx_ne_u64_e32 0, v[13:14]
	s_xor_b32 s1, exec_lo, s0
	s_cbranch_execz .LBB29_35
; %bb.34:                               ;   in Loop: Header=BB29_9 Depth=1
	v_cvt_f32_u32_e32 v8, s14
	v_cvt_f32_u32_e32 v9, s15
	s_sub_u32 s0, 0, s14
	s_subb_u32 s26, 0, s15
	s_delay_alu instid0(VALU_DEP_1) | instskip(NEXT) | instid1(VALU_DEP_1)
	v_fmac_f32_e32 v8, 0x4f800000, v9
	v_rcp_f32_e32 v8, v8
	s_waitcnt_depctr 0xfff
	v_mul_f32_e32 v8, 0x5f7ffffc, v8
	s_delay_alu instid0(VALU_DEP_1) | instskip(NEXT) | instid1(VALU_DEP_1)
	v_mul_f32_e32 v9, 0x2f800000, v8
	v_trunc_f32_e32 v9, v9
	s_delay_alu instid0(VALU_DEP_1) | instskip(SKIP_1) | instid1(VALU_DEP_2)
	v_fmac_f32_e32 v8, 0xcf800000, v9
	v_cvt_u32_f32_e32 v9, v9
	v_cvt_u32_f32_e32 v8, v8
	s_delay_alu instid0(VALU_DEP_2) | instskip(NEXT) | instid1(VALU_DEP_2)
	v_mul_lo_u32 v10, s0, v9
	v_mul_hi_u32 v14, s0, v8
	v_mul_lo_u32 v18, s26, v8
	s_delay_alu instid0(VALU_DEP_2) | instskip(SKIP_1) | instid1(VALU_DEP_2)
	v_add_nc_u32_e32 v10, v14, v10
	v_mul_lo_u32 v14, s0, v8
	v_add_nc_u32_e32 v10, v10, v18
	s_delay_alu instid0(VALU_DEP_2) | instskip(NEXT) | instid1(VALU_DEP_2)
	v_mul_hi_u32 v18, v8, v14
	v_mul_lo_u32 v42, v8, v10
	v_mul_hi_u32 v43, v8, v10
	v_mul_hi_u32 v44, v9, v14
	v_mul_lo_u32 v14, v9, v14
	v_mul_hi_u32 v45, v9, v10
	v_mul_lo_u32 v10, v9, v10
	v_add_co_u32 v18, vcc_lo, v18, v42
	v_add_co_ci_u32_e32 v42, vcc_lo, 0, v43, vcc_lo
	s_delay_alu instid0(VALU_DEP_2) | instskip(NEXT) | instid1(VALU_DEP_2)
	v_add_co_u32 v14, vcc_lo, v18, v14
	v_add_co_ci_u32_e32 v14, vcc_lo, v42, v44, vcc_lo
	v_add_co_ci_u32_e32 v18, vcc_lo, 0, v45, vcc_lo
	s_delay_alu instid0(VALU_DEP_2) | instskip(NEXT) | instid1(VALU_DEP_2)
	v_add_co_u32 v10, vcc_lo, v14, v10
	v_add_co_ci_u32_e32 v14, vcc_lo, 0, v18, vcc_lo
	s_delay_alu instid0(VALU_DEP_2) | instskip(NEXT) | instid1(VALU_DEP_2)
	v_add_co_u32 v8, vcc_lo, v8, v10
	v_add_co_ci_u32_e32 v9, vcc_lo, v9, v14, vcc_lo
	s_delay_alu instid0(VALU_DEP_2) | instskip(SKIP_1) | instid1(VALU_DEP_3)
	v_mul_hi_u32 v10, s0, v8
	v_mul_lo_u32 v18, s26, v8
	v_mul_lo_u32 v14, s0, v9
	s_delay_alu instid0(VALU_DEP_1) | instskip(SKIP_1) | instid1(VALU_DEP_2)
	v_add_nc_u32_e32 v10, v10, v14
	v_mul_lo_u32 v14, s0, v8
	v_add_nc_u32_e32 v10, v10, v18
	s_delay_alu instid0(VALU_DEP_2) | instskip(NEXT) | instid1(VALU_DEP_2)
	v_mul_hi_u32 v18, v8, v14
	v_mul_lo_u32 v42, v8, v10
	v_mul_hi_u32 v43, v8, v10
	v_mul_hi_u32 v44, v9, v14
	v_mul_lo_u32 v14, v9, v14
	v_mul_hi_u32 v45, v9, v10
	v_mul_lo_u32 v10, v9, v10
	v_add_co_u32 v18, vcc_lo, v18, v42
	v_add_co_ci_u32_e32 v42, vcc_lo, 0, v43, vcc_lo
	s_delay_alu instid0(VALU_DEP_2) | instskip(NEXT) | instid1(VALU_DEP_2)
	v_add_co_u32 v14, vcc_lo, v18, v14
	v_add_co_ci_u32_e32 v14, vcc_lo, v42, v44, vcc_lo
	v_add_co_ci_u32_e32 v18, vcc_lo, 0, v45, vcc_lo
	s_delay_alu instid0(VALU_DEP_2) | instskip(NEXT) | instid1(VALU_DEP_2)
	v_add_co_u32 v10, vcc_lo, v14, v10
	v_add_co_ci_u32_e32 v14, vcc_lo, 0, v18, vcc_lo
	s_delay_alu instid0(VALU_DEP_2) | instskip(NEXT) | instid1(VALU_DEP_2)
	v_add_co_u32 v10, vcc_lo, v8, v10
	v_add_co_ci_u32_e32 v14, vcc_lo, v9, v14, vcc_lo
	s_delay_alu instid0(VALU_DEP_2) | instskip(SKIP_1) | instid1(VALU_DEP_3)
	v_mul_hi_u32 v18, v1, v10
	v_mad_u64_u32 v[42:43], null, v0, v10, 0
	v_mad_u64_u32 v[8:9], null, v1, v14, 0
	;; [unrolled: 1-line block ×3, first 2 shown]
	s_delay_alu instid0(VALU_DEP_2) | instskip(NEXT) | instid1(VALU_DEP_3)
	v_add_co_u32 v8, vcc_lo, v18, v8
	v_add_co_ci_u32_e32 v9, vcc_lo, 0, v9, vcc_lo
	s_delay_alu instid0(VALU_DEP_2) | instskip(NEXT) | instid1(VALU_DEP_2)
	v_add_co_u32 v8, vcc_lo, v8, v42
	v_add_co_ci_u32_e32 v8, vcc_lo, v9, v43, vcc_lo
	v_add_co_ci_u32_e32 v9, vcc_lo, 0, v45, vcc_lo
	s_delay_alu instid0(VALU_DEP_2) | instskip(NEXT) | instid1(VALU_DEP_2)
	v_add_co_u32 v10, vcc_lo, v8, v44
	v_add_co_ci_u32_e32 v14, vcc_lo, 0, v9, vcc_lo
	s_delay_alu instid0(VALU_DEP_2) | instskip(SKIP_1) | instid1(VALU_DEP_3)
	v_mul_lo_u32 v18, s15, v10
	v_mad_u64_u32 v[8:9], null, s14, v10, 0
	v_mul_lo_u32 v10, s14, v14
	s_delay_alu instid0(VALU_DEP_2) | instskip(NEXT) | instid1(VALU_DEP_2)
	v_sub_co_u32 v8, vcc_lo, v1, v8
	v_add3_u32 v9, v9, v10, v18
	s_delay_alu instid0(VALU_DEP_1) | instskip(NEXT) | instid1(VALU_DEP_1)
	v_sub_nc_u32_e32 v10, v0, v9
	v_subrev_co_ci_u32_e64 v10, s0, s15, v10, vcc_lo
	v_sub_co_ci_u32_e32 v0, vcc_lo, v0, v9, vcc_lo
	v_sub_co_u32 v9, vcc_lo, v8, s14
	s_delay_alu instid0(VALU_DEP_1) | instskip(SKIP_3) | instid1(VALU_DEP_3)
	v_subrev_co_ci_u32_e64 v14, s0, 0, v10, vcc_lo
	v_cmp_le_u32_e64 s0, s14, v8
	v_subrev_co_ci_u32_e32 v10, vcc_lo, s15, v10, vcc_lo
	v_cmp_le_u32_e32 vcc_lo, s15, v0
	v_cndmask_b32_e64 v18, 0, -1, s0
	v_cmp_le_u32_e64 s0, s14, v9
	v_cndmask_b32_e64 v44, 0, -1, vcc_lo
	v_cmp_eq_u32_e32 vcc_lo, s15, v14
	s_delay_alu instid0(VALU_DEP_3) | instskip(SKIP_1) | instid1(VALU_DEP_1)
	v_cndmask_b32_e64 v42, 0, -1, s0
	v_cmp_le_u32_e64 s0, s15, v14
	v_cndmask_b32_e64 v43, 0, -1, s0
	v_cmp_eq_u32_e64 s0, s15, v0
	s_delay_alu instid0(VALU_DEP_2) | instskip(SKIP_2) | instid1(VALU_DEP_3)
	v_cndmask_b32_e32 v42, v43, v42, vcc_lo
	v_sub_co_u32 v43, vcc_lo, v9, s14
	v_subrev_co_ci_u32_e32 v10, vcc_lo, 0, v10, vcc_lo
	v_cmp_ne_u32_e32 vcc_lo, 0, v42
	v_cndmask_b32_e64 v18, v44, v18, s0
	s_delay_alu instid0(VALU_DEP_3) | instskip(SKIP_1) | instid1(VALU_DEP_3)
	v_cndmask_b32_e32 v10, v14, v10, vcc_lo
	v_cndmask_b32_e32 v14, v9, v43, vcc_lo
	v_cmp_ne_u32_e32 vcc_lo, 0, v18
	s_delay_alu instid0(VALU_DEP_3) | instskip(NEXT) | instid1(VALU_DEP_3)
	v_cndmask_b32_e32 v9, v0, v10, vcc_lo
	v_cndmask_b32_e32 v8, v8, v14, vcc_lo
.LBB29_35:                              ;   in Loop: Header=BB29_9 Depth=1
	s_and_not1_saveexec_b32 s0, s1
	s_cbranch_execz .LBB29_37
; %bb.36:                               ;   in Loop: Header=BB29_9 Depth=1
	v_cvt_f32_u32_e32 v0, s14
	s_sub_i32 s1, 0, s14
	v_mov_b32_e32 v9, v13
	s_delay_alu instid0(VALU_DEP_2) | instskip(SKIP_2) | instid1(VALU_DEP_1)
	v_rcp_iflag_f32_e32 v0, v0
	s_waitcnt_depctr 0xfff
	v_mul_f32_e32 v0, 0x4f7ffffe, v0
	v_cvt_u32_f32_e32 v0, v0
	s_delay_alu instid0(VALU_DEP_1) | instskip(NEXT) | instid1(VALU_DEP_1)
	v_mul_lo_u32 v8, s1, v0
	v_mul_hi_u32 v8, v0, v8
	s_delay_alu instid0(VALU_DEP_1) | instskip(NEXT) | instid1(VALU_DEP_1)
	v_add_nc_u32_e32 v0, v0, v8
	v_mul_hi_u32 v0, v1, v0
	s_delay_alu instid0(VALU_DEP_1) | instskip(NEXT) | instid1(VALU_DEP_1)
	v_mul_lo_u32 v0, v0, s14
	v_sub_nc_u32_e32 v0, v1, v0
	s_delay_alu instid0(VALU_DEP_1) | instskip(SKIP_1) | instid1(VALU_DEP_2)
	v_subrev_nc_u32_e32 v1, s14, v0
	v_cmp_le_u32_e32 vcc_lo, s14, v0
	v_cndmask_b32_e32 v0, v0, v1, vcc_lo
	s_delay_alu instid0(VALU_DEP_1) | instskip(SKIP_1) | instid1(VALU_DEP_2)
	v_subrev_nc_u32_e32 v1, s14, v0
	v_cmp_le_u32_e32 vcc_lo, s14, v0
	v_cndmask_b32_e32 v8, v0, v1, vcc_lo
.LBB29_37:                              ;   in Loop: Header=BB29_9 Depth=1
	s_or_b32 exec_lo, exec_lo, s0
	s_delay_alu instid0(VALU_DEP_1)
	v_cmp_ne_u64_e32 vcc_lo, s[24:25], v[8:9]
	v_cndmask_b32_e64 v0, 0, 1, vcc_lo
	global_store_b8 v7, v0, s[12:13]
.LBB29_38:                              ;   in Loop: Header=BB29_9 Depth=1
	s_or_b32 exec_lo, exec_lo, s37
	v_add_co_u32 v0, vcc_lo, v15, s28
	v_add_co_ci_u32_e32 v1, vcc_lo, 0, v16, vcc_lo
	s_mov_b32 s37, exec_lo
	s_delay_alu instid0(VALU_DEP_1)
	v_cmpx_gt_i64_e64 s[16:17], v[0:1]
	s_cbranch_execz .LBB29_8
; %bb.39:                               ;   in Loop: Header=BB29_9 Depth=1
	s_and_not1_b32 vcc_lo, exec_lo, s11
	s_cbranch_vccnz .LBB29_45
; %bb.40:                               ;   in Loop: Header=BB29_9 Depth=1
	v_mov_b32_e32 v7, 0
	s_and_not1_b32 vcc_lo, exec_lo, s31
	s_cbranch_vccnz .LBB29_49
; %bb.41:                               ;   in Loop: Header=BB29_9 Depth=1
	s_and_not1_b32 vcc_lo, exec_lo, s34
	s_mov_b32 s0, 0
	s_cbranch_vccnz .LBB29_46
; %bb.42:                               ;   in Loop: Header=BB29_9 Depth=1
	v_mov_b32_e32 v7, 0
	v_mov_b32_e32 v1, v0
	s_mov_b32 s38, 0
	s_mov_b64 s[0:1], s[18:19]
	s_mov_b64 s[26:27], s[22:23]
.LBB29_43:                              ;   Parent Loop BB29_9 Depth=1
                                        ; =>  This Inner Loop Header: Depth=2
	s_clause 0x1
	s_load_b256 s[40:47], s[0:1], 0x4
	s_load_b128 s[48:51], s[0:1], 0x24
	s_load_b128 s[52:55], s[26:27], 0x0
	s_add_u32 s0, s0, 48
	s_addc_u32 s1, s1, 0
	s_add_i32 s38, s38, 4
	s_add_u32 s26, s26, 16
	s_addc_u32 s27, s27, 0
	s_cmp_eq_u32 s35, s38
	s_waitcnt lgkmcnt(0)
	v_mul_hi_u32 v8, s41, v1
	s_delay_alu instid0(VALU_DEP_1) | instskip(NEXT) | instid1(VALU_DEP_1)
	v_add_nc_u32_e32 v8, v1, v8
	v_lshrrev_b32_e32 v8, s42, v8
	s_delay_alu instid0(VALU_DEP_1) | instskip(SKIP_1) | instid1(VALU_DEP_2)
	v_mul_hi_u32 v9, s44, v8
	v_mul_lo_u32 v18, v8, s40
	v_add_nc_u32_e32 v9, v8, v9
	s_delay_alu instid0(VALU_DEP_2) | instskip(NEXT) | instid1(VALU_DEP_2)
	v_sub_nc_u32_e32 v18, v1, v18
	v_lshrrev_b32_e32 v9, s45, v9
	s_delay_alu instid0(VALU_DEP_2) | instskip(NEXT) | instid1(VALU_DEP_2)
	v_mul_lo_u32 v18, v18, s52
	v_mul_hi_u32 v10, s47, v9
	v_mul_lo_u32 v42, v9, s43
	s_delay_alu instid0(VALU_DEP_2) | instskip(NEXT) | instid1(VALU_DEP_2)
	v_add_nc_u32_e32 v10, v9, v10
	v_sub_nc_u32_e32 v8, v8, v42
	s_delay_alu instid0(VALU_DEP_2) | instskip(NEXT) | instid1(VALU_DEP_2)
	v_lshrrev_b32_e32 v10, s48, v10
	v_mul_lo_u32 v8, v8, s53
	s_delay_alu instid0(VALU_DEP_2) | instskip(NEXT) | instid1(VALU_DEP_2)
	v_mul_hi_u32 v14, s50, v10
	v_add3_u32 v7, v18, v7, v8
	s_delay_alu instid0(VALU_DEP_2) | instskip(NEXT) | instid1(VALU_DEP_1)
	v_add_nc_u32_e32 v14, v10, v14
	v_lshrrev_b32_e32 v1, s51, v14
	v_mul_lo_u32 v14, v10, s46
	s_delay_alu instid0(VALU_DEP_2) | instskip(NEXT) | instid1(VALU_DEP_2)
	v_mul_lo_u32 v43, v1, s49
	v_sub_nc_u32_e32 v9, v9, v14
	s_delay_alu instid0(VALU_DEP_2) | instskip(NEXT) | instid1(VALU_DEP_2)
	v_sub_nc_u32_e32 v10, v10, v43
	v_mul_lo_u32 v9, v9, s54
	s_delay_alu instid0(VALU_DEP_2) | instskip(NEXT) | instid1(VALU_DEP_1)
	v_mul_lo_u32 v10, v10, s55
	v_add3_u32 v7, v9, v7, v10
	s_cbranch_scc0 .LBB29_43
; %bb.44:                               ;   in Loop: Header=BB29_9 Depth=1
	s_mov_b32 s0, s35
	s_and_not1_b32 vcc_lo, exec_lo, s36
	s_cbranch_vccz .LBB29_47
	s_branch .LBB29_49
.LBB29_45:                              ;   in Loop: Header=BB29_9 Depth=1
                                        ; implicit-def: $vgpr7
	s_branch .LBB29_50
.LBB29_46:                              ;   in Loop: Header=BB29_9 Depth=1
	v_mov_b32_e32 v1, v0
	s_and_not1_b32 vcc_lo, exec_lo, s36
	s_cbranch_vccnz .LBB29_49
.LBB29_47:                              ;   in Loop: Header=BB29_9 Depth=1
	s_lshl_b32 s1, s0, 2
	s_mul_i32 s26, s0, 12
	s_add_u32 s0, s22, s1
	s_addc_u32 s1, s23, 0
	s_add_u32 s26, s18, s26
	s_addc_u32 s27, s19, 0
	s_mov_b32 s38, s33
	.p2align	6
.LBB29_48:                              ;   Parent Loop BB29_9 Depth=1
                                        ; =>  This Inner Loop Header: Depth=2
	s_clause 0x1
	s_load_b64 s[40:41], s[26:27], 0x4
	s_load_b32 s39, s[26:27], 0xc
	s_add_u32 s26, s26, 12
	s_addc_u32 s27, s27, 0
	s_waitcnt lgkmcnt(0)
	v_mul_hi_u32 v8, s41, v1
	s_load_b32 s41, s[0:1], 0x0
	s_add_u32 s0, s0, 4
	s_addc_u32 s1, s1, 0
	s_add_i32 s38, s38, -1
	s_delay_alu instid0(SALU_CYCLE_1) | instskip(NEXT) | instid1(VALU_DEP_1)
	s_cmp_lg_u32 s38, 0
	v_add_nc_u32_e32 v8, v1, v8
	s_delay_alu instid0(VALU_DEP_1) | instskip(NEXT) | instid1(VALU_DEP_1)
	v_lshrrev_b32_e32 v10, s39, v8
	v_mul_lo_u32 v8, v10, s40
	s_delay_alu instid0(VALU_DEP_1) | instskip(SKIP_1) | instid1(VALU_DEP_1)
	v_sub_nc_u32_e32 v1, v1, v8
	s_waitcnt lgkmcnt(0)
	v_mad_u64_u32 v[8:9], null, v1, s41, v[7:8]
	v_mov_b32_e32 v1, v10
	s_delay_alu instid0(VALU_DEP_2)
	v_mov_b32_e32 v7, v8
	s_cbranch_scc1 .LBB29_48
.LBB29_49:                              ;   in Loop: Header=BB29_9 Depth=1
	s_cbranch_execnz .LBB29_52
.LBB29_50:                              ;   in Loop: Header=BB29_9 Depth=1
	v_mul_hi_u32 v1, v0, s6
	s_and_not1_b32 vcc_lo, exec_lo, s4
	s_delay_alu instid0(VALU_DEP_1) | instskip(NEXT) | instid1(VALU_DEP_1)
	v_add_nc_u32_e32 v1, v1, v0
	v_lshrrev_b32_e32 v1, s7, v1
	s_delay_alu instid0(VALU_DEP_1) | instskip(NEXT) | instid1(VALU_DEP_1)
	v_mul_lo_u32 v7, v1, s5
	v_sub_nc_u32_e32 v0, v0, v7
	s_waitcnt lgkmcnt(0)
	s_delay_alu instid0(VALU_DEP_1)
	v_mul_lo_u32 v7, v0, s20
	s_cbranch_vccnz .LBB29_52
; %bb.51:                               ;   in Loop: Header=BB29_9 Depth=1
	v_mul_hi_u32 v0, s9, v1
	s_delay_alu instid0(VALU_DEP_1) | instskip(NEXT) | instid1(VALU_DEP_1)
	v_add_nc_u32_e32 v0, v1, v0
	v_lshrrev_b32_e32 v0, s10, v0
	s_delay_alu instid0(VALU_DEP_1) | instskip(NEXT) | instid1(VALU_DEP_1)
	v_mul_lo_u32 v0, v0, s8
	v_sub_nc_u32_e32 v8, v1, v0
	s_delay_alu instid0(VALU_DEP_1) | instskip(NEXT) | instid1(VALU_DEP_1)
	v_mad_u64_u32 v[0:1], null, v8, s21, v[7:8]
	v_mov_b32_e32 v7, v0
.LBB29_52:                              ;   in Loop: Header=BB29_9 Depth=1
	s_waitcnt lgkmcnt(0)
	v_or_b32_e32 v14, s15, v2
                                        ; implicit-def: $vgpr8_vgpr9
	s_mov_b32 s0, exec_lo
	s_delay_alu instid0(VALU_DEP_1)
	v_cmpx_ne_u64_e32 0, v[13:14]
	s_xor_b32 s1, exec_lo, s0
	s_cbranch_execz .LBB29_54
; %bb.53:                               ;   in Loop: Header=BB29_9 Depth=1
	v_cvt_f32_u32_e32 v0, s14
	v_cvt_f32_u32_e32 v1, s15
	s_sub_u32 s0, 0, s14
	s_subb_u32 s26, 0, s15
	s_delay_alu instid0(VALU_DEP_1) | instskip(NEXT) | instid1(VALU_DEP_1)
	v_fmac_f32_e32 v0, 0x4f800000, v1
	v_rcp_f32_e32 v0, v0
	s_waitcnt_depctr 0xfff
	v_mul_f32_e32 v0, 0x5f7ffffc, v0
	s_delay_alu instid0(VALU_DEP_1) | instskip(NEXT) | instid1(VALU_DEP_1)
	v_mul_f32_e32 v1, 0x2f800000, v0
	v_trunc_f32_e32 v1, v1
	s_delay_alu instid0(VALU_DEP_1) | instskip(SKIP_1) | instid1(VALU_DEP_2)
	v_fmac_f32_e32 v0, 0xcf800000, v1
	v_cvt_u32_f32_e32 v1, v1
	v_cvt_u32_f32_e32 v0, v0
	s_delay_alu instid0(VALU_DEP_2) | instskip(NEXT) | instid1(VALU_DEP_2)
	v_mul_lo_u32 v8, s0, v1
	v_mul_hi_u32 v9, s0, v0
	v_mul_lo_u32 v10, s26, v0
	s_delay_alu instid0(VALU_DEP_2) | instskip(SKIP_1) | instid1(VALU_DEP_2)
	v_add_nc_u32_e32 v8, v9, v8
	v_mul_lo_u32 v9, s0, v0
	v_add_nc_u32_e32 v8, v8, v10
	s_delay_alu instid0(VALU_DEP_2) | instskip(NEXT) | instid1(VALU_DEP_2)
	v_mul_hi_u32 v10, v0, v9
	v_mul_lo_u32 v14, v0, v8
	v_mul_hi_u32 v18, v0, v8
	v_mul_hi_u32 v42, v1, v9
	v_mul_lo_u32 v9, v1, v9
	v_mul_hi_u32 v43, v1, v8
	v_mul_lo_u32 v8, v1, v8
	v_add_co_u32 v10, vcc_lo, v10, v14
	v_add_co_ci_u32_e32 v14, vcc_lo, 0, v18, vcc_lo
	s_delay_alu instid0(VALU_DEP_2) | instskip(NEXT) | instid1(VALU_DEP_2)
	v_add_co_u32 v9, vcc_lo, v10, v9
	v_add_co_ci_u32_e32 v9, vcc_lo, v14, v42, vcc_lo
	v_add_co_ci_u32_e32 v10, vcc_lo, 0, v43, vcc_lo
	s_delay_alu instid0(VALU_DEP_2) | instskip(NEXT) | instid1(VALU_DEP_2)
	v_add_co_u32 v8, vcc_lo, v9, v8
	v_add_co_ci_u32_e32 v9, vcc_lo, 0, v10, vcc_lo
	s_delay_alu instid0(VALU_DEP_2) | instskip(NEXT) | instid1(VALU_DEP_2)
	v_add_co_u32 v0, vcc_lo, v0, v8
	v_add_co_ci_u32_e32 v1, vcc_lo, v1, v9, vcc_lo
	s_delay_alu instid0(VALU_DEP_2) | instskip(SKIP_1) | instid1(VALU_DEP_3)
	v_mul_hi_u32 v8, s0, v0
	v_mul_lo_u32 v10, s26, v0
	v_mul_lo_u32 v9, s0, v1
	s_delay_alu instid0(VALU_DEP_1) | instskip(SKIP_1) | instid1(VALU_DEP_2)
	v_add_nc_u32_e32 v8, v8, v9
	v_mul_lo_u32 v9, s0, v0
	v_add_nc_u32_e32 v8, v8, v10
	s_delay_alu instid0(VALU_DEP_2) | instskip(NEXT) | instid1(VALU_DEP_2)
	v_mul_hi_u32 v10, v0, v9
	v_mul_lo_u32 v14, v0, v8
	v_mul_hi_u32 v18, v0, v8
	v_mul_hi_u32 v42, v1, v9
	v_mul_lo_u32 v9, v1, v9
	v_mul_hi_u32 v43, v1, v8
	v_mul_lo_u32 v8, v1, v8
	v_add_co_u32 v10, vcc_lo, v10, v14
	v_add_co_ci_u32_e32 v14, vcc_lo, 0, v18, vcc_lo
	s_delay_alu instid0(VALU_DEP_2) | instskip(NEXT) | instid1(VALU_DEP_2)
	v_add_co_u32 v9, vcc_lo, v10, v9
	v_add_co_ci_u32_e32 v9, vcc_lo, v14, v42, vcc_lo
	v_add_co_ci_u32_e32 v10, vcc_lo, 0, v43, vcc_lo
	s_delay_alu instid0(VALU_DEP_2) | instskip(NEXT) | instid1(VALU_DEP_2)
	v_add_co_u32 v8, vcc_lo, v9, v8
	v_add_co_ci_u32_e32 v9, vcc_lo, 0, v10, vcc_lo
	s_delay_alu instid0(VALU_DEP_2) | instskip(NEXT) | instid1(VALU_DEP_2)
	v_add_co_u32 v10, vcc_lo, v0, v8
	v_add_co_ci_u32_e32 v14, vcc_lo, v1, v9, vcc_lo
	s_delay_alu instid0(VALU_DEP_2) | instskip(SKIP_1) | instid1(VALU_DEP_3)
	v_mul_hi_u32 v18, v3, v10
	v_mad_u64_u32 v[8:9], null, v2, v10, 0
	v_mad_u64_u32 v[0:1], null, v3, v14, 0
	;; [unrolled: 1-line block ×3, first 2 shown]
	s_delay_alu instid0(VALU_DEP_2) | instskip(NEXT) | instid1(VALU_DEP_3)
	v_add_co_u32 v0, vcc_lo, v18, v0
	v_add_co_ci_u32_e32 v1, vcc_lo, 0, v1, vcc_lo
	s_delay_alu instid0(VALU_DEP_2) | instskip(NEXT) | instid1(VALU_DEP_2)
	v_add_co_u32 v0, vcc_lo, v0, v8
	v_add_co_ci_u32_e32 v0, vcc_lo, v1, v9, vcc_lo
	v_add_co_ci_u32_e32 v1, vcc_lo, 0, v43, vcc_lo
	s_delay_alu instid0(VALU_DEP_2) | instskip(NEXT) | instid1(VALU_DEP_2)
	v_add_co_u32 v8, vcc_lo, v0, v42
	v_add_co_ci_u32_e32 v9, vcc_lo, 0, v1, vcc_lo
	s_delay_alu instid0(VALU_DEP_2) | instskip(SKIP_1) | instid1(VALU_DEP_3)
	v_mul_lo_u32 v10, s15, v8
	v_mad_u64_u32 v[0:1], null, s14, v8, 0
	v_mul_lo_u32 v8, s14, v9
	s_delay_alu instid0(VALU_DEP_2) | instskip(NEXT) | instid1(VALU_DEP_2)
	v_sub_co_u32 v0, vcc_lo, v3, v0
	v_add3_u32 v1, v1, v8, v10
	s_delay_alu instid0(VALU_DEP_1) | instskip(NEXT) | instid1(VALU_DEP_1)
	v_sub_nc_u32_e32 v8, v2, v1
	v_subrev_co_ci_u32_e64 v3, s0, s15, v8, vcc_lo
	v_sub_co_ci_u32_e32 v1, vcc_lo, v2, v1, vcc_lo
	v_sub_co_u32 v2, vcc_lo, v0, s14
	s_delay_alu instid0(VALU_DEP_1) | instskip(SKIP_3) | instid1(VALU_DEP_3)
	v_subrev_co_ci_u32_e64 v8, s0, 0, v3, vcc_lo
	v_cmp_le_u32_e64 s0, s14, v0
	v_subrev_co_ci_u32_e32 v3, vcc_lo, s15, v3, vcc_lo
	v_cmp_le_u32_e32 vcc_lo, s15, v1
	v_cndmask_b32_e64 v9, 0, -1, s0
	v_cmp_le_u32_e64 s0, s14, v2
	v_cndmask_b32_e64 v18, 0, -1, vcc_lo
	v_cmp_eq_u32_e32 vcc_lo, s15, v8
	s_delay_alu instid0(VALU_DEP_3) | instskip(SKIP_1) | instid1(VALU_DEP_1)
	v_cndmask_b32_e64 v10, 0, -1, s0
	v_cmp_le_u32_e64 s0, s15, v8
	v_cndmask_b32_e64 v14, 0, -1, s0
	v_cmp_eq_u32_e64 s0, s15, v1
	s_delay_alu instid0(VALU_DEP_2) | instskip(SKIP_2) | instid1(VALU_DEP_3)
	v_cndmask_b32_e32 v10, v14, v10, vcc_lo
	v_sub_co_u32 v14, vcc_lo, v2, s14
	v_subrev_co_ci_u32_e32 v3, vcc_lo, 0, v3, vcc_lo
	v_cmp_ne_u32_e32 vcc_lo, 0, v10
	v_cndmask_b32_e64 v9, v18, v9, s0
	s_delay_alu instid0(VALU_DEP_3) | instskip(NEXT) | instid1(VALU_DEP_2)
	v_dual_cndmask_b32 v3, v8, v3 :: v_dual_cndmask_b32 v2, v2, v14
	v_cmp_ne_u32_e32 vcc_lo, 0, v9
	s_delay_alu instid0(VALU_DEP_2)
	v_dual_cndmask_b32 v9, v1, v3 :: v_dual_cndmask_b32 v8, v0, v2
                                        ; implicit-def: $vgpr0_vgpr1_vgpr2_vgpr3
.LBB29_54:                              ;   in Loop: Header=BB29_9 Depth=1
	s_and_not1_saveexec_b32 s0, s1
	s_cbranch_execz .LBB29_7
; %bb.55:                               ;   in Loop: Header=BB29_9 Depth=1
	v_cvt_f32_u32_e32 v0, s14
	s_sub_i32 s1, 0, s14
	v_mov_b32_e32 v9, v13
	s_delay_alu instid0(VALU_DEP_2) | instskip(SKIP_2) | instid1(VALU_DEP_1)
	v_rcp_iflag_f32_e32 v0, v0
	s_waitcnt_depctr 0xfff
	v_mul_f32_e32 v0, 0x4f7ffffe, v0
	v_cvt_u32_f32_e32 v0, v0
	s_delay_alu instid0(VALU_DEP_1) | instskip(NEXT) | instid1(VALU_DEP_1)
	v_mul_lo_u32 v1, s1, v0
	v_mul_hi_u32 v1, v0, v1
	s_delay_alu instid0(VALU_DEP_1) | instskip(NEXT) | instid1(VALU_DEP_1)
	v_add_nc_u32_e32 v0, v0, v1
	v_mul_hi_u32 v0, v3, v0
	s_delay_alu instid0(VALU_DEP_1) | instskip(NEXT) | instid1(VALU_DEP_1)
	v_mul_lo_u32 v0, v0, s14
	v_sub_nc_u32_e32 v0, v3, v0
	s_delay_alu instid0(VALU_DEP_1) | instskip(SKIP_1) | instid1(VALU_DEP_2)
	v_subrev_nc_u32_e32 v1, s14, v0
	v_cmp_le_u32_e32 vcc_lo, s14, v0
	v_cndmask_b32_e32 v0, v0, v1, vcc_lo
	s_delay_alu instid0(VALU_DEP_1) | instskip(SKIP_1) | instid1(VALU_DEP_2)
	v_subrev_nc_u32_e32 v1, s14, v0
	v_cmp_le_u32_e32 vcc_lo, s14, v0
	v_cndmask_b32_e32 v8, v0, v1, vcc_lo
	s_branch .LBB29_7
.LBB29_56:
	s_endpgm
.LBB29_57:
                                        ; implicit-def: $sgpr2_sgpr3
	s_branch .LBB29_4
	.section	.rodata,"a",@progbits
	.p2align	6, 0x0
	.amdhsa_kernel _ZN2at6native12_GLOBAL__N_143distribution_elementwise_grid_stride_kernelImLi2EZZZNS0_9templates4cuda21random_from_to_kernelIPNS_17CUDAGeneratorImplEEEvRNS_18TensorIteratorBaseEmlT_ENKUlvE_clEvENKUlvE6_clEvEUlP25hiprandStatePhilox4_32_10E_ZNS1_27distribution_nullary_kernelIbm15HIP_vector_typeIyLj2EES7_SF_ZZZNS5_IS7_EEvS9_mlSA_ENKSB_clEvENKSC_clEvEUlmE_EEvS9_T2_RKT3_T4_EUlimE0_EEvlNS_15PhiloxCudaStateET1_SK_
		.amdhsa_group_segment_fixed_size 0
		.amdhsa_private_segment_fixed_size 0
		.amdhsa_kernarg_size 592
		.amdhsa_user_sgpr_count 15
		.amdhsa_user_sgpr_dispatch_ptr 0
		.amdhsa_user_sgpr_queue_ptr 0
		.amdhsa_user_sgpr_kernarg_segment_ptr 1
		.amdhsa_user_sgpr_dispatch_id 0
		.amdhsa_user_sgpr_private_segment_size 0
		.amdhsa_wavefront_size32 1
		.amdhsa_uses_dynamic_stack 0
		.amdhsa_enable_private_segment 0
		.amdhsa_system_sgpr_workgroup_id_x 1
		.amdhsa_system_sgpr_workgroup_id_y 0
		.amdhsa_system_sgpr_workgroup_id_z 0
		.amdhsa_system_sgpr_workgroup_info 0
		.amdhsa_system_vgpr_workitem_id 0
		.amdhsa_next_free_vgpr 46
		.amdhsa_next_free_sgpr 56
		.amdhsa_reserve_vcc 1
		.amdhsa_float_round_mode_32 0
		.amdhsa_float_round_mode_16_64 0
		.amdhsa_float_denorm_mode_32 3
		.amdhsa_float_denorm_mode_16_64 3
		.amdhsa_dx10_clamp 1
		.amdhsa_ieee_mode 1
		.amdhsa_fp16_overflow 0
		.amdhsa_workgroup_processor_mode 1
		.amdhsa_memory_ordered 1
		.amdhsa_forward_progress 0
		.amdhsa_shared_vgpr_count 0
		.amdhsa_exception_fp_ieee_invalid_op 0
		.amdhsa_exception_fp_denorm_src 0
		.amdhsa_exception_fp_ieee_div_zero 0
		.amdhsa_exception_fp_ieee_overflow 0
		.amdhsa_exception_fp_ieee_underflow 0
		.amdhsa_exception_fp_ieee_inexact 0
		.amdhsa_exception_int_div_zero 0
	.end_amdhsa_kernel
	.section	.text._ZN2at6native12_GLOBAL__N_143distribution_elementwise_grid_stride_kernelImLi2EZZZNS0_9templates4cuda21random_from_to_kernelIPNS_17CUDAGeneratorImplEEEvRNS_18TensorIteratorBaseEmlT_ENKUlvE_clEvENKUlvE6_clEvEUlP25hiprandStatePhilox4_32_10E_ZNS1_27distribution_nullary_kernelIbm15HIP_vector_typeIyLj2EES7_SF_ZZZNS5_IS7_EEvS9_mlSA_ENKSB_clEvENKSC_clEvEUlmE_EEvS9_T2_RKT3_T4_EUlimE0_EEvlNS_15PhiloxCudaStateET1_SK_,"axG",@progbits,_ZN2at6native12_GLOBAL__N_143distribution_elementwise_grid_stride_kernelImLi2EZZZNS0_9templates4cuda21random_from_to_kernelIPNS_17CUDAGeneratorImplEEEvRNS_18TensorIteratorBaseEmlT_ENKUlvE_clEvENKUlvE6_clEvEUlP25hiprandStatePhilox4_32_10E_ZNS1_27distribution_nullary_kernelIbm15HIP_vector_typeIyLj2EES7_SF_ZZZNS5_IS7_EEvS9_mlSA_ENKSB_clEvENKSC_clEvEUlmE_EEvS9_T2_RKT3_T4_EUlimE0_EEvlNS_15PhiloxCudaStateET1_SK_,comdat
.Lfunc_end29:
	.size	_ZN2at6native12_GLOBAL__N_143distribution_elementwise_grid_stride_kernelImLi2EZZZNS0_9templates4cuda21random_from_to_kernelIPNS_17CUDAGeneratorImplEEEvRNS_18TensorIteratorBaseEmlT_ENKUlvE_clEvENKUlvE6_clEvEUlP25hiprandStatePhilox4_32_10E_ZNS1_27distribution_nullary_kernelIbm15HIP_vector_typeIyLj2EES7_SF_ZZZNS5_IS7_EEvS9_mlSA_ENKSB_clEvENKSC_clEvEUlmE_EEvS9_T2_RKT3_T4_EUlimE0_EEvlNS_15PhiloxCudaStateET1_SK_, .Lfunc_end29-_ZN2at6native12_GLOBAL__N_143distribution_elementwise_grid_stride_kernelImLi2EZZZNS0_9templates4cuda21random_from_to_kernelIPNS_17CUDAGeneratorImplEEEvRNS_18TensorIteratorBaseEmlT_ENKUlvE_clEvENKUlvE6_clEvEUlP25hiprandStatePhilox4_32_10E_ZNS1_27distribution_nullary_kernelIbm15HIP_vector_typeIyLj2EES7_SF_ZZZNS5_IS7_EEvS9_mlSA_ENKSB_clEvENKSC_clEvEUlmE_EEvS9_T2_RKT3_T4_EUlimE0_EEvlNS_15PhiloxCudaStateET1_SK_
                                        ; -- End function
	.section	.AMDGPU.csdata,"",@progbits
; Kernel info:
; codeLenInByte = 5680
; NumSgprs: 58
; NumVgprs: 46
; ScratchSize: 0
; MemoryBound: 0
; FloatMode: 240
; IeeeMode: 1
; LDSByteSize: 0 bytes/workgroup (compile time only)
; SGPRBlocks: 7
; VGPRBlocks: 5
; NumSGPRsForWavesPerEU: 58
; NumVGPRsForWavesPerEU: 46
; Occupancy: 16
; WaveLimiterHint : 1
; COMPUTE_PGM_RSRC2:SCRATCH_EN: 0
; COMPUTE_PGM_RSRC2:USER_SGPR: 15
; COMPUTE_PGM_RSRC2:TRAP_HANDLER: 0
; COMPUTE_PGM_RSRC2:TGID_X_EN: 1
; COMPUTE_PGM_RSRC2:TGID_Y_EN: 0
; COMPUTE_PGM_RSRC2:TGID_Z_EN: 0
; COMPUTE_PGM_RSRC2:TIDIG_COMP_CNT: 0
	.section	.text._ZN2at6native12_GLOBAL__N_143distribution_elementwise_grid_stride_kernelIjLi4EZZZNS0_9templates4cuda21random_from_to_kernelIPNS_17CUDAGeneratorImplEEEvRNS_18TensorIteratorBaseEmlT_ENKUlvE_clEvENKUlvE6_clEvEUlP25hiprandStatePhilox4_32_10E0_ZNS1_27distribution_nullary_kernelIbj15HIP_vector_typeIjLj4EES7_SF_ZZZNS5_IS7_EEvS9_mlSA_ENKSB_clEvENKSC_clEvEUljE_EEvS9_T2_RKT3_T4_EUlijE_EEvlNS_15PhiloxCudaStateET1_SK_,"axG",@progbits,_ZN2at6native12_GLOBAL__N_143distribution_elementwise_grid_stride_kernelIjLi4EZZZNS0_9templates4cuda21random_from_to_kernelIPNS_17CUDAGeneratorImplEEEvRNS_18TensorIteratorBaseEmlT_ENKUlvE_clEvENKUlvE6_clEvEUlP25hiprandStatePhilox4_32_10E0_ZNS1_27distribution_nullary_kernelIbj15HIP_vector_typeIjLj4EES7_SF_ZZZNS5_IS7_EEvS9_mlSA_ENKSB_clEvENKSC_clEvEUljE_EEvS9_T2_RKT3_T4_EUlijE_EEvlNS_15PhiloxCudaStateET1_SK_,comdat
	.globl	_ZN2at6native12_GLOBAL__N_143distribution_elementwise_grid_stride_kernelIjLi4EZZZNS0_9templates4cuda21random_from_to_kernelIPNS_17CUDAGeneratorImplEEEvRNS_18TensorIteratorBaseEmlT_ENKUlvE_clEvENKUlvE6_clEvEUlP25hiprandStatePhilox4_32_10E0_ZNS1_27distribution_nullary_kernelIbj15HIP_vector_typeIjLj4EES7_SF_ZZZNS5_IS7_EEvS9_mlSA_ENKSB_clEvENKSC_clEvEUljE_EEvS9_T2_RKT3_T4_EUlijE_EEvlNS_15PhiloxCudaStateET1_SK_ ; -- Begin function _ZN2at6native12_GLOBAL__N_143distribution_elementwise_grid_stride_kernelIjLi4EZZZNS0_9templates4cuda21random_from_to_kernelIPNS_17CUDAGeneratorImplEEEvRNS_18TensorIteratorBaseEmlT_ENKUlvE_clEvENKUlvE6_clEvEUlP25hiprandStatePhilox4_32_10E0_ZNS1_27distribution_nullary_kernelIbj15HIP_vector_typeIjLj4EES7_SF_ZZZNS5_IS7_EEvS9_mlSA_ENKSB_clEvENKSC_clEvEUljE_EEvS9_T2_RKT3_T4_EUlijE_EEvlNS_15PhiloxCudaStateET1_SK_
	.p2align	8
	.type	_ZN2at6native12_GLOBAL__N_143distribution_elementwise_grid_stride_kernelIjLi4EZZZNS0_9templates4cuda21random_from_to_kernelIPNS_17CUDAGeneratorImplEEEvRNS_18TensorIteratorBaseEmlT_ENKUlvE_clEvENKUlvE6_clEvEUlP25hiprandStatePhilox4_32_10E0_ZNS1_27distribution_nullary_kernelIbj15HIP_vector_typeIjLj4EES7_SF_ZZZNS5_IS7_EEvS9_mlSA_ENKSB_clEvENKSC_clEvEUljE_EEvS9_T2_RKT3_T4_EUlijE_EEvlNS_15PhiloxCudaStateET1_SK_,@function
_ZN2at6native12_GLOBAL__N_143distribution_elementwise_grid_stride_kernelIjLi4EZZZNS0_9templates4cuda21random_from_to_kernelIPNS_17CUDAGeneratorImplEEEvRNS_18TensorIteratorBaseEmlT_ENKUlvE_clEvENKUlvE6_clEvEUlP25hiprandStatePhilox4_32_10E0_ZNS1_27distribution_nullary_kernelIbj15HIP_vector_typeIjLj4EES7_SF_ZZZNS5_IS7_EEvS9_mlSA_ENKSB_clEvENKSC_clEvEUljE_EEvS9_T2_RKT3_T4_EUlijE_EEvlNS_15PhiloxCudaStateET1_SK_: ; @_ZN2at6native12_GLOBAL__N_143distribution_elementwise_grid_stride_kernelIjLi4EZZZNS0_9templates4cuda21random_from_to_kernelIPNS_17CUDAGeneratorImplEEEvRNS_18TensorIteratorBaseEmlT_ENKUlvE_clEvENKUlvE6_clEvEUlP25hiprandStatePhilox4_32_10E0_ZNS1_27distribution_nullary_kernelIbj15HIP_vector_typeIjLj4EES7_SF_ZZZNS5_IS7_EEvS9_mlSA_ENKSB_clEvENKSC_clEvEUljE_EEvS9_T2_RKT3_T4_EUlijE_EEvlNS_15PhiloxCudaStateET1_SK_
; %bb.0:
	s_clause 0x2
	s_load_b64 s[8:9], s[0:1], 0x10
	s_load_b128 s[4:7], s[0:1], 0x0
	s_load_b32 s2, s[0:1], 0x20
	s_waitcnt lgkmcnt(0)
	v_dual_mov_b32 v2, s8 :: v_dual_mov_b32 v3, s9
	v_dual_mov_b32 v14, s7 :: v_dual_mov_b32 v13, s6
	s_bitcmp0_b32 s2, 0
	s_mov_b32 s2, 0
	s_cbranch_scc1 .LBB30_2
; %bb.1:
	v_dual_mov_b32 v1, s8 :: v_dual_mov_b32 v2, s9
	v_dual_mov_b32 v4, s6 :: v_dual_mov_b32 v5, s7
	s_load_b64 s[6:7], s[0:1], 0x18
	flat_load_b64 v[2:3], v[1:2]
	flat_load_b64 v[13:14], v[4:5]
	s_waitcnt vmcnt(1) lgkmcnt(0)
	v_add_co_u32 v2, vcc_lo, v2, s6
	v_add_co_ci_u32_e32 v3, vcc_lo, s7, v3, vcc_lo
.LBB30_2:
	s_clause 0x1
	s_load_b32 s3, s[0:1], 0x5c
	s_load_b32 s13, s[0:1], 0x50
	s_waitcnt lgkmcnt(0)
	s_and_b32 s14, s3, 0xffff
	s_add_u32 s6, s4, -1
	s_mul_i32 s10, s13, s14
	s_addc_u32 s3, s5, -1
	s_lshl_b32 s11, s10, 2
	s_cmp_lg_u64 s[2:3], 0
	s_cbranch_scc0 .LBB30_35
; %bb.3:
	v_cvt_f32_ubyte0_e32 v1, 0
	v_cvt_f32_u32_e32 v4, s11
	s_sub_u32 s8, 0, s11
	s_subb_u32 s9, 0, 0
	s_delay_alu instid0(VALU_DEP_1) | instskip(NEXT) | instid1(VALU_DEP_1)
	v_fmamk_f32 v1, v1, 0x4f800000, v4
	v_rcp_f32_e32 v1, v1
	s_waitcnt_depctr 0xfff
	v_mul_f32_e32 v1, 0x5f7ffffc, v1
	s_delay_alu instid0(VALU_DEP_1) | instskip(NEXT) | instid1(VALU_DEP_1)
	v_mul_f32_e32 v4, 0x2f800000, v1
	v_trunc_f32_e32 v4, v4
	s_delay_alu instid0(VALU_DEP_1) | instskip(SKIP_1) | instid1(VALU_DEP_2)
	v_fmamk_f32 v1, v4, 0xcf800000, v1
	v_cvt_u32_f32_e32 v4, v4
	v_cvt_u32_f32_e32 v1, v1
	s_delay_alu instid0(VALU_DEP_2) | instskip(NEXT) | instid1(VALU_DEP_2)
	v_readfirstlane_b32 s2, v4
	v_readfirstlane_b32 s7, v1
	s_delay_alu instid0(VALU_DEP_2) | instskip(NEXT) | instid1(VALU_DEP_1)
	s_mul_i32 s12, s8, s2
	s_mul_hi_u32 s17, s8, s7
	s_mul_i32 s16, s9, s7
	s_add_i32 s12, s17, s12
	s_mul_i32 s18, s8, s7
	s_add_i32 s12, s12, s16
	s_mul_hi_u32 s17, s7, s18
	s_mul_hi_u32 s19, s2, s18
	s_mul_i32 s16, s2, s18
	s_mul_hi_u32 s18, s7, s12
	s_mul_i32 s7, s7, s12
	s_mul_hi_u32 s20, s2, s12
	s_add_u32 s7, s17, s7
	s_addc_u32 s17, 0, s18
	s_add_u32 s7, s7, s16
	s_mul_i32 s12, s2, s12
	s_addc_u32 s7, s17, s19
	s_addc_u32 s16, s20, 0
	s_add_u32 s7, s7, s12
	s_addc_u32 s12, 0, s16
	v_add_co_u32 v1, s7, v1, s7
	s_delay_alu instid0(VALU_DEP_1) | instskip(SKIP_1) | instid1(VALU_DEP_1)
	s_cmp_lg_u32 s7, 0
	s_addc_u32 s2, s2, s12
	v_readfirstlane_b32 s7, v1
	s_mul_i32 s12, s8, s2
	s_delay_alu instid0(VALU_DEP_1)
	s_mul_hi_u32 s16, s8, s7
	s_mul_i32 s9, s9, s7
	s_add_i32 s12, s16, s12
	s_mul_i32 s8, s8, s7
	s_add_i32 s12, s12, s9
	s_mul_hi_u32 s16, s2, s8
	s_mul_i32 s17, s2, s8
	s_mul_hi_u32 s8, s7, s8
	s_mul_hi_u32 s18, s7, s12
	s_mul_i32 s7, s7, s12
	s_mul_hi_u32 s9, s2, s12
	s_add_u32 s7, s8, s7
	s_addc_u32 s8, 0, s18
	s_add_u32 s7, s7, s17
	s_mul_i32 s12, s2, s12
	s_addc_u32 s7, s8, s16
	s_addc_u32 s8, s9, 0
	s_add_u32 s7, s7, s12
	s_addc_u32 s8, 0, s8
	v_add_co_u32 v1, s7, v1, s7
	s_delay_alu instid0(VALU_DEP_1) | instskip(SKIP_2) | instid1(VALU_DEP_1)
	s_cmp_lg_u32 s7, 0
	s_addc_u32 s7, s2, s8
	s_ashr_i32 s8, s3, 31
	v_readfirstlane_b32 s12, v1
	s_add_u32 s2, s6, s8
	s_mov_b32 s9, s8
	s_addc_u32 s3, s3, s8
	s_delay_alu instid0(SALU_CYCLE_1) | instskip(NEXT) | instid1(SALU_CYCLE_1)
	s_xor_b64 s[2:3], s[2:3], s[8:9]
	s_mul_i32 s17, s2, s7
	s_mul_hi_u32 s18, s2, s12
	s_mul_hi_u32 s16, s2, s7
	;; [unrolled: 1-line block ×3, first 2 shown]
	s_mul_i32 s12, s3, s12
	s_add_u32 s17, s18, s17
	s_addc_u32 s16, 0, s16
	s_mul_hi_u32 s19, s3, s7
	s_add_u32 s12, s17, s12
	s_mul_i32 s7, s3, s7
	s_addc_u32 s12, s16, s20
	s_addc_u32 s16, s19, 0
	s_add_u32 s7, s12, s7
	s_addc_u32 s12, 0, s16
	s_mul_i32 s17, s11, s7
	s_add_u32 s16, s7, 1
	v_sub_co_u32 v1, s2, s2, s17
	s_mul_hi_u32 s17, s11, s7
	s_addc_u32 s18, s12, 0
	s_mul_i32 s19, s11, s12
	s_delay_alu instid0(VALU_DEP_1)
	v_sub_co_u32 v4, s20, v1, s11
	s_add_u32 s21, s7, 2
	s_addc_u32 s22, s12, 0
	s_add_i32 s17, s17, s19
	s_cmp_lg_u32 s2, 0
	v_readfirstlane_b32 s2, v4
	s_subb_u32 s3, s3, s17
	s_cmp_lg_u32 s20, 0
	s_subb_u32 s17, s3, 0
	s_delay_alu instid0(VALU_DEP_1) | instskip(SKIP_4) | instid1(SALU_CYCLE_1)
	s_cmp_ge_u32 s2, s11
	s_cselect_b32 s2, -1, 0
	s_cmp_eq_u32 s17, 0
	v_readfirstlane_b32 s17, v1
	s_cselect_b32 s2, s2, -1
	s_cmp_lg_u32 s2, 0
	s_cselect_b32 s2, s21, s16
	s_cselect_b32 s16, s22, s18
	s_cmp_ge_u32 s17, s11
	s_cselect_b32 s17, -1, 0
	s_cmp_eq_u32 s3, 0
	s_cselect_b32 s3, s17, -1
	s_delay_alu instid0(SALU_CYCLE_1) | instskip(SKIP_2) | instid1(SALU_CYCLE_1)
	s_cmp_lg_u32 s3, 0
	s_cselect_b32 s3, s16, s12
	s_cselect_b32 s2, s2, s7
	s_xor_b64 s[2:3], s[2:3], s[8:9]
	s_delay_alu instid0(SALU_CYCLE_1)
	s_sub_u32 s2, s2, s8
	s_subb_u32 s3, s3, s8
	s_cbranch_execnz .LBB30_5
.LBB30_4:
	v_cvt_f32_u32_e32 v1, s11
	s_sub_i32 s3, 0, s11
	s_delay_alu instid0(VALU_DEP_1) | instskip(SKIP_2) | instid1(VALU_DEP_1)
	v_rcp_iflag_f32_e32 v1, v1
	s_waitcnt_depctr 0xfff
	v_mul_f32_e32 v1, 0x4f7ffffe, v1
	v_cvt_u32_f32_e32 v1, v1
	s_delay_alu instid0(VALU_DEP_1) | instskip(NEXT) | instid1(VALU_DEP_1)
	v_readfirstlane_b32 s2, v1
	s_mul_i32 s3, s3, s2
	s_delay_alu instid0(SALU_CYCLE_1) | instskip(NEXT) | instid1(SALU_CYCLE_1)
	s_mul_hi_u32 s3, s2, s3
	s_add_i32 s2, s2, s3
	s_delay_alu instid0(SALU_CYCLE_1) | instskip(NEXT) | instid1(SALU_CYCLE_1)
	s_mul_hi_u32 s2, s6, s2
	s_mul_i32 s3, s2, s11
	s_delay_alu instid0(SALU_CYCLE_1)
	s_sub_i32 s3, s6, s3
	s_add_i32 s6, s2, 1
	s_sub_i32 s7, s3, s11
	s_cmp_ge_u32 s3, s11
	s_cselect_b32 s2, s6, s2
	s_cselect_b32 s3, s7, s3
	s_add_i32 s6, s2, 1
	s_cmp_ge_u32 s3, s11
	s_mov_b32 s3, 0
	s_cselect_b32 s2, s6, s2
.LBB30_5:
	v_mov_b32_e32 v1, 0
	s_add_u32 s2, s2, 1
	s_addc_u32 s3, s3, 0
	s_mul_hi_u32 s6, s10, s2
	s_mul_i32 s3, s10, s3
	v_mad_u64_u32 v[15:16], null, s14, s15, v[0:1]
	s_mul_hi_u32 s7, s13, s14
	s_add_i32 s3, s6, s3
	s_mul_i32 s7, s7, s2
	s_mul_i32 s2, s10, s2
	s_add_i32 s3, s3, s7
	s_delay_alu instid0(SALU_CYCLE_1)
	s_lshl_b64 s[6:7], s[2:3], 2
	s_mov_b32 s2, exec_lo
	v_cmpx_gt_i64_e64 s[6:7], v[15:16]
	s_cbranch_execz .LBB30_34
; %bb.6:
	v_alignbit_b32 v19, v3, v2, 2
	v_mad_u64_u32 v[6:7], null, 0xcd9e8d57, v15, 0
	v_lshrrev_b32_e32 v20, 2, v3
	s_waitcnt vmcnt(0)
	v_dual_mov_b32 v11, v14 :: v_dual_add_nc_u32 v30, 0x8ff34781, v13
	v_mad_u64_u32 v[4:5], null, 0xd2511f53, v19, 0
	v_add_co_u32 v22, null, 0x9e3779b9, v13
	s_delay_alu instid0(VALU_DEP_3) | instskip(SKIP_1) | instid1(VALU_DEP_4)
	v_add_co_u32 v21, null, 0xbb67ae85, v11
	v_add_co_u32 v23, null, 0x3c6ef372, v13
	v_xor_b32_e32 v3, v5, v14
	v_xor3_b32 v5, v13, v7, v20
	v_add_co_u32 v24, null, 0x76cf5d0a, v11
	v_add_co_u32 v25, null, 0x32370b8f, v11
	s_delay_alu instid0(VALU_DEP_4) | instskip(NEXT) | instid1(VALU_DEP_4)
	v_xor_b32_e32 v3, v3, v16
	v_mad_u64_u32 v[7:8], null, 0xd2511f53, v5, 0
	v_add_co_u32 v26, null, 0xdaa66d2b, v13
	s_delay_alu instid0(VALU_DEP_3) | instskip(SKIP_1) | instid1(VALU_DEP_4)
	v_mad_u64_u32 v[9:10], null, 0xcd9e8d57, v3, 0
	v_add_co_u32 v27, null, 0x78dde6e4, v13
	v_xor3_b32 v5, v21, v8, v4
	v_add_co_u32 v28, null, 0xed9eba14, v11
	v_dual_mov_b32 v38, v15 :: v_dual_and_b32 v29, 3, v2
	v_xor3_b32 v8, v22, v10, v6
	s_delay_alu instid0(VALU_DEP_4) | instskip(SKIP_1) | instid1(VALU_DEP_3)
	v_mad_u64_u32 v[3:4], null, 0xcd9e8d57, v5, 0
	v_add_co_u32 v32, null, 0x1715609d, v13
	v_mad_u64_u32 v[5:6], null, 0xd2511f53, v8, 0
	v_add_co_u32 v33, null, 0xa9066899, v11
	s_delay_alu instid0(VALU_DEP_4) | instskip(SKIP_3) | instid1(VALU_DEP_4)
	v_xor3_b32 v4, v23, v4, v9
	v_add_co_u32 v35, null, 0xb54cda56, v13
	v_add_co_u32 v37, null, 0x646e171e, v11
	v_xor3_b32 v10, v24, v6, v7
	v_mad_u64_u32 v[6:7], null, 0xd2511f53, v4, 0
	s_clause 0x2
	s_load_b64 s[8:9], s[0:1], 0x30
	s_load_b32 s16, s[0:1], 0x38
	s_load_b128 s[0:3], s[0:1], 0x40
	v_mad_u64_u32 v[8:9], null, 0xcd9e8d57, v10, 0
	v_add_co_u32 v34, null, 0x5384540f, v13
	s_delay_alu instid0(VALU_DEP_3) | instskip(SKIP_3) | instid1(VALU_DEP_4)
	v_xor3_b32 v5, v25, v7, v5
	v_add_co_u32 v39, null, 0x1fd5c5a3, v11
	v_add_co_u32 v36, null, 0xf1bbcdc8, v13
	v_xor3_b32 v7, v26, v9, v3
	v_mad_u64_u32 v[3:4], null, 0xcd9e8d57, v5, 0
	v_add_co_u32 v40, null, 0xdb3d7428, v11
	s_delay_alu instid0(VALU_DEP_3) | instskip(SKIP_2) | instid1(VALU_DEP_4)
	v_mad_u64_u32 v[9:10], null, 0xd2511f53, v7, 0
	s_mul_i32 s17, s13, 3
	v_add_nc_u32_e32 v31, 0x96a522ad, v14
	v_xor3_b32 v2, v27, v4, v8
	s_waitcnt lgkmcnt(0)
	s_sub_u32 s2, 0, s2
	s_subb_u32 s3, 0, s3
	s_lshl_b32 s18, s13, 1
	v_xor3_b32 v8, v28, v10, v6
	v_mad_u64_u32 v[4:5], null, 0xd2511f53, v2, 0
	s_add_i32 s17, s15, s17
	s_add_i32 s19, s15, s13
	s_delay_alu instid0(VALU_DEP_2) | instskip(SKIP_2) | instid1(VALU_DEP_3)
	v_mad_u64_u32 v[6:7], null, 0xcd9e8d57, v8, 0
	v_mov_b32_e32 v45, v16
	s_mov_b32 s12, 0
	v_xor3_b32 v5, v33, v5, v9
	s_delay_alu instid0(VALU_DEP_3) | instskip(NEXT) | instid1(VALU_DEP_2)
	v_xor3_b32 v9, v32, v7, v3
	v_mad_u64_u32 v[2:3], null, 0xcd9e8d57, v5, 0
	s_delay_alu instid0(VALU_DEP_2) | instskip(SKIP_1) | instid1(VALU_DEP_3)
	v_mad_u64_u32 v[7:8], null, 0xd2511f53, v9, 0
	v_mad_u64_u32 v[9:10], null, s15, s14, v[0:1]
	v_xor3_b32 v5, v35, v3, v6
	s_add_i32 s15, s15, s18
	v_mad_u64_u32 v[10:11], null, s17, s14, v[0:1]
	s_delay_alu instid0(VALU_DEP_4) | instskip(NEXT) | instid1(VALU_DEP_3)
	v_xor3_b32 v8, v37, v8, v4
	v_mad_u64_u32 v[3:4], null, 0xd2511f53, v5, 0
	v_mul_lo_u32 v41, s16, v9
	v_mad_u64_u32 v[11:12], null, s19, s14, v[0:1]
	s_delay_alu instid0(VALU_DEP_4) | instskip(SKIP_2) | instid1(VALU_DEP_4)
	v_mad_u64_u32 v[5:6], null, 0xcd9e8d57, v8, 0
	v_mul_lo_u32 v42, s16, v10
	v_xor3_b32 v4, v39, v4, v7
	v_mul_lo_u32 v43, s16, v11
	s_delay_alu instid0(VALU_DEP_4) | instskip(NEXT) | instid1(VALU_DEP_3)
	v_xor3_b32 v2, v34, v6, v2
	v_mad_u64_u32 v[6:7], null, 0xcd9e8d57, v4, 0
	s_delay_alu instid0(VALU_DEP_2) | instskip(NEXT) | instid1(VALU_DEP_2)
	v_mad_u64_u32 v[8:9], null, 0xd2511f53, v2, 0
	v_xor3_b32 v4, v36, v7, v5
	s_delay_alu instid0(VALU_DEP_2) | instskip(SKIP_1) | instid1(VALU_DEP_3)
	v_xor3_b32 v5, v40, v9, v3
	v_mad_u64_u32 v[2:3], null, s15, s14, v[0:1]
	v_mad_u64_u32 v[17:18], null, 0xd2511f53, v4, 0
	s_delay_alu instid0(VALU_DEP_3) | instskip(SKIP_2) | instid1(VALU_DEP_3)
	v_mad_u64_u32 v[3:4], null, 0xcd9e8d57, v5, 0
	s_mul_i32 s15, s13, s16
	s_lshl_b32 s13, s10, 1
	v_mul_lo_u32 v44, s16, v2
	s_mul_i32 s15, s15, s14
	s_delay_alu instid0(VALU_DEP_3) | instskip(SKIP_1) | instid1(VALU_DEP_3)
	v_mov_b32_e32 v5, v17
	s_mul_i32 s14, s10, 3
	v_xor3_b32 v2, v4, v6, v30
	v_xor3_b32 v4, v18, v8, v31
	s_lshl_b32 s15, s15, 2
	s_mov_b32 s16, 0
	s_branch .LBB30_9
.LBB30_7:                               ;   in Loop: Header=BB30_9 Depth=1
	s_or_b32 exec_lo, exec_lo, s18
	v_add_nc_u32_e32 v2, s16, v42
	s_delay_alu instid0(VALU_DEP_1) | instskip(SKIP_1) | instid1(VALU_DEP_2)
	v_ashrrev_i32_e32 v3, 31, v2
	v_add_co_u32 v2, vcc_lo, s8, v2
	v_add_co_ci_u32_e32 v3, vcc_lo, s9, v3, vcc_lo
	v_cmp_ne_u64_e32 vcc_lo, s[2:3], v[0:1]
	v_cndmask_b32_e64 v0, 0, 1, vcc_lo
	global_store_b8 v[2:3], v0, off
.LBB30_8:                               ;   in Loop: Header=BB30_9 Depth=1
	s_or_b32 exec_lo, exec_lo, s17
	v_add_co_u32 v15, vcc_lo, v15, s11
	v_add_co_ci_u32_e32 v16, vcc_lo, 0, v16, vcc_lo
	v_mov_b32_e32 v9, v17
	v_dual_mov_b32 v2, v6 :: v_dual_mov_b32 v3, v7
	s_delay_alu instid0(VALU_DEP_3) | instskip(NEXT) | instid1(VALU_DEP_3)
	v_cmp_le_i64_e32 vcc_lo, s[6:7], v[15:16]
	v_dual_mov_b32 v4, v8 :: v_dual_mov_b32 v5, v9
	s_add_i32 s16, s16, s15
	s_waitcnt_vscnt null, 0x0
	s_barrier
	s_or_b32 s12, vcc_lo, s12
	buffer_gl0_inv
	s_and_not1_b32 exec_lo, exec_lo, s12
	s_cbranch_execz .LBB30_34
.LBB30_9:                               ; =>This Inner Loop Header: Depth=1
	v_add_co_u32 v19, vcc_lo, v19, 1
	s_delay_alu instid0(VALU_DEP_1) | instskip(SKIP_1) | instid1(VALU_DEP_3)
	v_cndmask_b32_e64 v0, 0, 1, vcc_lo
	v_add_co_ci_u32_e32 v20, vcc_lo, 0, v20, vcc_lo
	v_mad_u64_u32 v[6:7], null, 0xd2511f53, v19, 0
	s_mov_b32 s17, exec_lo
	s_delay_alu instid0(VALU_DEP_2) | instskip(SKIP_1) | instid1(VALU_DEP_1)
	v_cmp_eq_u32_e32 vcc_lo, 0, v20
	v_cndmask_b32_e32 v0, 0, v0, vcc_lo
	v_add_nc_u32_e32 v38, v0, v38
	s_delay_alu instid0(VALU_DEP_1) | instskip(SKIP_2) | instid1(VALU_DEP_1)
	v_cmp_eq_u32_e32 vcc_lo, 0, v38
	v_mad_u64_u32 v[8:9], null, 0xcd9e8d57, v38, 0
	v_cndmask_b32_e32 v0, 0, v0, vcc_lo
	v_add_nc_u32_e32 v45, v0, v45
	v_xor_b32_e32 v0, v7, v14
	s_delay_alu instid0(VALU_DEP_4) | instskip(NEXT) | instid1(VALU_DEP_2)
	v_xor3_b32 v7, v9, v13, v20
	v_xor_b32_e32 v0, v45, v0
	s_delay_alu instid0(VALU_DEP_2) | instskip(NEXT) | instid1(VALU_DEP_2)
	v_mad_u64_u32 v[9:10], null, 0xd2511f53, v7, 0
	v_mad_u64_u32 v[11:12], null, 0xcd9e8d57, v0, 0
	s_delay_alu instid0(VALU_DEP_2) | instskip(NEXT) | instid1(VALU_DEP_2)
	v_xor3_b32 v0, v21, v10, v6
	v_xor3_b32 v8, v22, v12, v8
	s_delay_alu instid0(VALU_DEP_2) | instskip(NEXT) | instid1(VALU_DEP_2)
	v_mad_u64_u32 v[6:7], null, 0xcd9e8d57, v0, 0
	v_mad_u64_u32 v[17:18], null, 0xd2511f53, v8, 0
	s_delay_alu instid0(VALU_DEP_2) | instskip(NEXT) | instid1(VALU_DEP_2)
	v_xor3_b32 v0, v23, v7, v11
	v_xor3_b32 v11, v24, v18, v9
	;; [unrolled: 6-line block ×9, first 2 shown]
	s_delay_alu instid0(VALU_DEP_2)
	v_mov_b32_e32 v8, v12
	v_cmpx_lt_i32_e32 1, v29
	s_xor_b32 s17, exec_lo, s17
	s_cbranch_execnz .LBB30_12
; %bb.10:                               ;   in Loop: Header=BB30_9 Depth=1
	s_and_not1_saveexec_b32 s17, s17
	s_cbranch_execnz .LBB30_17
.LBB30_11:                              ;   in Loop: Header=BB30_9 Depth=1
	s_or_b32 exec_lo, exec_lo, s17
	s_delay_alu instid0(SALU_CYCLE_1)
	s_mov_b32 s17, exec_lo
	v_cmpx_gt_i64_e64 s[4:5], v[15:16]
	s_cbranch_execnz .LBB30_20
	s_branch .LBB30_23
.LBB30_12:                              ;   in Loop: Header=BB30_9 Depth=1
	s_mov_b32 s18, exec_lo
	v_cmpx_lt_i32_e32 2, v29
	s_xor_b32 s18, exec_lo, s18
; %bb.13:                               ;   in Loop: Header=BB30_9 Depth=1
	v_dual_mov_b32 v9, v5 :: v_dual_mov_b32 v10, v6
	v_mov_b32_e32 v11, v7
	s_delay_alu instid0(VALU_DEP_2) | instskip(NEXT) | instid1(VALU_DEP_2)
	v_dual_mov_b32 v2, v9 :: v_dual_mov_b32 v3, v10
	v_dual_mov_b32 v4, v11 :: v_dual_mov_b32 v5, v12
; %bb.14:                               ;   in Loop: Header=BB30_9 Depth=1
	s_and_not1_saveexec_b32 s18, s18
; %bb.15:                               ;   in Loop: Header=BB30_9 Depth=1
	s_delay_alu instid0(VALU_DEP_1)
	v_dual_mov_b32 v2, v4 :: v_dual_mov_b32 v3, v5
	v_dual_mov_b32 v4, v6 :: v_dual_mov_b32 v5, v7
; %bb.16:                               ;   in Loop: Header=BB30_9 Depth=1
	s_or_b32 exec_lo, exec_lo, s18
	s_and_not1_saveexec_b32 s17, s17
	s_cbranch_execz .LBB30_11
.LBB30_17:                              ;   in Loop: Header=BB30_9 Depth=1
	s_mov_b32 s18, exec_lo
	v_cmpx_eq_u32_e32 1, v29
; %bb.18:                               ;   in Loop: Header=BB30_9 Depth=1
	v_dual_mov_b32 v2, v3 :: v_dual_mov_b32 v3, v4
	v_dual_mov_b32 v4, v5 :: v_dual_mov_b32 v5, v6
; %bb.19:                               ;   in Loop: Header=BB30_9 Depth=1
	s_or_b32 exec_lo, exec_lo, s18
	s_delay_alu instid0(SALU_CYCLE_1) | instskip(NEXT) | instid1(SALU_CYCLE_1)
	s_or_b32 exec_lo, exec_lo, s17
	s_mov_b32 s17, exec_lo
	v_cmpx_gt_i64_e64 s[4:5], v[15:16]
	s_cbranch_execz .LBB30_23
.LBB30_20:                              ;   in Loop: Header=BB30_9 Depth=1
	v_mov_b32_e32 v0, v2
	s_mov_b32 s18, exec_lo
	s_delay_alu instid0(VALU_DEP_1)
	v_cmpx_le_u64_e64 s[0:1], v[0:1]
	s_cbranch_execz .LBB30_22
; %bb.21:                               ;   in Loop: Header=BB30_9 Depth=1
	v_cvt_f32_u32_e32 v2, s0
	s_sub_i32 s19, 0, s0
	s_delay_alu instid0(VALU_DEP_1) | instskip(SKIP_2) | instid1(VALU_DEP_1)
	v_rcp_iflag_f32_e32 v2, v2
	s_waitcnt_depctr 0xfff
	v_mul_f32_e32 v2, 0x4f7ffffe, v2
	v_cvt_u32_f32_e32 v2, v2
	s_delay_alu instid0(VALU_DEP_1) | instskip(NEXT) | instid1(VALU_DEP_1)
	v_mul_lo_u32 v9, s19, v2
	v_mul_hi_u32 v9, v2, v9
	s_delay_alu instid0(VALU_DEP_1) | instskip(NEXT) | instid1(VALU_DEP_1)
	v_add_nc_u32_e32 v2, v2, v9
	v_mul_hi_u32 v2, v0, v2
	s_delay_alu instid0(VALU_DEP_1) | instskip(NEXT) | instid1(VALU_DEP_1)
	v_mul_lo_u32 v2, v2, s0
	v_sub_nc_u32_e32 v0, v0, v2
	s_delay_alu instid0(VALU_DEP_1) | instskip(SKIP_1) | instid1(VALU_DEP_2)
	v_subrev_nc_u32_e32 v2, s0, v0
	v_cmp_le_u32_e32 vcc_lo, s0, v0
	v_cndmask_b32_e32 v0, v0, v2, vcc_lo
	s_delay_alu instid0(VALU_DEP_1) | instskip(SKIP_1) | instid1(VALU_DEP_2)
	v_subrev_nc_u32_e32 v2, s0, v0
	v_cmp_le_u32_e32 vcc_lo, s0, v0
	v_cndmask_b32_e32 v0, v0, v2, vcc_lo
.LBB30_22:                              ;   in Loop: Header=BB30_9 Depth=1
	s_or_b32 exec_lo, exec_lo, s18
	v_add_nc_u32_e32 v2, s16, v41
	s_delay_alu instid0(VALU_DEP_1) | instskip(SKIP_1) | instid1(VALU_DEP_2)
	v_ashrrev_i32_e32 v10, 31, v2
	v_add_co_u32 v9, vcc_lo, s8, v2
	v_add_co_ci_u32_e32 v10, vcc_lo, s9, v10, vcc_lo
	v_cmp_ne_u64_e32 vcc_lo, s[2:3], v[0:1]
	v_cndmask_b32_e64 v0, 0, 1, vcc_lo
	global_store_b8 v[9:10], v0, off
.LBB30_23:                              ;   in Loop: Header=BB30_9 Depth=1
	s_or_b32 exec_lo, exec_lo, s17
	v_add_co_u32 v9, vcc_lo, s10, v15
	v_add_co_ci_u32_e32 v10, vcc_lo, 0, v16, vcc_lo
	s_mov_b32 s17, exec_lo
	s_delay_alu instid0(VALU_DEP_1)
	v_cmpx_gt_i64_e64 s[4:5], v[9:10]
	s_cbranch_execz .LBB30_27
; %bb.24:                               ;   in Loop: Header=BB30_9 Depth=1
	v_mov_b32_e32 v0, v3
	s_mov_b32 s18, exec_lo
	s_delay_alu instid0(VALU_DEP_1)
	v_cmpx_le_u64_e64 s[0:1], v[0:1]
	s_cbranch_execz .LBB30_26
; %bb.25:                               ;   in Loop: Header=BB30_9 Depth=1
	v_cvt_f32_u32_e32 v2, s0
	s_sub_i32 s19, 0, s0
	s_delay_alu instid0(VALU_DEP_1) | instskip(SKIP_2) | instid1(VALU_DEP_1)
	v_rcp_iflag_f32_e32 v2, v2
	s_waitcnt_depctr 0xfff
	v_mul_f32_e32 v2, 0x4f7ffffe, v2
	v_cvt_u32_f32_e32 v2, v2
	s_delay_alu instid0(VALU_DEP_1) | instskip(NEXT) | instid1(VALU_DEP_1)
	v_mul_lo_u32 v3, s19, v2
	v_mul_hi_u32 v3, v2, v3
	s_delay_alu instid0(VALU_DEP_1) | instskip(NEXT) | instid1(VALU_DEP_1)
	v_add_nc_u32_e32 v2, v2, v3
	v_mul_hi_u32 v2, v0, v2
	s_delay_alu instid0(VALU_DEP_1) | instskip(NEXT) | instid1(VALU_DEP_1)
	v_mul_lo_u32 v2, v2, s0
	v_sub_nc_u32_e32 v0, v0, v2
	s_delay_alu instid0(VALU_DEP_1) | instskip(SKIP_1) | instid1(VALU_DEP_2)
	v_subrev_nc_u32_e32 v2, s0, v0
	v_cmp_le_u32_e32 vcc_lo, s0, v0
	v_cndmask_b32_e32 v0, v0, v2, vcc_lo
	s_delay_alu instid0(VALU_DEP_1) | instskip(SKIP_1) | instid1(VALU_DEP_2)
	v_subrev_nc_u32_e32 v2, s0, v0
	v_cmp_le_u32_e32 vcc_lo, s0, v0
	v_cndmask_b32_e32 v0, v0, v2, vcc_lo
.LBB30_26:                              ;   in Loop: Header=BB30_9 Depth=1
	s_or_b32 exec_lo, exec_lo, s18
	v_add_nc_u32_e32 v2, s16, v43
	s_delay_alu instid0(VALU_DEP_1) | instskip(SKIP_1) | instid1(VALU_DEP_2)
	v_ashrrev_i32_e32 v3, 31, v2
	v_add_co_u32 v2, vcc_lo, s8, v2
	v_add_co_ci_u32_e32 v3, vcc_lo, s9, v3, vcc_lo
	v_cmp_ne_u64_e32 vcc_lo, s[2:3], v[0:1]
	v_cndmask_b32_e64 v0, 0, 1, vcc_lo
	global_store_b8 v[2:3], v0, off
.LBB30_27:                              ;   in Loop: Header=BB30_9 Depth=1
	s_or_b32 exec_lo, exec_lo, s17
	v_add_co_u32 v2, vcc_lo, s13, v15
	v_add_co_ci_u32_e32 v3, vcc_lo, 0, v16, vcc_lo
	s_mov_b32 s17, exec_lo
	s_delay_alu instid0(VALU_DEP_1)
	v_cmpx_gt_i64_e64 s[4:5], v[2:3]
	s_cbranch_execz .LBB30_31
; %bb.28:                               ;   in Loop: Header=BB30_9 Depth=1
	v_mov_b32_e32 v0, v4
	s_mov_b32 s18, exec_lo
	s_delay_alu instid0(VALU_DEP_1)
	v_cmpx_le_u64_e64 s[0:1], v[0:1]
	s_cbranch_execz .LBB30_30
; %bb.29:                               ;   in Loop: Header=BB30_9 Depth=1
	v_cvt_f32_u32_e32 v2, s0
	s_sub_i32 s19, 0, s0
	s_delay_alu instid0(VALU_DEP_1) | instskip(SKIP_2) | instid1(VALU_DEP_1)
	v_rcp_iflag_f32_e32 v2, v2
	s_waitcnt_depctr 0xfff
	v_mul_f32_e32 v2, 0x4f7ffffe, v2
	v_cvt_u32_f32_e32 v2, v2
	s_delay_alu instid0(VALU_DEP_1) | instskip(NEXT) | instid1(VALU_DEP_1)
	v_mul_lo_u32 v3, s19, v2
	v_mul_hi_u32 v3, v2, v3
	s_delay_alu instid0(VALU_DEP_1) | instskip(NEXT) | instid1(VALU_DEP_1)
	v_add_nc_u32_e32 v2, v2, v3
	v_mul_hi_u32 v2, v0, v2
	s_delay_alu instid0(VALU_DEP_1) | instskip(NEXT) | instid1(VALU_DEP_1)
	v_mul_lo_u32 v2, v2, s0
	v_sub_nc_u32_e32 v0, v0, v2
	s_delay_alu instid0(VALU_DEP_1) | instskip(SKIP_1) | instid1(VALU_DEP_2)
	v_subrev_nc_u32_e32 v2, s0, v0
	v_cmp_le_u32_e32 vcc_lo, s0, v0
	v_cndmask_b32_e32 v0, v0, v2, vcc_lo
	s_delay_alu instid0(VALU_DEP_1) | instskip(SKIP_1) | instid1(VALU_DEP_2)
	v_subrev_nc_u32_e32 v2, s0, v0
	v_cmp_le_u32_e32 vcc_lo, s0, v0
	v_cndmask_b32_e32 v0, v0, v2, vcc_lo
.LBB30_30:                              ;   in Loop: Header=BB30_9 Depth=1
	s_or_b32 exec_lo, exec_lo, s18
	v_add_nc_u32_e32 v2, s16, v44
	s_delay_alu instid0(VALU_DEP_1) | instskip(SKIP_1) | instid1(VALU_DEP_2)
	v_ashrrev_i32_e32 v3, 31, v2
	v_add_co_u32 v2, vcc_lo, s8, v2
	v_add_co_ci_u32_e32 v3, vcc_lo, s9, v3, vcc_lo
	v_cmp_ne_u64_e32 vcc_lo, s[2:3], v[0:1]
	v_cndmask_b32_e64 v0, 0, 1, vcc_lo
	global_store_b8 v[2:3], v0, off
.LBB30_31:                              ;   in Loop: Header=BB30_9 Depth=1
	s_or_b32 exec_lo, exec_lo, s17
	v_add_co_u32 v2, vcc_lo, s14, v15
	v_add_co_ci_u32_e32 v3, vcc_lo, 0, v16, vcc_lo
	s_mov_b32 s17, exec_lo
	s_delay_alu instid0(VALU_DEP_1)
	v_cmpx_gt_i64_e64 s[4:5], v[2:3]
	s_cbranch_execz .LBB30_8
; %bb.32:                               ;   in Loop: Header=BB30_9 Depth=1
	v_mov_b32_e32 v0, v5
	s_mov_b32 s18, exec_lo
	s_delay_alu instid0(VALU_DEP_1)
	v_cmpx_le_u64_e64 s[0:1], v[0:1]
	s_cbranch_execz .LBB30_7
; %bb.33:                               ;   in Loop: Header=BB30_9 Depth=1
	v_cvt_f32_u32_e32 v2, s0
	s_sub_i32 s19, 0, s0
	s_delay_alu instid0(VALU_DEP_1) | instskip(SKIP_2) | instid1(VALU_DEP_1)
	v_rcp_iflag_f32_e32 v2, v2
	s_waitcnt_depctr 0xfff
	v_mul_f32_e32 v2, 0x4f7ffffe, v2
	v_cvt_u32_f32_e32 v2, v2
	s_delay_alu instid0(VALU_DEP_1) | instskip(NEXT) | instid1(VALU_DEP_1)
	v_mul_lo_u32 v3, s19, v2
	v_mul_hi_u32 v3, v2, v3
	s_delay_alu instid0(VALU_DEP_1) | instskip(NEXT) | instid1(VALU_DEP_1)
	v_add_nc_u32_e32 v2, v2, v3
	v_mul_hi_u32 v2, v0, v2
	s_delay_alu instid0(VALU_DEP_1) | instskip(NEXT) | instid1(VALU_DEP_1)
	v_mul_lo_u32 v2, v2, s0
	v_sub_nc_u32_e32 v0, v0, v2
	s_delay_alu instid0(VALU_DEP_1) | instskip(SKIP_1) | instid1(VALU_DEP_2)
	v_subrev_nc_u32_e32 v2, s0, v0
	v_cmp_le_u32_e32 vcc_lo, s0, v0
	v_cndmask_b32_e32 v0, v0, v2, vcc_lo
	s_delay_alu instid0(VALU_DEP_1) | instskip(SKIP_1) | instid1(VALU_DEP_2)
	v_subrev_nc_u32_e32 v2, s0, v0
	v_cmp_le_u32_e32 vcc_lo, s0, v0
	v_cndmask_b32_e32 v0, v0, v2, vcc_lo
	s_branch .LBB30_7
.LBB30_34:
	s_endpgm
.LBB30_35:
                                        ; implicit-def: $sgpr2_sgpr3
	s_branch .LBB30_4
	.section	.rodata,"a",@progbits
	.p2align	6, 0x0
	.amdhsa_kernel _ZN2at6native12_GLOBAL__N_143distribution_elementwise_grid_stride_kernelIjLi4EZZZNS0_9templates4cuda21random_from_to_kernelIPNS_17CUDAGeneratorImplEEEvRNS_18TensorIteratorBaseEmlT_ENKUlvE_clEvENKUlvE6_clEvEUlP25hiprandStatePhilox4_32_10E0_ZNS1_27distribution_nullary_kernelIbj15HIP_vector_typeIjLj4EES7_SF_ZZZNS5_IS7_EEvS9_mlSA_ENKSB_clEvENKSC_clEvEUljE_EEvS9_T2_RKT3_T4_EUlijE_EEvlNS_15PhiloxCudaStateET1_SK_
		.amdhsa_group_segment_fixed_size 0
		.amdhsa_private_segment_fixed_size 0
		.amdhsa_kernarg_size 336
		.amdhsa_user_sgpr_count 15
		.amdhsa_user_sgpr_dispatch_ptr 0
		.amdhsa_user_sgpr_queue_ptr 0
		.amdhsa_user_sgpr_kernarg_segment_ptr 1
		.amdhsa_user_sgpr_dispatch_id 0
		.amdhsa_user_sgpr_private_segment_size 0
		.amdhsa_wavefront_size32 1
		.amdhsa_uses_dynamic_stack 0
		.amdhsa_enable_private_segment 0
		.amdhsa_system_sgpr_workgroup_id_x 1
		.amdhsa_system_sgpr_workgroup_id_y 0
		.amdhsa_system_sgpr_workgroup_id_z 0
		.amdhsa_system_sgpr_workgroup_info 0
		.amdhsa_system_vgpr_workitem_id 0
		.amdhsa_next_free_vgpr 46
		.amdhsa_next_free_sgpr 23
		.amdhsa_reserve_vcc 1
		.amdhsa_float_round_mode_32 0
		.amdhsa_float_round_mode_16_64 0
		.amdhsa_float_denorm_mode_32 3
		.amdhsa_float_denorm_mode_16_64 3
		.amdhsa_dx10_clamp 1
		.amdhsa_ieee_mode 1
		.amdhsa_fp16_overflow 0
		.amdhsa_workgroup_processor_mode 1
		.amdhsa_memory_ordered 1
		.amdhsa_forward_progress 0
		.amdhsa_shared_vgpr_count 0
		.amdhsa_exception_fp_ieee_invalid_op 0
		.amdhsa_exception_fp_denorm_src 0
		.amdhsa_exception_fp_ieee_div_zero 0
		.amdhsa_exception_fp_ieee_overflow 0
		.amdhsa_exception_fp_ieee_underflow 0
		.amdhsa_exception_fp_ieee_inexact 0
		.amdhsa_exception_int_div_zero 0
	.end_amdhsa_kernel
	.section	.text._ZN2at6native12_GLOBAL__N_143distribution_elementwise_grid_stride_kernelIjLi4EZZZNS0_9templates4cuda21random_from_to_kernelIPNS_17CUDAGeneratorImplEEEvRNS_18TensorIteratorBaseEmlT_ENKUlvE_clEvENKUlvE6_clEvEUlP25hiprandStatePhilox4_32_10E0_ZNS1_27distribution_nullary_kernelIbj15HIP_vector_typeIjLj4EES7_SF_ZZZNS5_IS7_EEvS9_mlSA_ENKSB_clEvENKSC_clEvEUljE_EEvS9_T2_RKT3_T4_EUlijE_EEvlNS_15PhiloxCudaStateET1_SK_,"axG",@progbits,_ZN2at6native12_GLOBAL__N_143distribution_elementwise_grid_stride_kernelIjLi4EZZZNS0_9templates4cuda21random_from_to_kernelIPNS_17CUDAGeneratorImplEEEvRNS_18TensorIteratorBaseEmlT_ENKUlvE_clEvENKUlvE6_clEvEUlP25hiprandStatePhilox4_32_10E0_ZNS1_27distribution_nullary_kernelIbj15HIP_vector_typeIjLj4EES7_SF_ZZZNS5_IS7_EEvS9_mlSA_ENKSB_clEvENKSC_clEvEUljE_EEvS9_T2_RKT3_T4_EUlijE_EEvlNS_15PhiloxCudaStateET1_SK_,comdat
.Lfunc_end30:
	.size	_ZN2at6native12_GLOBAL__N_143distribution_elementwise_grid_stride_kernelIjLi4EZZZNS0_9templates4cuda21random_from_to_kernelIPNS_17CUDAGeneratorImplEEEvRNS_18TensorIteratorBaseEmlT_ENKUlvE_clEvENKUlvE6_clEvEUlP25hiprandStatePhilox4_32_10E0_ZNS1_27distribution_nullary_kernelIbj15HIP_vector_typeIjLj4EES7_SF_ZZZNS5_IS7_EEvS9_mlSA_ENKSB_clEvENKSC_clEvEUljE_EEvS9_T2_RKT3_T4_EUlijE_EEvlNS_15PhiloxCudaStateET1_SK_, .Lfunc_end30-_ZN2at6native12_GLOBAL__N_143distribution_elementwise_grid_stride_kernelIjLi4EZZZNS0_9templates4cuda21random_from_to_kernelIPNS_17CUDAGeneratorImplEEEvRNS_18TensorIteratorBaseEmlT_ENKUlvE_clEvENKUlvE6_clEvEUlP25hiprandStatePhilox4_32_10E0_ZNS1_27distribution_nullary_kernelIbj15HIP_vector_typeIjLj4EES7_SF_ZZZNS5_IS7_EEvS9_mlSA_ENKSB_clEvENKSC_clEvEUljE_EEvS9_T2_RKT3_T4_EUlijE_EEvlNS_15PhiloxCudaStateET1_SK_
                                        ; -- End function
	.section	.AMDGPU.csdata,"",@progbits
; Kernel info:
; codeLenInByte = 3444
; NumSgprs: 25
; NumVgprs: 46
; ScratchSize: 0
; MemoryBound: 0
; FloatMode: 240
; IeeeMode: 1
; LDSByteSize: 0 bytes/workgroup (compile time only)
; SGPRBlocks: 3
; VGPRBlocks: 5
; NumSGPRsForWavesPerEU: 25
; NumVGPRsForWavesPerEU: 46
; Occupancy: 16
; WaveLimiterHint : 0
; COMPUTE_PGM_RSRC2:SCRATCH_EN: 0
; COMPUTE_PGM_RSRC2:USER_SGPR: 15
; COMPUTE_PGM_RSRC2:TRAP_HANDLER: 0
; COMPUTE_PGM_RSRC2:TGID_X_EN: 1
; COMPUTE_PGM_RSRC2:TGID_Y_EN: 0
; COMPUTE_PGM_RSRC2:TGID_Z_EN: 0
; COMPUTE_PGM_RSRC2:TIDIG_COMP_CNT: 0
	.section	.text._ZN2at6native12_GLOBAL__N_143distribution_elementwise_grid_stride_kernelIjLi4EZZZNS0_9templates4cuda21random_from_to_kernelIPNS_17CUDAGeneratorImplEEEvRNS_18TensorIteratorBaseEmlT_ENKUlvE_clEvENKUlvE6_clEvEUlP25hiprandStatePhilox4_32_10E0_ZNS1_27distribution_nullary_kernelIbj15HIP_vector_typeIjLj4EES7_SF_ZZZNS5_IS7_EEvS9_mlSA_ENKSB_clEvENKSC_clEvEUljE_EEvS9_T2_RKT3_T4_EUlijE0_EEvlNS_15PhiloxCudaStateET1_SK_,"axG",@progbits,_ZN2at6native12_GLOBAL__N_143distribution_elementwise_grid_stride_kernelIjLi4EZZZNS0_9templates4cuda21random_from_to_kernelIPNS_17CUDAGeneratorImplEEEvRNS_18TensorIteratorBaseEmlT_ENKUlvE_clEvENKUlvE6_clEvEUlP25hiprandStatePhilox4_32_10E0_ZNS1_27distribution_nullary_kernelIbj15HIP_vector_typeIjLj4EES7_SF_ZZZNS5_IS7_EEvS9_mlSA_ENKSB_clEvENKSC_clEvEUljE_EEvS9_T2_RKT3_T4_EUlijE0_EEvlNS_15PhiloxCudaStateET1_SK_,comdat
	.globl	_ZN2at6native12_GLOBAL__N_143distribution_elementwise_grid_stride_kernelIjLi4EZZZNS0_9templates4cuda21random_from_to_kernelIPNS_17CUDAGeneratorImplEEEvRNS_18TensorIteratorBaseEmlT_ENKUlvE_clEvENKUlvE6_clEvEUlP25hiprandStatePhilox4_32_10E0_ZNS1_27distribution_nullary_kernelIbj15HIP_vector_typeIjLj4EES7_SF_ZZZNS5_IS7_EEvS9_mlSA_ENKSB_clEvENKSC_clEvEUljE_EEvS9_T2_RKT3_T4_EUlijE0_EEvlNS_15PhiloxCudaStateET1_SK_ ; -- Begin function _ZN2at6native12_GLOBAL__N_143distribution_elementwise_grid_stride_kernelIjLi4EZZZNS0_9templates4cuda21random_from_to_kernelIPNS_17CUDAGeneratorImplEEEvRNS_18TensorIteratorBaseEmlT_ENKUlvE_clEvENKUlvE6_clEvEUlP25hiprandStatePhilox4_32_10E0_ZNS1_27distribution_nullary_kernelIbj15HIP_vector_typeIjLj4EES7_SF_ZZZNS5_IS7_EEvS9_mlSA_ENKSB_clEvENKSC_clEvEUljE_EEvS9_T2_RKT3_T4_EUlijE0_EEvlNS_15PhiloxCudaStateET1_SK_
	.p2align	8
	.type	_ZN2at6native12_GLOBAL__N_143distribution_elementwise_grid_stride_kernelIjLi4EZZZNS0_9templates4cuda21random_from_to_kernelIPNS_17CUDAGeneratorImplEEEvRNS_18TensorIteratorBaseEmlT_ENKUlvE_clEvENKUlvE6_clEvEUlP25hiprandStatePhilox4_32_10E0_ZNS1_27distribution_nullary_kernelIbj15HIP_vector_typeIjLj4EES7_SF_ZZZNS5_IS7_EEvS9_mlSA_ENKSB_clEvENKSC_clEvEUljE_EEvS9_T2_RKT3_T4_EUlijE0_EEvlNS_15PhiloxCudaStateET1_SK_,@function
_ZN2at6native12_GLOBAL__N_143distribution_elementwise_grid_stride_kernelIjLi4EZZZNS0_9templates4cuda21random_from_to_kernelIPNS_17CUDAGeneratorImplEEEvRNS_18TensorIteratorBaseEmlT_ENKUlvE_clEvENKUlvE6_clEvEUlP25hiprandStatePhilox4_32_10E0_ZNS1_27distribution_nullary_kernelIbj15HIP_vector_typeIjLj4EES7_SF_ZZZNS5_IS7_EEvS9_mlSA_ENKSB_clEvENKSC_clEvEUljE_EEvS9_T2_RKT3_T4_EUlijE0_EEvlNS_15PhiloxCudaStateET1_SK_: ; @_ZN2at6native12_GLOBAL__N_143distribution_elementwise_grid_stride_kernelIjLi4EZZZNS0_9templates4cuda21random_from_to_kernelIPNS_17CUDAGeneratorImplEEEvRNS_18TensorIteratorBaseEmlT_ENKUlvE_clEvENKUlvE6_clEvEUlP25hiprandStatePhilox4_32_10E0_ZNS1_27distribution_nullary_kernelIbj15HIP_vector_typeIjLj4EES7_SF_ZZZNS5_IS7_EEvS9_mlSA_ENKSB_clEvENKSC_clEvEUljE_EEvS9_T2_RKT3_T4_EUlijE0_EEvlNS_15PhiloxCudaStateET1_SK_
; %bb.0:
	s_clause 0x2
	s_load_b64 s[4:5], s[0:1], 0x10
	s_load_b128 s[16:19], s[0:1], 0x0
	s_load_b32 s2, s[0:1], 0x20
	s_waitcnt lgkmcnt(0)
	v_dual_mov_b32 v2, s4 :: v_dual_mov_b32 v3, s5
	v_dual_mov_b32 v13, s18 :: v_dual_mov_b32 v14, s19
	s_bitcmp0_b32 s2, 0
	s_mov_b32 s2, 0
	s_cbranch_scc1 .LBB31_2
; %bb.1:
	v_dual_mov_b32 v1, s4 :: v_dual_mov_b32 v2, s5
	v_dual_mov_b32 v4, s18 :: v_dual_mov_b32 v5, s19
	s_load_b64 s[4:5], s[0:1], 0x18
	flat_load_b64 v[2:3], v[1:2]
	flat_load_b64 v[13:14], v[4:5]
	s_waitcnt vmcnt(1) lgkmcnt(0)
	v_add_co_u32 v2, vcc_lo, v2, s4
	v_add_co_ci_u32_e32 v3, vcc_lo, s5, v3, vcc_lo
.LBB31_2:
	s_clause 0x1
	s_load_b32 s3, s[0:1], 0x15c
	s_load_b32 s4, s[0:1], 0x150
	s_waitcnt lgkmcnt(0)
	s_and_b32 s5, s3, 0xffff
	s_add_u32 s6, s16, -1
	s_mul_i32 s28, s4, s5
	s_addc_u32 s3, s17, -1
	s_lshl_b32 s29, s28, 2
	s_cmp_lg_u64 s[2:3], 0
	s_cbranch_scc0 .LBB31_87
; %bb.3:
	v_cvt_f32_ubyte0_e32 v1, 0
	v_cvt_f32_u32_e32 v4, s29
	s_sub_u32 s8, 0, s29
	s_subb_u32 s9, 0, 0
	s_delay_alu instid0(VALU_DEP_1) | instskip(NEXT) | instid1(VALU_DEP_1)
	v_fmamk_f32 v1, v1, 0x4f800000, v4
	v_rcp_f32_e32 v1, v1
	s_waitcnt_depctr 0xfff
	v_mul_f32_e32 v1, 0x5f7ffffc, v1
	s_delay_alu instid0(VALU_DEP_1) | instskip(NEXT) | instid1(VALU_DEP_1)
	v_mul_f32_e32 v4, 0x2f800000, v1
	v_trunc_f32_e32 v4, v4
	s_delay_alu instid0(VALU_DEP_1) | instskip(SKIP_1) | instid1(VALU_DEP_2)
	v_fmamk_f32 v1, v4, 0xcf800000, v1
	v_cvt_u32_f32_e32 v4, v4
	v_cvt_u32_f32_e32 v1, v1
	s_delay_alu instid0(VALU_DEP_2) | instskip(NEXT) | instid1(VALU_DEP_2)
	v_readfirstlane_b32 s2, v4
	v_readfirstlane_b32 s7, v1
	s_delay_alu instid0(VALU_DEP_2) | instskip(NEXT) | instid1(VALU_DEP_1)
	s_mul_i32 s10, s8, s2
	s_mul_hi_u32 s12, s8, s7
	s_mul_i32 s11, s9, s7
	s_add_i32 s10, s12, s10
	s_mul_i32 s13, s8, s7
	s_add_i32 s10, s10, s11
	s_mul_hi_u32 s12, s7, s13
	s_mul_hi_u32 s14, s2, s13
	s_mul_i32 s11, s2, s13
	s_mul_hi_u32 s13, s7, s10
	s_mul_i32 s7, s7, s10
	s_mul_hi_u32 s18, s2, s10
	s_add_u32 s7, s12, s7
	s_addc_u32 s12, 0, s13
	s_add_u32 s7, s7, s11
	s_mul_i32 s10, s2, s10
	s_addc_u32 s7, s12, s14
	s_addc_u32 s11, s18, 0
	s_add_u32 s7, s7, s10
	s_addc_u32 s10, 0, s11
	v_add_co_u32 v1, s7, v1, s7
	s_delay_alu instid0(VALU_DEP_1) | instskip(SKIP_1) | instid1(VALU_DEP_1)
	s_cmp_lg_u32 s7, 0
	s_addc_u32 s2, s2, s10
	v_readfirstlane_b32 s7, v1
	s_mul_i32 s10, s8, s2
	s_delay_alu instid0(VALU_DEP_1)
	s_mul_hi_u32 s11, s8, s7
	s_mul_i32 s9, s9, s7
	s_add_i32 s10, s11, s10
	s_mul_i32 s8, s8, s7
	s_add_i32 s10, s10, s9
	s_mul_hi_u32 s11, s2, s8
	s_mul_i32 s12, s2, s8
	s_mul_hi_u32 s8, s7, s8
	s_mul_hi_u32 s13, s7, s10
	s_mul_i32 s7, s7, s10
	s_mul_hi_u32 s9, s2, s10
	s_add_u32 s7, s8, s7
	s_addc_u32 s8, 0, s13
	s_add_u32 s7, s7, s12
	s_mul_i32 s10, s2, s10
	s_addc_u32 s7, s8, s11
	s_addc_u32 s8, s9, 0
	s_add_u32 s7, s7, s10
	s_addc_u32 s8, 0, s8
	v_add_co_u32 v1, s7, v1, s7
	s_delay_alu instid0(VALU_DEP_1) | instskip(SKIP_2) | instid1(VALU_DEP_1)
	s_cmp_lg_u32 s7, 0
	s_addc_u32 s7, s2, s8
	s_ashr_i32 s8, s3, 31
	v_readfirstlane_b32 s10, v1
	s_add_u32 s2, s6, s8
	s_mov_b32 s9, s8
	s_addc_u32 s3, s3, s8
	s_delay_alu instid0(SALU_CYCLE_1) | instskip(NEXT) | instid1(SALU_CYCLE_1)
	s_xor_b64 s[2:3], s[2:3], s[8:9]
	s_mul_i32 s12, s2, s7
	s_mul_hi_u32 s13, s2, s10
	s_mul_hi_u32 s11, s2, s7
	;; [unrolled: 1-line block ×3, first 2 shown]
	s_mul_i32 s10, s3, s10
	s_add_u32 s12, s13, s12
	s_addc_u32 s11, 0, s11
	s_mul_hi_u32 s14, s3, s7
	s_add_u32 s10, s12, s10
	s_mul_i32 s7, s3, s7
	s_addc_u32 s10, s11, s18
	s_addc_u32 s11, s14, 0
	s_add_u32 s7, s10, s7
	s_addc_u32 s10, 0, s11
	s_mul_i32 s12, s29, s7
	s_add_u32 s11, s7, 1
	v_sub_co_u32 v1, s2, s2, s12
	s_mul_hi_u32 s12, s29, s7
	s_addc_u32 s13, s10, 0
	s_mul_i32 s14, s29, s10
	s_delay_alu instid0(VALU_DEP_1)
	v_sub_co_u32 v4, s18, v1, s29
	s_add_u32 s19, s7, 2
	s_addc_u32 s20, s10, 0
	s_add_i32 s12, s12, s14
	s_cmp_lg_u32 s2, 0
	v_readfirstlane_b32 s2, v4
	s_subb_u32 s3, s3, s12
	s_cmp_lg_u32 s18, 0
	s_subb_u32 s12, s3, 0
	s_delay_alu instid0(VALU_DEP_1) | instskip(SKIP_4) | instid1(SALU_CYCLE_1)
	s_cmp_ge_u32 s2, s29
	s_cselect_b32 s2, -1, 0
	s_cmp_eq_u32 s12, 0
	v_readfirstlane_b32 s12, v1
	s_cselect_b32 s2, s2, -1
	s_cmp_lg_u32 s2, 0
	s_cselect_b32 s2, s19, s11
	s_cselect_b32 s11, s20, s13
	s_cmp_ge_u32 s12, s29
	s_cselect_b32 s12, -1, 0
	s_cmp_eq_u32 s3, 0
	s_cselect_b32 s3, s12, -1
	s_delay_alu instid0(SALU_CYCLE_1) | instskip(SKIP_2) | instid1(SALU_CYCLE_1)
	s_cmp_lg_u32 s3, 0
	s_cselect_b32 s3, s11, s10
	s_cselect_b32 s2, s2, s7
	s_xor_b64 s[2:3], s[2:3], s[8:9]
	s_delay_alu instid0(SALU_CYCLE_1)
	s_sub_u32 s2, s2, s8
	s_subb_u32 s3, s3, s8
	s_cbranch_execnz .LBB31_5
.LBB31_4:
	v_cvt_f32_u32_e32 v1, s29
	s_sub_i32 s3, 0, s29
	s_delay_alu instid0(VALU_DEP_1) | instskip(SKIP_2) | instid1(VALU_DEP_1)
	v_rcp_iflag_f32_e32 v1, v1
	s_waitcnt_depctr 0xfff
	v_mul_f32_e32 v1, 0x4f7ffffe, v1
	v_cvt_u32_f32_e32 v1, v1
	s_delay_alu instid0(VALU_DEP_1) | instskip(NEXT) | instid1(VALU_DEP_1)
	v_readfirstlane_b32 s2, v1
	s_mul_i32 s3, s3, s2
	s_delay_alu instid0(SALU_CYCLE_1) | instskip(NEXT) | instid1(SALU_CYCLE_1)
	s_mul_hi_u32 s3, s2, s3
	s_add_i32 s2, s2, s3
	s_delay_alu instid0(SALU_CYCLE_1) | instskip(NEXT) | instid1(SALU_CYCLE_1)
	s_mul_hi_u32 s2, s6, s2
	s_mul_i32 s3, s2, s29
	s_delay_alu instid0(SALU_CYCLE_1)
	s_sub_i32 s3, s6, s3
	s_add_i32 s6, s2, 1
	s_sub_i32 s7, s3, s29
	s_cmp_ge_u32 s3, s29
	s_cselect_b32 s2, s6, s2
	s_cselect_b32 s3, s7, s3
	s_add_i32 s6, s2, 1
	s_cmp_ge_u32 s3, s29
	s_mov_b32 s3, 0
	s_cselect_b32 s2, s6, s2
.LBB31_5:
	v_mov_b32_e32 v1, 0
	s_add_u32 s2, s2, 1
	s_addc_u32 s3, s3, 0
	s_mul_hi_u32 s6, s28, s2
	s_mul_i32 s3, s28, s3
	v_mad_u64_u32 v[15:16], null, s5, s15, v[0:1]
	s_mul_hi_u32 s4, s4, s5
	s_add_i32 s3, s6, s3
	s_mul_i32 s4, s4, s2
	s_mul_i32 s2, s28, s2
	s_add_i32 s3, s3, s4
	s_mov_b32 s4, exec_lo
	s_lshl_b64 s[2:3], s[2:3], 2
	s_delay_alu instid0(SALU_CYCLE_1)
	v_cmpx_gt_i64_e64 s[2:3], v[15:16]
	s_cbranch_execz .LBB31_86
; %bb.6:
	v_alignbit_b32 v19, v3, v2, 2
	v_mad_u64_u32 v[6:7], null, 0xcd9e8d57, v15, 0
	v_lshrrev_b32_e32 v20, 2, v3
	s_waitcnt vmcnt(0)
	v_dual_mov_b32 v11, v14 :: v_dual_and_b32 v26, 3, v2
	v_mad_u64_u32 v[4:5], null, 0xd2511f53, v19, 0
	v_add_co_u32 v22, null, 0x9e3779b9, v13
	v_xor3_b32 v3, v13, v7, v20
	s_delay_alu instid0(VALU_DEP_4) | instskip(SKIP_2) | instid1(VALU_DEP_4)
	v_add_co_u32 v21, null, 0xbb67ae85, v11
	v_add_co_u32 v23, null, 0x3c6ef372, v13
	v_xor_b32_e32 v0, v5, v14
	v_mad_u64_u32 v[7:8], null, 0xd2511f53, v3, 0
	v_add_co_u32 v24, null, 0x76cf5d0a, v11
	s_delay_alu instid0(VALU_DEP_3) | instskip(SKIP_2) | instid1(VALU_DEP_3)
	v_xor_b32_e32 v0, v0, v16
	v_add_co_u32 v25, null, 0x32370b8f, v11
	v_add_co_u32 v27, null, 0xdaa66d2b, v13
	v_mad_u64_u32 v[9:10], null, 0xcd9e8d57, v0, 0
	v_xor3_b32 v0, v21, v8, v4
	v_add_co_u32 v30, null, 0x78dde6e4, v13
	v_add_co_u32 v31, null, 0xed9eba14, v11
	s_delay_alu instid0(VALU_DEP_3) | instskip(SKIP_3) | instid1(VALU_DEP_3)
	v_mad_u64_u32 v[3:4], null, 0xcd9e8d57, v0, 0
	v_xor3_b32 v8, v22, v10, v6
	v_add_co_u32 v33, null, 0x1715609d, v13
	v_add_co_u32 v34, null, 0xa9066899, v11
	v_mad_u64_u32 v[5:6], null, 0xd2511f53, v8, 0
	v_xor3_b32 v0, v23, v4, v9
	v_add_co_u32 v35, null, 0xb54cda56, v13
	v_add_co_u32 v37, null, 0x646e171e, v11
	s_load_b256 s[4:11], s[0:1], 0x30
	s_delay_alu instid0(VALU_DEP_4) | instskip(SKIP_2) | instid1(VALU_DEP_3)
	v_xor3_b32 v4, v24, v6, v7
	v_mad_u64_u32 v[6:7], null, 0xd2511f53, v0, 0
	v_add_co_u32 v32, null, 0x5384540f, v13
	v_mad_u64_u32 v[8:9], null, 0xcd9e8d57, v4, 0
	v_add_co_u32 v38, null, 0x1fd5c5a3, v11
	s_delay_alu instid0(VALU_DEP_4) | instskip(SKIP_2) | instid1(VALU_DEP_4)
	v_xor3_b32 v0, v25, v7, v5
	s_load_b64 s[22:23], s[0:1], 0x148
	v_add_co_u32 v36, null, 0xf1bbcdc8, v13
	v_xor3_b32 v7, v27, v9, v3
	s_delay_alu instid0(VALU_DEP_3) | instskip(SKIP_1) | instid1(VALU_DEP_3)
	v_mad_u64_u32 v[2:3], null, 0xcd9e8d57, v0, 0
	v_add_co_u32 v40, null, 0xdb3d7428, v11
	v_mad_u64_u32 v[4:5], null, 0xd2511f53, v7, 0
	s_add_u32 s18, s0, 48
	s_addc_u32 s19, s1, 0
	s_delay_alu instid0(VALU_DEP_3)
	v_xor3_b32 v0, v30, v3, v8
	s_waitcnt lgkmcnt(0)
	s_add_i32 s24, s4, -1
	s_clause 0x1
	s_load_b64 s[20:21], s[0:1], 0xf4
	s_load_b128 s[12:15], s[0:1], 0x138
	s_cmp_gt_u32 s24, 1
	v_xor3_b32 v3, v31, v5, v6
	v_mad_u64_u32 v[5:6], null, 0xd2511f53, v0, 0
	s_cselect_b32 s11, -1, 0
	s_cmp_lg_u32 s4, 0
	s_delay_alu instid0(VALU_DEP_2) | instskip(SKIP_2) | instid1(VALU_DEP_2)
	v_mad_u64_u32 v[7:8], null, 0xcd9e8d57, v3, 0
	s_cselect_b32 s31, -1, 0
	s_add_u32 s0, s0, 0xf4
	v_xor3_b32 v0, v34, v6, v4
	s_addc_u32 s1, s1, 0
	s_min_u32 s25, s24, 15
	s_cmp_gt_u32 s4, 1
	s_delay_alu instid0(VALU_DEP_2) | instskip(SKIP_3) | instid1(VALU_DEP_2)
	v_xor3_b32 v4, v33, v8, v2
	v_mad_u64_u32 v[2:3], null, 0xcd9e8d57, v0, 0
	s_cselect_b32 s4, -1, 0
	s_sub_u32 s22, 0, s22
	v_mad_u64_u32 v[8:9], null, 0xd2511f53, v4, 0
	v_dual_mov_b32 v39, v15 :: v_dual_add_nc_u32 v28, 0x8ff34781, v13
	s_delay_alu instid0(VALU_DEP_3) | instskip(SKIP_3) | instid1(VALU_DEP_4)
	v_xor3_b32 v0, v35, v3, v7
	v_add_nc_u32_e32 v29, 0x96a522ad, v14
	s_subb_u32 s23, 0, s23
	s_add_i32 s25, s25, 1
	v_xor3_b32 v7, v37, v9, v5
	v_mad_u64_u32 v[3:4], null, 0xd2511f53, v0, 0
	s_lshl_b32 s33, s28, 1
	s_and_b32 s34, s25, 3
	s_delay_alu instid0(VALU_DEP_2) | instskip(SKIP_2) | instid1(VALU_DEP_3)
	v_mad_u64_u32 v[5:6], null, 0xcd9e8d57, v7, 0
	s_cmp_lg_u32 s24, 2
	v_mov_b32_e32 v41, v16
	v_xor3_b32 v0, v38, v4, v8
	s_cselect_b32 s35, -1, 0
	s_and_b32 s36, s25, 28
	s_cmp_lg_u32 s34, 0
	s_delay_alu instid0(VALU_DEP_3) | instskip(SKIP_3) | instid1(VALU_DEP_2)
	v_xor3_b32 v2, v32, v6, v2
	v_mad_u64_u32 v[6:7], null, 0xcd9e8d57, v0, 0
	s_mov_b32 s30, 0
	s_mul_i32 s37, s28, 3
	v_mad_u64_u32 v[8:9], null, 0xd2511f53, v2, 0
	s_cselect_b32 s38, -1, 0
	s_delay_alu instid0(VALU_DEP_2) | instskip(NEXT) | instid1(VALU_DEP_2)
	v_xor3_b32 v0, v36, v7, v5
	v_xor3_b32 v2, v40, v9, v3
	s_delay_alu instid0(VALU_DEP_2) | instskip(NEXT) | instid1(VALU_DEP_2)
	v_mad_u64_u32 v[9:10], null, 0xd2511f53, v0, 0
	v_mad_u64_u32 v[3:4], null, 0xcd9e8d57, v2, 0
	s_delay_alu instid0(VALU_DEP_2) | instskip(NEXT) | instid1(VALU_DEP_2)
	v_mov_b32_e32 v5, v9
	v_xor3_b32 v2, v4, v6, v28
	s_delay_alu instid0(VALU_DEP_4)
	v_xor3_b32 v4, v10, v8, v29
	s_branch .LBB31_9
.LBB31_7:                               ;   in Loop: Header=BB31_9 Depth=1
	s_or_b32 exec_lo, exec_lo, s24
	s_delay_alu instid0(VALU_DEP_1)
	v_cmp_ne_u64_e32 vcc_lo, s[22:23], v[0:1]
	v_cndmask_b32_e64 v0, 0, 1, vcc_lo
	global_store_b8 v2, v0, s[12:13]
.LBB31_8:                               ;   in Loop: Header=BB31_9 Depth=1
	s_or_b32 exec_lo, exec_lo, s39
	v_add_co_u32 v15, vcc_lo, v15, s29
	v_add_co_ci_u32_e32 v16, vcc_lo, 0, v16, vcc_lo
	v_mov_b32_e32 v9, v17
	v_dual_mov_b32 v2, v6 :: v_dual_mov_b32 v3, v7
	s_delay_alu instid0(VALU_DEP_3) | instskip(NEXT) | instid1(VALU_DEP_3)
	v_cmp_le_i64_e32 vcc_lo, s[2:3], v[15:16]
	v_dual_mov_b32 v4, v8 :: v_dual_mov_b32 v5, v9
	s_waitcnt lgkmcnt(0)
	s_waitcnt_vscnt null, 0x0
	s_barrier
	buffer_gl0_inv
	s_or_b32 s30, vcc_lo, s30
	s_delay_alu instid0(SALU_CYCLE_1)
	s_and_not1_b32 exec_lo, exec_lo, s30
	s_cbranch_execz .LBB31_86
.LBB31_9:                               ; =>This Loop Header: Depth=1
                                        ;     Child Loop BB31_24 Depth 2
                                        ;     Child Loop BB31_29 Depth 2
	;; [unrolled: 1-line block ×8, first 2 shown]
	v_add_co_u32 v19, vcc_lo, v19, 1
	s_delay_alu instid0(VALU_DEP_1) | instskip(SKIP_1) | instid1(VALU_DEP_3)
	v_cndmask_b32_e64 v0, 0, 1, vcc_lo
	v_add_co_ci_u32_e32 v20, vcc_lo, 0, v20, vcc_lo
	v_mad_u64_u32 v[6:7], null, 0xd2511f53, v19, 0
	s_mov_b32 s24, exec_lo
	s_delay_alu instid0(VALU_DEP_2) | instskip(SKIP_1) | instid1(VALU_DEP_1)
	v_cmp_eq_u32_e32 vcc_lo, 0, v20
	v_cndmask_b32_e32 v0, 0, v0, vcc_lo
	v_add_nc_u32_e32 v39, v0, v39
	s_delay_alu instid0(VALU_DEP_1) | instskip(SKIP_2) | instid1(VALU_DEP_2)
	v_cmp_eq_u32_e32 vcc_lo, 0, v39
	v_cndmask_b32_e32 v0, 0, v0, vcc_lo
	v_mad_u64_u32 v[8:9], null, 0xcd9e8d57, v39, 0
	v_add_nc_u32_e32 v41, v0, v41
	v_xor_b32_e32 v0, v7, v14
	s_delay_alu instid0(VALU_DEP_3) | instskip(NEXT) | instid1(VALU_DEP_2)
	v_xor3_b32 v7, v9, v13, v20
	v_xor_b32_e32 v0, v41, v0
	s_delay_alu instid0(VALU_DEP_2) | instskip(NEXT) | instid1(VALU_DEP_2)
	v_mad_u64_u32 v[9:10], null, 0xd2511f53, v7, 0
	v_mad_u64_u32 v[11:12], null, 0xcd9e8d57, v0, 0
	s_delay_alu instid0(VALU_DEP_2) | instskip(NEXT) | instid1(VALU_DEP_2)
	v_xor3_b32 v0, v21, v10, v6
	v_xor3_b32 v8, v22, v12, v8
	s_delay_alu instid0(VALU_DEP_2) | instskip(NEXT) | instid1(VALU_DEP_2)
	v_mad_u64_u32 v[6:7], null, 0xcd9e8d57, v0, 0
	v_mad_u64_u32 v[17:18], null, 0xd2511f53, v8, 0
	s_delay_alu instid0(VALU_DEP_2) | instskip(NEXT) | instid1(VALU_DEP_2)
	v_xor3_b32 v0, v23, v7, v11
	v_xor3_b32 v11, v24, v18, v9
	;; [unrolled: 6-line block ×9, first 2 shown]
	s_delay_alu instid0(VALU_DEP_2)
	v_mov_b32_e32 v8, v12
	v_cmpx_lt_i32_e32 1, v26
	s_xor_b32 s24, exec_lo, s24
	s_cbranch_execnz .LBB31_12
; %bb.10:                               ;   in Loop: Header=BB31_9 Depth=1
	s_and_not1_saveexec_b32 s24, s24
	s_cbranch_execnz .LBB31_17
.LBB31_11:                              ;   in Loop: Header=BB31_9 Depth=1
	s_or_b32 exec_lo, exec_lo, s24
	s_delay_alu instid0(SALU_CYCLE_1)
	s_mov_b32 s39, exec_lo
	v_cmpx_gt_i64_e64 s[16:17], v[15:16]
	s_cbranch_execnz .LBB31_20
	s_branch .LBB31_36
.LBB31_12:                              ;   in Loop: Header=BB31_9 Depth=1
	s_mov_b32 s25, exec_lo
	v_cmpx_lt_i32_e32 2, v26
	s_xor_b32 s25, exec_lo, s25
; %bb.13:                               ;   in Loop: Header=BB31_9 Depth=1
	v_dual_mov_b32 v9, v5 :: v_dual_mov_b32 v10, v6
	v_mov_b32_e32 v11, v7
	s_delay_alu instid0(VALU_DEP_2) | instskip(NEXT) | instid1(VALU_DEP_2)
	v_dual_mov_b32 v2, v9 :: v_dual_mov_b32 v3, v10
	v_dual_mov_b32 v4, v11 :: v_dual_mov_b32 v5, v12
; %bb.14:                               ;   in Loop: Header=BB31_9 Depth=1
	s_and_not1_saveexec_b32 s25, s25
; %bb.15:                               ;   in Loop: Header=BB31_9 Depth=1
	s_delay_alu instid0(VALU_DEP_1)
	v_dual_mov_b32 v2, v4 :: v_dual_mov_b32 v3, v5
	v_dual_mov_b32 v4, v6 :: v_dual_mov_b32 v5, v7
; %bb.16:                               ;   in Loop: Header=BB31_9 Depth=1
	s_or_b32 exec_lo, exec_lo, s25
	s_and_not1_saveexec_b32 s24, s24
	s_cbranch_execz .LBB31_11
.LBB31_17:                              ;   in Loop: Header=BB31_9 Depth=1
	s_mov_b32 s25, exec_lo
	v_cmpx_eq_u32_e32 1, v26
; %bb.18:                               ;   in Loop: Header=BB31_9 Depth=1
	v_dual_mov_b32 v2, v3 :: v_dual_mov_b32 v3, v4
	v_dual_mov_b32 v4, v5 :: v_dual_mov_b32 v5, v6
; %bb.19:                               ;   in Loop: Header=BB31_9 Depth=1
	s_or_b32 exec_lo, exec_lo, s25
	s_delay_alu instid0(SALU_CYCLE_1) | instskip(NEXT) | instid1(SALU_CYCLE_1)
	s_or_b32 exec_lo, exec_lo, s24
	s_mov_b32 s39, exec_lo
	v_cmpx_gt_i64_e64 s[16:17], v[15:16]
	s_cbranch_execz .LBB31_36
.LBB31_20:                              ;   in Loop: Header=BB31_9 Depth=1
	s_and_not1_b32 vcc_lo, exec_lo, s11
	s_cbranch_vccnz .LBB31_26
; %bb.21:                               ;   in Loop: Header=BB31_9 Depth=1
	v_mov_b32_e32 v9, 0
	s_and_not1_b32 vcc_lo, exec_lo, s31
	s_cbranch_vccnz .LBB31_30
; %bb.22:                               ;   in Loop: Header=BB31_9 Depth=1
	s_and_not1_b32 vcc_lo, exec_lo, s35
	s_mov_b32 s24, 0
	s_cbranch_vccnz .LBB31_27
; %bb.23:                               ;   in Loop: Header=BB31_9 Depth=1
	v_dual_mov_b32 v9, 0 :: v_dual_mov_b32 v0, v15
	s_mov_b32 s40, 0
	s_mov_b64 s[24:25], s[18:19]
	s_mov_b64 s[26:27], s[0:1]
.LBB31_24:                              ;   Parent Loop BB31_9 Depth=1
                                        ; =>  This Inner Loop Header: Depth=2
	s_clause 0x1
	s_load_b256 s[44:51], s[24:25], 0x4
	s_load_b128 s[52:55], s[24:25], 0x24
	s_load_b128 s[56:59], s[26:27], 0x0
	s_add_u32 s24, s24, 48
	s_addc_u32 s25, s25, 0
	s_add_i32 s40, s40, 4
	s_add_u32 s26, s26, 16
	s_addc_u32 s27, s27, 0
	s_cmp_lg_u32 s36, s40
	s_waitcnt lgkmcnt(0)
	v_mul_hi_u32 v10, s45, v0
	s_delay_alu instid0(VALU_DEP_1) | instskip(NEXT) | instid1(VALU_DEP_1)
	v_add_nc_u32_e32 v10, v0, v10
	v_lshrrev_b32_e32 v10, s46, v10
	s_delay_alu instid0(VALU_DEP_1) | instskip(SKIP_1) | instid1(VALU_DEP_2)
	v_mul_hi_u32 v11, s48, v10
	v_mul_lo_u32 v42, v10, s44
	v_add_nc_u32_e32 v11, v10, v11
	s_delay_alu instid0(VALU_DEP_2) | instskip(NEXT) | instid1(VALU_DEP_2)
	v_sub_nc_u32_e32 v42, v0, v42
	v_lshrrev_b32_e32 v11, s49, v11
	s_delay_alu instid0(VALU_DEP_2) | instskip(NEXT) | instid1(VALU_DEP_2)
	v_mul_lo_u32 v42, v42, s56
	v_mul_hi_u32 v12, s51, v11
	v_mul_lo_u32 v43, v11, s47
	s_delay_alu instid0(VALU_DEP_2) | instskip(NEXT) | instid1(VALU_DEP_2)
	v_add_nc_u32_e32 v12, v11, v12
	v_sub_nc_u32_e32 v10, v10, v43
	s_delay_alu instid0(VALU_DEP_2) | instskip(NEXT) | instid1(VALU_DEP_2)
	v_lshrrev_b32_e32 v12, s52, v12
	v_mul_lo_u32 v10, v10, s57
	s_delay_alu instid0(VALU_DEP_2) | instskip(NEXT) | instid1(VALU_DEP_2)
	v_mul_hi_u32 v18, s54, v12
	v_add3_u32 v9, v42, v9, v10
	s_delay_alu instid0(VALU_DEP_2) | instskip(NEXT) | instid1(VALU_DEP_1)
	v_add_nc_u32_e32 v18, v12, v18
	v_lshrrev_b32_e32 v0, s55, v18
	v_mul_lo_u32 v18, v12, s50
	s_delay_alu instid0(VALU_DEP_2) | instskip(NEXT) | instid1(VALU_DEP_2)
	v_mul_lo_u32 v44, v0, s53
	v_sub_nc_u32_e32 v11, v11, v18
	s_delay_alu instid0(VALU_DEP_2) | instskip(NEXT) | instid1(VALU_DEP_2)
	v_sub_nc_u32_e32 v12, v12, v44
	v_mul_lo_u32 v11, v11, s58
	s_delay_alu instid0(VALU_DEP_2) | instskip(NEXT) | instid1(VALU_DEP_1)
	v_mul_lo_u32 v12, v12, s59
	v_add3_u32 v9, v11, v9, v12
	s_cbranch_scc1 .LBB31_24
; %bb.25:                               ;   in Loop: Header=BB31_9 Depth=1
	s_mov_b32 s24, s36
	s_and_not1_b32 vcc_lo, exec_lo, s38
	s_cbranch_vccz .LBB31_28
	s_branch .LBB31_30
.LBB31_26:                              ;   in Loop: Header=BB31_9 Depth=1
                                        ; implicit-def: $vgpr9
	s_branch .LBB31_31
.LBB31_27:                              ;   in Loop: Header=BB31_9 Depth=1
	v_mov_b32_e32 v0, v15
	s_and_not1_b32 vcc_lo, exec_lo, s38
	s_cbranch_vccnz .LBB31_30
.LBB31_28:                              ;   in Loop: Header=BB31_9 Depth=1
	s_lshl_b32 s25, s24, 2
	s_mul_i32 s26, s24, 12
	s_add_u32 s24, s0, s25
	s_addc_u32 s25, s1, 0
	s_add_u32 s26, s18, s26
	s_addc_u32 s27, s19, 0
	s_mov_b32 s40, s34
	.p2align	6
.LBB31_29:                              ;   Parent Loop BB31_9 Depth=1
                                        ; =>  This Inner Loop Header: Depth=2
	s_clause 0x1
	s_load_b64 s[42:43], s[26:27], 0x4
	s_load_b32 s41, s[26:27], 0xc
	s_add_u32 s26, s26, 12
	s_addc_u32 s27, s27, 0
	s_waitcnt lgkmcnt(0)
	v_mul_hi_u32 v10, s43, v0
	s_load_b32 s43, s[24:25], 0x0
	s_add_u32 s24, s24, 4
	s_addc_u32 s25, s25, 0
	s_add_i32 s40, s40, -1
	s_delay_alu instid0(SALU_CYCLE_1) | instskip(NEXT) | instid1(VALU_DEP_1)
	s_cmp_lg_u32 s40, 0
	v_add_nc_u32_e32 v10, v0, v10
	s_delay_alu instid0(VALU_DEP_1) | instskip(NEXT) | instid1(VALU_DEP_1)
	v_lshrrev_b32_e32 v12, s41, v10
	v_mul_lo_u32 v10, v12, s42
	s_delay_alu instid0(VALU_DEP_1) | instskip(SKIP_1) | instid1(VALU_DEP_1)
	v_sub_nc_u32_e32 v0, v0, v10
	s_waitcnt lgkmcnt(0)
	v_mad_u64_u32 v[10:11], null, v0, s43, v[9:10]
	s_delay_alu instid0(VALU_DEP_1)
	v_dual_mov_b32 v0, v12 :: v_dual_mov_b32 v9, v10
	s_cbranch_scc1 .LBB31_29
.LBB31_30:                              ;   in Loop: Header=BB31_9 Depth=1
	s_cbranch_execnz .LBB31_33
.LBB31_31:                              ;   in Loop: Header=BB31_9 Depth=1
	v_mul_hi_u32 v0, v15, s6
	s_and_not1_b32 vcc_lo, exec_lo, s4
	s_delay_alu instid0(VALU_DEP_1) | instskip(NEXT) | instid1(VALU_DEP_1)
	v_add_nc_u32_e32 v0, v0, v15
	v_lshrrev_b32_e32 v0, s7, v0
	s_delay_alu instid0(VALU_DEP_1) | instskip(NEXT) | instid1(VALU_DEP_1)
	v_mul_lo_u32 v9, v0, s5
	v_sub_nc_u32_e32 v9, v15, v9
	s_waitcnt lgkmcnt(0)
	s_delay_alu instid0(VALU_DEP_1)
	v_mul_lo_u32 v9, v9, s20
	s_cbranch_vccnz .LBB31_33
; %bb.32:                               ;   in Loop: Header=BB31_9 Depth=1
	v_mul_hi_u32 v10, s9, v0
	s_delay_alu instid0(VALU_DEP_1) | instskip(NEXT) | instid1(VALU_DEP_1)
	v_add_nc_u32_e32 v10, v0, v10
	v_lshrrev_b32_e32 v10, s10, v10
	s_delay_alu instid0(VALU_DEP_1) | instskip(NEXT) | instid1(VALU_DEP_1)
	v_mul_lo_u32 v10, v10, s8
	v_sub_nc_u32_e32 v0, v0, v10
	s_delay_alu instid0(VALU_DEP_1) | instskip(NEXT) | instid1(VALU_DEP_1)
	v_mad_u64_u32 v[10:11], null, v0, s21, v[9:10]
	v_mov_b32_e32 v9, v10
.LBB31_33:                              ;   in Loop: Header=BB31_9 Depth=1
	v_mov_b32_e32 v0, v2
	s_mov_b32 s24, exec_lo
	s_waitcnt lgkmcnt(0)
	s_delay_alu instid0(VALU_DEP_1)
	v_cmpx_le_u64_e64 s[14:15], v[0:1]
	s_cbranch_execz .LBB31_35
; %bb.34:                               ;   in Loop: Header=BB31_9 Depth=1
	v_cvt_f32_u32_e32 v2, s14
	s_sub_i32 s25, 0, s14
	s_delay_alu instid0(VALU_DEP_1) | instskip(SKIP_2) | instid1(VALU_DEP_1)
	v_rcp_iflag_f32_e32 v2, v2
	s_waitcnt_depctr 0xfff
	v_mul_f32_e32 v2, 0x4f7ffffe, v2
	v_cvt_u32_f32_e32 v2, v2
	s_delay_alu instid0(VALU_DEP_1) | instskip(NEXT) | instid1(VALU_DEP_1)
	v_mul_lo_u32 v10, s25, v2
	v_mul_hi_u32 v10, v2, v10
	s_delay_alu instid0(VALU_DEP_1) | instskip(NEXT) | instid1(VALU_DEP_1)
	v_add_nc_u32_e32 v2, v2, v10
	v_mul_hi_u32 v2, v0, v2
	s_delay_alu instid0(VALU_DEP_1) | instskip(NEXT) | instid1(VALU_DEP_1)
	v_mul_lo_u32 v2, v2, s14
	v_sub_nc_u32_e32 v0, v0, v2
	s_delay_alu instid0(VALU_DEP_1) | instskip(SKIP_1) | instid1(VALU_DEP_2)
	v_subrev_nc_u32_e32 v2, s14, v0
	v_cmp_le_u32_e32 vcc_lo, s14, v0
	v_cndmask_b32_e32 v0, v0, v2, vcc_lo
	s_delay_alu instid0(VALU_DEP_1) | instskip(SKIP_1) | instid1(VALU_DEP_2)
	v_subrev_nc_u32_e32 v2, s14, v0
	v_cmp_le_u32_e32 vcc_lo, s14, v0
	v_cndmask_b32_e32 v0, v0, v2, vcc_lo
.LBB31_35:                              ;   in Loop: Header=BB31_9 Depth=1
	s_or_b32 exec_lo, exec_lo, s24
	s_delay_alu instid0(VALU_DEP_1)
	v_cmp_ne_u64_e32 vcc_lo, s[22:23], v[0:1]
	v_cndmask_b32_e64 v0, 0, 1, vcc_lo
	global_store_b8 v9, v0, s[12:13]
.LBB31_36:                              ;   in Loop: Header=BB31_9 Depth=1
	s_or_b32 exec_lo, exec_lo, s39
	v_add_co_u32 v9, vcc_lo, v15, s28
	v_add_co_ci_u32_e32 v10, vcc_lo, 0, v16, vcc_lo
	s_mov_b32 s39, exec_lo
	s_delay_alu instid0(VALU_DEP_1)
	v_cmpx_gt_i64_e64 s[16:17], v[9:10]
	s_cbranch_execz .LBB31_53
; %bb.37:                               ;   in Loop: Header=BB31_9 Depth=1
	s_and_not1_b32 vcc_lo, exec_lo, s11
	s_cbranch_vccnz .LBB31_43
; %bb.38:                               ;   in Loop: Header=BB31_9 Depth=1
	v_mov_b32_e32 v2, 0
	s_and_not1_b32 vcc_lo, exec_lo, s31
	s_cbranch_vccnz .LBB31_47
; %bb.39:                               ;   in Loop: Header=BB31_9 Depth=1
	s_and_not1_b32 vcc_lo, exec_lo, s35
	s_mov_b32 s24, 0
	s_cbranch_vccnz .LBB31_44
; %bb.40:                               ;   in Loop: Header=BB31_9 Depth=1
	v_mov_b32_e32 v2, 0
	v_mov_b32_e32 v0, v9
	s_mov_b32 s40, 0
	s_mov_b64 s[24:25], s[18:19]
	s_mov_b64 s[26:27], s[0:1]
.LBB31_41:                              ;   Parent Loop BB31_9 Depth=1
                                        ; =>  This Inner Loop Header: Depth=2
	s_clause 0x1
	s_load_b256 s[44:51], s[24:25], 0x4
	s_load_b128 s[52:55], s[24:25], 0x24
	s_load_b128 s[56:59], s[26:27], 0x0
	s_add_u32 s24, s24, 48
	s_addc_u32 s25, s25, 0
	s_add_i32 s40, s40, 4
	s_add_u32 s26, s26, 16
	s_addc_u32 s27, s27, 0
	s_cmp_eq_u32 s36, s40
	s_waitcnt lgkmcnt(0)
	v_mul_hi_u32 v10, s45, v0
	s_delay_alu instid0(VALU_DEP_1) | instskip(NEXT) | instid1(VALU_DEP_1)
	v_add_nc_u32_e32 v10, v0, v10
	v_lshrrev_b32_e32 v10, s46, v10
	s_delay_alu instid0(VALU_DEP_1) | instskip(SKIP_1) | instid1(VALU_DEP_2)
	v_mul_hi_u32 v11, s48, v10
	v_mul_lo_u32 v42, v10, s44
	v_add_nc_u32_e32 v11, v10, v11
	s_delay_alu instid0(VALU_DEP_2) | instskip(NEXT) | instid1(VALU_DEP_2)
	v_sub_nc_u32_e32 v42, v0, v42
	v_lshrrev_b32_e32 v11, s49, v11
	s_delay_alu instid0(VALU_DEP_2) | instskip(NEXT) | instid1(VALU_DEP_2)
	v_mul_lo_u32 v42, v42, s56
	v_mul_hi_u32 v12, s51, v11
	v_mul_lo_u32 v43, v11, s47
	s_delay_alu instid0(VALU_DEP_2) | instskip(NEXT) | instid1(VALU_DEP_2)
	v_add_nc_u32_e32 v12, v11, v12
	v_sub_nc_u32_e32 v10, v10, v43
	s_delay_alu instid0(VALU_DEP_2) | instskip(NEXT) | instid1(VALU_DEP_2)
	v_lshrrev_b32_e32 v12, s52, v12
	v_mul_lo_u32 v10, v10, s57
	s_delay_alu instid0(VALU_DEP_2) | instskip(NEXT) | instid1(VALU_DEP_2)
	v_mul_hi_u32 v18, s54, v12
	v_add3_u32 v2, v42, v2, v10
	s_delay_alu instid0(VALU_DEP_2) | instskip(NEXT) | instid1(VALU_DEP_1)
	v_add_nc_u32_e32 v18, v12, v18
	v_lshrrev_b32_e32 v0, s55, v18
	v_mul_lo_u32 v18, v12, s50
	s_delay_alu instid0(VALU_DEP_2) | instskip(NEXT) | instid1(VALU_DEP_2)
	v_mul_lo_u32 v44, v0, s53
	v_sub_nc_u32_e32 v11, v11, v18
	s_delay_alu instid0(VALU_DEP_2) | instskip(NEXT) | instid1(VALU_DEP_2)
	v_sub_nc_u32_e32 v12, v12, v44
	v_mul_lo_u32 v11, v11, s58
	s_delay_alu instid0(VALU_DEP_2) | instskip(NEXT) | instid1(VALU_DEP_1)
	v_mul_lo_u32 v12, v12, s59
	v_add3_u32 v2, v11, v2, v12
	s_cbranch_scc0 .LBB31_41
; %bb.42:                               ;   in Loop: Header=BB31_9 Depth=1
	s_mov_b32 s24, s36
	s_and_not1_b32 vcc_lo, exec_lo, s38
	s_cbranch_vccz .LBB31_45
	s_branch .LBB31_47
.LBB31_43:                              ;   in Loop: Header=BB31_9 Depth=1
                                        ; implicit-def: $vgpr2
	s_branch .LBB31_48
.LBB31_44:                              ;   in Loop: Header=BB31_9 Depth=1
	v_mov_b32_e32 v0, v9
	s_and_not1_b32 vcc_lo, exec_lo, s38
	s_cbranch_vccnz .LBB31_47
.LBB31_45:                              ;   in Loop: Header=BB31_9 Depth=1
	s_lshl_b32 s25, s24, 2
	s_mul_i32 s26, s24, 12
	s_add_u32 s24, s0, s25
	s_addc_u32 s25, s1, 0
	s_add_u32 s26, s18, s26
	s_addc_u32 s27, s19, 0
	s_mov_b32 s40, s34
	.p2align	6
.LBB31_46:                              ;   Parent Loop BB31_9 Depth=1
                                        ; =>  This Inner Loop Header: Depth=2
	s_clause 0x1
	s_load_b64 s[42:43], s[26:27], 0x4
	s_load_b32 s41, s[26:27], 0xc
	s_add_u32 s26, s26, 12
	s_addc_u32 s27, s27, 0
	s_waitcnt lgkmcnt(0)
	v_mul_hi_u32 v10, s43, v0
	s_load_b32 s43, s[24:25], 0x0
	s_add_u32 s24, s24, 4
	s_addc_u32 s25, s25, 0
	s_add_i32 s40, s40, -1
	s_delay_alu instid0(SALU_CYCLE_1) | instskip(NEXT) | instid1(VALU_DEP_1)
	s_cmp_lg_u32 s40, 0
	v_add_nc_u32_e32 v10, v0, v10
	s_delay_alu instid0(VALU_DEP_1) | instskip(NEXT) | instid1(VALU_DEP_1)
	v_lshrrev_b32_e32 v12, s41, v10
	v_mul_lo_u32 v10, v12, s42
	s_delay_alu instid0(VALU_DEP_1) | instskip(SKIP_1) | instid1(VALU_DEP_1)
	v_sub_nc_u32_e32 v0, v0, v10
	s_waitcnt lgkmcnt(0)
	v_mad_u64_u32 v[10:11], null, v0, s43, v[2:3]
	v_mov_b32_e32 v0, v12
	s_delay_alu instid0(VALU_DEP_2)
	v_mov_b32_e32 v2, v10
	s_cbranch_scc1 .LBB31_46
.LBB31_47:                              ;   in Loop: Header=BB31_9 Depth=1
	s_cbranch_execnz .LBB31_50
.LBB31_48:                              ;   in Loop: Header=BB31_9 Depth=1
	v_mul_hi_u32 v0, v9, s6
	s_and_not1_b32 vcc_lo, exec_lo, s4
	s_delay_alu instid0(VALU_DEP_1) | instskip(NEXT) | instid1(VALU_DEP_1)
	v_add_nc_u32_e32 v0, v0, v9
	v_lshrrev_b32_e32 v0, s7, v0
	s_delay_alu instid0(VALU_DEP_1) | instskip(NEXT) | instid1(VALU_DEP_1)
	v_mul_lo_u32 v2, v0, s5
	v_sub_nc_u32_e32 v2, v9, v2
	s_waitcnt lgkmcnt(0)
	s_delay_alu instid0(VALU_DEP_1)
	v_mul_lo_u32 v2, v2, s20
	s_cbranch_vccnz .LBB31_50
; %bb.49:                               ;   in Loop: Header=BB31_9 Depth=1
	v_mul_hi_u32 v9, s9, v0
	s_delay_alu instid0(VALU_DEP_1) | instskip(NEXT) | instid1(VALU_DEP_1)
	v_add_nc_u32_e32 v9, v0, v9
	v_lshrrev_b32_e32 v9, s10, v9
	s_delay_alu instid0(VALU_DEP_1) | instskip(NEXT) | instid1(VALU_DEP_1)
	v_mul_lo_u32 v9, v9, s8
	v_sub_nc_u32_e32 v0, v0, v9
	s_delay_alu instid0(VALU_DEP_1) | instskip(NEXT) | instid1(VALU_DEP_1)
	v_mad_u64_u32 v[9:10], null, v0, s21, v[2:3]
	v_mov_b32_e32 v2, v9
.LBB31_50:                              ;   in Loop: Header=BB31_9 Depth=1
	v_mov_b32_e32 v0, v3
	s_mov_b32 s24, exec_lo
	s_waitcnt lgkmcnt(0)
	s_delay_alu instid0(VALU_DEP_1)
	v_cmpx_le_u64_e64 s[14:15], v[0:1]
	s_cbranch_execz .LBB31_52
; %bb.51:                               ;   in Loop: Header=BB31_9 Depth=1
	v_cvt_f32_u32_e32 v3, s14
	s_sub_i32 s25, 0, s14
	s_delay_alu instid0(VALU_DEP_1) | instskip(SKIP_2) | instid1(VALU_DEP_1)
	v_rcp_iflag_f32_e32 v3, v3
	s_waitcnt_depctr 0xfff
	v_mul_f32_e32 v3, 0x4f7ffffe, v3
	v_cvt_u32_f32_e32 v3, v3
	s_delay_alu instid0(VALU_DEP_1) | instskip(NEXT) | instid1(VALU_DEP_1)
	v_mul_lo_u32 v9, s25, v3
	v_mul_hi_u32 v9, v3, v9
	s_delay_alu instid0(VALU_DEP_1) | instskip(NEXT) | instid1(VALU_DEP_1)
	v_add_nc_u32_e32 v3, v3, v9
	v_mul_hi_u32 v3, v0, v3
	s_delay_alu instid0(VALU_DEP_1) | instskip(NEXT) | instid1(VALU_DEP_1)
	v_mul_lo_u32 v3, v3, s14
	v_sub_nc_u32_e32 v0, v0, v3
	s_delay_alu instid0(VALU_DEP_1) | instskip(SKIP_1) | instid1(VALU_DEP_2)
	v_subrev_nc_u32_e32 v3, s14, v0
	v_cmp_le_u32_e32 vcc_lo, s14, v0
	v_cndmask_b32_e32 v0, v0, v3, vcc_lo
	s_delay_alu instid0(VALU_DEP_1) | instskip(SKIP_1) | instid1(VALU_DEP_2)
	v_subrev_nc_u32_e32 v3, s14, v0
	v_cmp_le_u32_e32 vcc_lo, s14, v0
	v_cndmask_b32_e32 v0, v0, v3, vcc_lo
.LBB31_52:                              ;   in Loop: Header=BB31_9 Depth=1
	s_or_b32 exec_lo, exec_lo, s24
	s_delay_alu instid0(VALU_DEP_1)
	v_cmp_ne_u64_e32 vcc_lo, s[22:23], v[0:1]
	v_cndmask_b32_e64 v0, 0, 1, vcc_lo
	global_store_b8 v2, v0, s[12:13]
.LBB31_53:                              ;   in Loop: Header=BB31_9 Depth=1
	s_or_b32 exec_lo, exec_lo, s39
	v_add_co_u32 v9, vcc_lo, v15, s33
	v_add_co_ci_u32_e32 v10, vcc_lo, 0, v16, vcc_lo
	s_mov_b32 s39, exec_lo
	s_delay_alu instid0(VALU_DEP_1)
	v_cmpx_gt_i64_e64 s[16:17], v[9:10]
	s_cbranch_execz .LBB31_70
; %bb.54:                               ;   in Loop: Header=BB31_9 Depth=1
	s_and_not1_b32 vcc_lo, exec_lo, s11
	s_cbranch_vccnz .LBB31_60
; %bb.55:                               ;   in Loop: Header=BB31_9 Depth=1
	v_mov_b32_e32 v2, 0
	s_and_not1_b32 vcc_lo, exec_lo, s31
	s_cbranch_vccnz .LBB31_64
; %bb.56:                               ;   in Loop: Header=BB31_9 Depth=1
	s_and_not1_b32 vcc_lo, exec_lo, s35
	s_mov_b32 s24, 0
	s_cbranch_vccnz .LBB31_61
; %bb.57:                               ;   in Loop: Header=BB31_9 Depth=1
	v_mov_b32_e32 v2, 0
	v_mov_b32_e32 v0, v9
	s_mov_b32 s40, 0
	s_mov_b64 s[24:25], s[18:19]
	s_mov_b64 s[26:27], s[0:1]
.LBB31_58:                              ;   Parent Loop BB31_9 Depth=1
                                        ; =>  This Inner Loop Header: Depth=2
	s_clause 0x1
	s_load_b256 s[44:51], s[24:25], 0x4
	s_load_b128 s[52:55], s[24:25], 0x24
	s_load_b128 s[56:59], s[26:27], 0x0
	s_add_u32 s24, s24, 48
	s_addc_u32 s25, s25, 0
	s_add_i32 s40, s40, 4
	s_add_u32 s26, s26, 16
	s_addc_u32 s27, s27, 0
	s_cmp_eq_u32 s36, s40
	s_waitcnt lgkmcnt(0)
	v_mul_hi_u32 v3, s45, v0
	s_delay_alu instid0(VALU_DEP_1) | instskip(NEXT) | instid1(VALU_DEP_1)
	v_add_nc_u32_e32 v3, v0, v3
	v_lshrrev_b32_e32 v3, s46, v3
	s_delay_alu instid0(VALU_DEP_1) | instskip(SKIP_1) | instid1(VALU_DEP_2)
	v_mul_hi_u32 v10, s48, v3
	v_mul_lo_u32 v18, v3, s44
	v_add_nc_u32_e32 v10, v3, v10
	s_delay_alu instid0(VALU_DEP_2) | instskip(NEXT) | instid1(VALU_DEP_2)
	v_sub_nc_u32_e32 v18, v0, v18
	v_lshrrev_b32_e32 v10, s49, v10
	s_delay_alu instid0(VALU_DEP_2) | instskip(NEXT) | instid1(VALU_DEP_2)
	v_mul_lo_u32 v18, v18, s56
	v_mul_hi_u32 v11, s51, v10
	v_mul_lo_u32 v42, v10, s47
	s_delay_alu instid0(VALU_DEP_2) | instskip(NEXT) | instid1(VALU_DEP_2)
	v_add_nc_u32_e32 v11, v10, v11
	v_sub_nc_u32_e32 v3, v3, v42
	s_delay_alu instid0(VALU_DEP_2) | instskip(NEXT) | instid1(VALU_DEP_2)
	v_lshrrev_b32_e32 v11, s52, v11
	v_mul_lo_u32 v3, v3, s57
	s_delay_alu instid0(VALU_DEP_2) | instskip(NEXT) | instid1(VALU_DEP_2)
	v_mul_hi_u32 v12, s54, v11
	v_add3_u32 v2, v18, v2, v3
	s_delay_alu instid0(VALU_DEP_2) | instskip(NEXT) | instid1(VALU_DEP_1)
	v_add_nc_u32_e32 v12, v11, v12
	v_lshrrev_b32_e32 v0, s55, v12
	v_mul_lo_u32 v12, v11, s50
	s_delay_alu instid0(VALU_DEP_2) | instskip(NEXT) | instid1(VALU_DEP_2)
	v_mul_lo_u32 v43, v0, s53
	v_sub_nc_u32_e32 v10, v10, v12
	s_delay_alu instid0(VALU_DEP_2) | instskip(NEXT) | instid1(VALU_DEP_2)
	v_sub_nc_u32_e32 v11, v11, v43
	v_mul_lo_u32 v10, v10, s58
	s_delay_alu instid0(VALU_DEP_2) | instskip(NEXT) | instid1(VALU_DEP_1)
	v_mul_lo_u32 v11, v11, s59
	v_add3_u32 v2, v10, v2, v11
	s_cbranch_scc0 .LBB31_58
; %bb.59:                               ;   in Loop: Header=BB31_9 Depth=1
	s_mov_b32 s24, s36
	s_and_not1_b32 vcc_lo, exec_lo, s38
	s_cbranch_vccz .LBB31_62
	s_branch .LBB31_64
.LBB31_60:                              ;   in Loop: Header=BB31_9 Depth=1
                                        ; implicit-def: $vgpr2
	s_branch .LBB31_65
.LBB31_61:                              ;   in Loop: Header=BB31_9 Depth=1
	v_mov_b32_e32 v0, v9
	s_and_not1_b32 vcc_lo, exec_lo, s38
	s_cbranch_vccnz .LBB31_64
.LBB31_62:                              ;   in Loop: Header=BB31_9 Depth=1
	s_lshl_b32 s25, s24, 2
	s_mul_i32 s26, s24, 12
	s_add_u32 s24, s0, s25
	s_addc_u32 s25, s1, 0
	s_add_u32 s26, s18, s26
	s_addc_u32 s27, s19, 0
	s_mov_b32 s40, s34
	.p2align	6
.LBB31_63:                              ;   Parent Loop BB31_9 Depth=1
                                        ; =>  This Inner Loop Header: Depth=2
	s_clause 0x1
	s_load_b64 s[42:43], s[26:27], 0x4
	s_load_b32 s41, s[26:27], 0xc
	s_add_u32 s26, s26, 12
	s_addc_u32 s27, s27, 0
	s_waitcnt lgkmcnt(0)
	v_mul_hi_u32 v3, s43, v0
	s_load_b32 s43, s[24:25], 0x0
	s_add_u32 s24, s24, 4
	s_addc_u32 s25, s25, 0
	s_add_i32 s40, s40, -1
	s_delay_alu instid0(SALU_CYCLE_1) | instskip(NEXT) | instid1(VALU_DEP_1)
	s_cmp_lg_u32 s40, 0
	v_add_nc_u32_e32 v3, v0, v3
	s_delay_alu instid0(VALU_DEP_1) | instskip(NEXT) | instid1(VALU_DEP_1)
	v_lshrrev_b32_e32 v3, s41, v3
	v_mul_lo_u32 v10, v3, s42
	s_delay_alu instid0(VALU_DEP_1) | instskip(SKIP_1) | instid1(VALU_DEP_1)
	v_sub_nc_u32_e32 v0, v0, v10
	s_waitcnt lgkmcnt(0)
	v_mad_u64_u32 v[10:11], null, v0, s43, v[2:3]
	v_mov_b32_e32 v0, v3
	s_delay_alu instid0(VALU_DEP_2)
	v_mov_b32_e32 v2, v10
	s_cbranch_scc1 .LBB31_63
.LBB31_64:                              ;   in Loop: Header=BB31_9 Depth=1
	s_cbranch_execnz .LBB31_67
.LBB31_65:                              ;   in Loop: Header=BB31_9 Depth=1
	v_mul_hi_u32 v0, v9, s6
	s_and_not1_b32 vcc_lo, exec_lo, s4
	s_delay_alu instid0(VALU_DEP_1) | instskip(NEXT) | instid1(VALU_DEP_1)
	v_add_nc_u32_e32 v0, v0, v9
	v_lshrrev_b32_e32 v0, s7, v0
	s_delay_alu instid0(VALU_DEP_1) | instskip(NEXT) | instid1(VALU_DEP_1)
	v_mul_lo_u32 v2, v0, s5
	v_sub_nc_u32_e32 v2, v9, v2
	s_waitcnt lgkmcnt(0)
	s_delay_alu instid0(VALU_DEP_1)
	v_mul_lo_u32 v2, v2, s20
	s_cbranch_vccnz .LBB31_67
; %bb.66:                               ;   in Loop: Header=BB31_9 Depth=1
	v_mul_hi_u32 v3, s9, v0
	s_delay_alu instid0(VALU_DEP_1) | instskip(NEXT) | instid1(VALU_DEP_1)
	v_add_nc_u32_e32 v3, v0, v3
	v_lshrrev_b32_e32 v3, s10, v3
	s_delay_alu instid0(VALU_DEP_1) | instskip(NEXT) | instid1(VALU_DEP_1)
	v_mul_lo_u32 v3, v3, s8
	v_sub_nc_u32_e32 v0, v0, v3
	s_delay_alu instid0(VALU_DEP_1) | instskip(NEXT) | instid1(VALU_DEP_1)
	v_mad_u64_u32 v[9:10], null, v0, s21, v[2:3]
	v_mov_b32_e32 v2, v9
.LBB31_67:                              ;   in Loop: Header=BB31_9 Depth=1
	v_mov_b32_e32 v0, v4
	s_mov_b32 s24, exec_lo
	s_waitcnt lgkmcnt(0)
	s_delay_alu instid0(VALU_DEP_1)
	v_cmpx_le_u64_e64 s[14:15], v[0:1]
	s_cbranch_execz .LBB31_69
; %bb.68:                               ;   in Loop: Header=BB31_9 Depth=1
	v_cvt_f32_u32_e32 v3, s14
	s_sub_i32 s25, 0, s14
	s_delay_alu instid0(VALU_DEP_1) | instskip(SKIP_2) | instid1(VALU_DEP_1)
	v_rcp_iflag_f32_e32 v3, v3
	s_waitcnt_depctr 0xfff
	v_mul_f32_e32 v3, 0x4f7ffffe, v3
	v_cvt_u32_f32_e32 v3, v3
	s_delay_alu instid0(VALU_DEP_1) | instskip(NEXT) | instid1(VALU_DEP_1)
	v_mul_lo_u32 v4, s25, v3
	v_mul_hi_u32 v4, v3, v4
	s_delay_alu instid0(VALU_DEP_1) | instskip(NEXT) | instid1(VALU_DEP_1)
	v_add_nc_u32_e32 v3, v3, v4
	v_mul_hi_u32 v3, v0, v3
	s_delay_alu instid0(VALU_DEP_1) | instskip(NEXT) | instid1(VALU_DEP_1)
	v_mul_lo_u32 v3, v3, s14
	v_sub_nc_u32_e32 v0, v0, v3
	s_delay_alu instid0(VALU_DEP_1) | instskip(SKIP_1) | instid1(VALU_DEP_2)
	v_subrev_nc_u32_e32 v3, s14, v0
	v_cmp_le_u32_e32 vcc_lo, s14, v0
	v_cndmask_b32_e32 v0, v0, v3, vcc_lo
	s_delay_alu instid0(VALU_DEP_1) | instskip(SKIP_1) | instid1(VALU_DEP_2)
	v_subrev_nc_u32_e32 v3, s14, v0
	v_cmp_le_u32_e32 vcc_lo, s14, v0
	v_cndmask_b32_e32 v0, v0, v3, vcc_lo
.LBB31_69:                              ;   in Loop: Header=BB31_9 Depth=1
	s_or_b32 exec_lo, exec_lo, s24
	s_delay_alu instid0(VALU_DEP_1)
	v_cmp_ne_u64_e32 vcc_lo, s[22:23], v[0:1]
	v_cndmask_b32_e64 v0, 0, 1, vcc_lo
	global_store_b8 v2, v0, s[12:13]
.LBB31_70:                              ;   in Loop: Header=BB31_9 Depth=1
	s_or_b32 exec_lo, exec_lo, s39
	v_add_co_u32 v3, vcc_lo, v15, s37
	v_add_co_ci_u32_e32 v4, vcc_lo, 0, v16, vcc_lo
	s_mov_b32 s39, exec_lo
	s_delay_alu instid0(VALU_DEP_1)
	v_cmpx_gt_i64_e64 s[16:17], v[3:4]
	s_cbranch_execz .LBB31_8
; %bb.71:                               ;   in Loop: Header=BB31_9 Depth=1
	s_and_not1_b32 vcc_lo, exec_lo, s11
	s_cbranch_vccnz .LBB31_77
; %bb.72:                               ;   in Loop: Header=BB31_9 Depth=1
	v_mov_b32_e32 v2, 0
	s_and_not1_b32 vcc_lo, exec_lo, s31
	s_cbranch_vccnz .LBB31_81
; %bb.73:                               ;   in Loop: Header=BB31_9 Depth=1
	s_and_not1_b32 vcc_lo, exec_lo, s35
	s_mov_b32 s24, 0
	s_cbranch_vccnz .LBB31_78
; %bb.74:                               ;   in Loop: Header=BB31_9 Depth=1
	v_mov_b32_e32 v2, 0
	v_mov_b32_e32 v0, v3
	s_mov_b32 s40, 0
	s_mov_b64 s[24:25], s[18:19]
	s_mov_b64 s[26:27], s[0:1]
.LBB31_75:                              ;   Parent Loop BB31_9 Depth=1
                                        ; =>  This Inner Loop Header: Depth=2
	s_clause 0x1
	s_load_b256 s[44:51], s[24:25], 0x4
	s_load_b128 s[52:55], s[24:25], 0x24
	s_load_b128 s[56:59], s[26:27], 0x0
	s_add_u32 s24, s24, 48
	s_addc_u32 s25, s25, 0
	s_add_i32 s40, s40, 4
	s_add_u32 s26, s26, 16
	s_addc_u32 s27, s27, 0
	s_cmp_eq_u32 s36, s40
	s_waitcnt lgkmcnt(0)
	v_mul_hi_u32 v4, s45, v0
	s_delay_alu instid0(VALU_DEP_1) | instskip(NEXT) | instid1(VALU_DEP_1)
	v_add_nc_u32_e32 v4, v0, v4
	v_lshrrev_b32_e32 v4, s46, v4
	s_delay_alu instid0(VALU_DEP_1) | instskip(SKIP_1) | instid1(VALU_DEP_2)
	v_mul_hi_u32 v9, s48, v4
	v_mul_lo_u32 v12, v4, s44
	v_add_nc_u32_e32 v9, v4, v9
	s_delay_alu instid0(VALU_DEP_2) | instskip(NEXT) | instid1(VALU_DEP_2)
	v_sub_nc_u32_e32 v12, v0, v12
	v_lshrrev_b32_e32 v9, s49, v9
	s_delay_alu instid0(VALU_DEP_2) | instskip(NEXT) | instid1(VALU_DEP_2)
	v_mul_lo_u32 v12, v12, s56
	v_mul_hi_u32 v10, s51, v9
	v_mul_lo_u32 v18, v9, s47
	s_delay_alu instid0(VALU_DEP_2) | instskip(NEXT) | instid1(VALU_DEP_2)
	v_add_nc_u32_e32 v10, v9, v10
	v_sub_nc_u32_e32 v4, v4, v18
	s_delay_alu instid0(VALU_DEP_2) | instskip(NEXT) | instid1(VALU_DEP_2)
	v_lshrrev_b32_e32 v10, s52, v10
	v_mul_lo_u32 v4, v4, s57
	s_delay_alu instid0(VALU_DEP_2) | instskip(NEXT) | instid1(VALU_DEP_2)
	v_mul_hi_u32 v11, s54, v10
	v_add3_u32 v2, v12, v2, v4
	s_delay_alu instid0(VALU_DEP_2) | instskip(NEXT) | instid1(VALU_DEP_1)
	v_add_nc_u32_e32 v11, v10, v11
	v_lshrrev_b32_e32 v0, s55, v11
	v_mul_lo_u32 v11, v10, s50
	s_delay_alu instid0(VALU_DEP_2) | instskip(NEXT) | instid1(VALU_DEP_2)
	v_mul_lo_u32 v42, v0, s53
	v_sub_nc_u32_e32 v9, v9, v11
	s_delay_alu instid0(VALU_DEP_2) | instskip(NEXT) | instid1(VALU_DEP_2)
	v_sub_nc_u32_e32 v10, v10, v42
	v_mul_lo_u32 v9, v9, s58
	s_delay_alu instid0(VALU_DEP_2) | instskip(NEXT) | instid1(VALU_DEP_1)
	v_mul_lo_u32 v10, v10, s59
	v_add3_u32 v2, v9, v2, v10
	s_cbranch_scc0 .LBB31_75
; %bb.76:                               ;   in Loop: Header=BB31_9 Depth=1
	s_mov_b32 s24, s36
	s_and_not1_b32 vcc_lo, exec_lo, s38
	s_cbranch_vccz .LBB31_79
	s_branch .LBB31_81
.LBB31_77:                              ;   in Loop: Header=BB31_9 Depth=1
                                        ; implicit-def: $vgpr2
	s_branch .LBB31_82
.LBB31_78:                              ;   in Loop: Header=BB31_9 Depth=1
	v_mov_b32_e32 v0, v3
	s_and_not1_b32 vcc_lo, exec_lo, s38
	s_cbranch_vccnz .LBB31_81
.LBB31_79:                              ;   in Loop: Header=BB31_9 Depth=1
	s_lshl_b32 s25, s24, 2
	s_mul_i32 s26, s24, 12
	s_add_u32 s24, s0, s25
	s_addc_u32 s25, s1, 0
	s_add_u32 s26, s18, s26
	s_addc_u32 s27, s19, 0
	s_mov_b32 s40, s34
	.p2align	6
.LBB31_80:                              ;   Parent Loop BB31_9 Depth=1
                                        ; =>  This Inner Loop Header: Depth=2
	s_clause 0x1
	s_load_b64 s[42:43], s[26:27], 0x4
	s_load_b32 s41, s[26:27], 0xc
	s_add_u32 s26, s26, 12
	s_addc_u32 s27, s27, 0
	s_waitcnt lgkmcnt(0)
	v_mul_hi_u32 v4, s43, v0
	s_load_b32 s43, s[24:25], 0x0
	s_add_u32 s24, s24, 4
	s_addc_u32 s25, s25, 0
	s_add_i32 s40, s40, -1
	s_delay_alu instid0(SALU_CYCLE_1) | instskip(NEXT) | instid1(VALU_DEP_1)
	s_cmp_lg_u32 s40, 0
	v_add_nc_u32_e32 v4, v0, v4
	s_delay_alu instid0(VALU_DEP_1) | instskip(NEXT) | instid1(VALU_DEP_1)
	v_lshrrev_b32_e32 v4, s41, v4
	v_mul_lo_u32 v9, v4, s42
	s_delay_alu instid0(VALU_DEP_1) | instskip(SKIP_1) | instid1(VALU_DEP_1)
	v_sub_nc_u32_e32 v0, v0, v9
	s_waitcnt lgkmcnt(0)
	v_mad_u64_u32 v[9:10], null, v0, s43, v[2:3]
	v_mov_b32_e32 v0, v4
	s_delay_alu instid0(VALU_DEP_2)
	v_mov_b32_e32 v2, v9
	s_cbranch_scc1 .LBB31_80
.LBB31_81:                              ;   in Loop: Header=BB31_9 Depth=1
	s_cbranch_execnz .LBB31_84
.LBB31_82:                              ;   in Loop: Header=BB31_9 Depth=1
	v_mul_hi_u32 v0, v3, s6
	s_and_not1_b32 vcc_lo, exec_lo, s4
	s_delay_alu instid0(VALU_DEP_1) | instskip(NEXT) | instid1(VALU_DEP_1)
	v_add_nc_u32_e32 v0, v0, v3
	v_lshrrev_b32_e32 v0, s7, v0
	s_delay_alu instid0(VALU_DEP_1) | instskip(NEXT) | instid1(VALU_DEP_1)
	v_mul_lo_u32 v2, v0, s5
	v_sub_nc_u32_e32 v2, v3, v2
	s_waitcnt lgkmcnt(0)
	s_delay_alu instid0(VALU_DEP_1)
	v_mul_lo_u32 v2, v2, s20
	s_cbranch_vccnz .LBB31_84
; %bb.83:                               ;   in Loop: Header=BB31_9 Depth=1
	v_mul_hi_u32 v3, s9, v0
	s_delay_alu instid0(VALU_DEP_1) | instskip(NEXT) | instid1(VALU_DEP_1)
	v_add_nc_u32_e32 v3, v0, v3
	v_lshrrev_b32_e32 v3, s10, v3
	s_delay_alu instid0(VALU_DEP_1) | instskip(NEXT) | instid1(VALU_DEP_1)
	v_mul_lo_u32 v3, v3, s8
	v_sub_nc_u32_e32 v0, v0, v3
	s_delay_alu instid0(VALU_DEP_1) | instskip(NEXT) | instid1(VALU_DEP_1)
	v_mad_u64_u32 v[3:4], null, v0, s21, v[2:3]
	v_mov_b32_e32 v2, v3
.LBB31_84:                              ;   in Loop: Header=BB31_9 Depth=1
	v_mov_b32_e32 v0, v5
	s_mov_b32 s24, exec_lo
	s_waitcnt lgkmcnt(0)
	s_delay_alu instid0(VALU_DEP_1)
	v_cmpx_le_u64_e64 s[14:15], v[0:1]
	s_cbranch_execz .LBB31_7
; %bb.85:                               ;   in Loop: Header=BB31_9 Depth=1
	v_cvt_f32_u32_e32 v3, s14
	s_sub_i32 s25, 0, s14
	s_delay_alu instid0(VALU_DEP_1) | instskip(SKIP_2) | instid1(VALU_DEP_1)
	v_rcp_iflag_f32_e32 v3, v3
	s_waitcnt_depctr 0xfff
	v_mul_f32_e32 v3, 0x4f7ffffe, v3
	v_cvt_u32_f32_e32 v3, v3
	s_delay_alu instid0(VALU_DEP_1) | instskip(NEXT) | instid1(VALU_DEP_1)
	v_mul_lo_u32 v4, s25, v3
	v_mul_hi_u32 v4, v3, v4
	s_delay_alu instid0(VALU_DEP_1) | instskip(NEXT) | instid1(VALU_DEP_1)
	v_add_nc_u32_e32 v3, v3, v4
	v_mul_hi_u32 v3, v0, v3
	s_delay_alu instid0(VALU_DEP_1) | instskip(NEXT) | instid1(VALU_DEP_1)
	v_mul_lo_u32 v3, v3, s14
	v_sub_nc_u32_e32 v0, v0, v3
	s_delay_alu instid0(VALU_DEP_1) | instskip(SKIP_1) | instid1(VALU_DEP_2)
	v_subrev_nc_u32_e32 v3, s14, v0
	v_cmp_le_u32_e32 vcc_lo, s14, v0
	v_cndmask_b32_e32 v0, v0, v3, vcc_lo
	s_delay_alu instid0(VALU_DEP_1) | instskip(SKIP_1) | instid1(VALU_DEP_2)
	v_subrev_nc_u32_e32 v3, s14, v0
	v_cmp_le_u32_e32 vcc_lo, s14, v0
	v_cndmask_b32_e32 v0, v0, v3, vcc_lo
	s_branch .LBB31_7
.LBB31_86:
	s_endpgm
.LBB31_87:
                                        ; implicit-def: $sgpr2_sgpr3
	s_branch .LBB31_4
	.section	.rodata,"a",@progbits
	.p2align	6, 0x0
	.amdhsa_kernel _ZN2at6native12_GLOBAL__N_143distribution_elementwise_grid_stride_kernelIjLi4EZZZNS0_9templates4cuda21random_from_to_kernelIPNS_17CUDAGeneratorImplEEEvRNS_18TensorIteratorBaseEmlT_ENKUlvE_clEvENKUlvE6_clEvEUlP25hiprandStatePhilox4_32_10E0_ZNS1_27distribution_nullary_kernelIbj15HIP_vector_typeIjLj4EES7_SF_ZZZNS5_IS7_EEvS9_mlSA_ENKSB_clEvENKSC_clEvEUljE_EEvS9_T2_RKT3_T4_EUlijE0_EEvlNS_15PhiloxCudaStateET1_SK_
		.amdhsa_group_segment_fixed_size 0
		.amdhsa_private_segment_fixed_size 0
		.amdhsa_kernarg_size 592
		.amdhsa_user_sgpr_count 15
		.amdhsa_user_sgpr_dispatch_ptr 0
		.amdhsa_user_sgpr_queue_ptr 0
		.amdhsa_user_sgpr_kernarg_segment_ptr 1
		.amdhsa_user_sgpr_dispatch_id 0
		.amdhsa_user_sgpr_private_segment_size 0
		.amdhsa_wavefront_size32 1
		.amdhsa_uses_dynamic_stack 0
		.amdhsa_enable_private_segment 0
		.amdhsa_system_sgpr_workgroup_id_x 1
		.amdhsa_system_sgpr_workgroup_id_y 0
		.amdhsa_system_sgpr_workgroup_id_z 0
		.amdhsa_system_sgpr_workgroup_info 0
		.amdhsa_system_vgpr_workitem_id 0
		.amdhsa_next_free_vgpr 45
		.amdhsa_next_free_sgpr 60
		.amdhsa_reserve_vcc 1
		.amdhsa_float_round_mode_32 0
		.amdhsa_float_round_mode_16_64 0
		.amdhsa_float_denorm_mode_32 3
		.amdhsa_float_denorm_mode_16_64 3
		.amdhsa_dx10_clamp 1
		.amdhsa_ieee_mode 1
		.amdhsa_fp16_overflow 0
		.amdhsa_workgroup_processor_mode 1
		.amdhsa_memory_ordered 1
		.amdhsa_forward_progress 0
		.amdhsa_shared_vgpr_count 0
		.amdhsa_exception_fp_ieee_invalid_op 0
		.amdhsa_exception_fp_denorm_src 0
		.amdhsa_exception_fp_ieee_div_zero 0
		.amdhsa_exception_fp_ieee_overflow 0
		.amdhsa_exception_fp_ieee_underflow 0
		.amdhsa_exception_fp_ieee_inexact 0
		.amdhsa_exception_int_div_zero 0
	.end_amdhsa_kernel
	.section	.text._ZN2at6native12_GLOBAL__N_143distribution_elementwise_grid_stride_kernelIjLi4EZZZNS0_9templates4cuda21random_from_to_kernelIPNS_17CUDAGeneratorImplEEEvRNS_18TensorIteratorBaseEmlT_ENKUlvE_clEvENKUlvE6_clEvEUlP25hiprandStatePhilox4_32_10E0_ZNS1_27distribution_nullary_kernelIbj15HIP_vector_typeIjLj4EES7_SF_ZZZNS5_IS7_EEvS9_mlSA_ENKSB_clEvENKSC_clEvEUljE_EEvS9_T2_RKT3_T4_EUlijE0_EEvlNS_15PhiloxCudaStateET1_SK_,"axG",@progbits,_ZN2at6native12_GLOBAL__N_143distribution_elementwise_grid_stride_kernelIjLi4EZZZNS0_9templates4cuda21random_from_to_kernelIPNS_17CUDAGeneratorImplEEEvRNS_18TensorIteratorBaseEmlT_ENKUlvE_clEvENKUlvE6_clEvEUlP25hiprandStatePhilox4_32_10E0_ZNS1_27distribution_nullary_kernelIbj15HIP_vector_typeIjLj4EES7_SF_ZZZNS5_IS7_EEvS9_mlSA_ENKSB_clEvENKSC_clEvEUljE_EEvS9_T2_RKT3_T4_EUlijE0_EEvlNS_15PhiloxCudaStateET1_SK_,comdat
.Lfunc_end31:
	.size	_ZN2at6native12_GLOBAL__N_143distribution_elementwise_grid_stride_kernelIjLi4EZZZNS0_9templates4cuda21random_from_to_kernelIPNS_17CUDAGeneratorImplEEEvRNS_18TensorIteratorBaseEmlT_ENKUlvE_clEvENKUlvE6_clEvEUlP25hiprandStatePhilox4_32_10E0_ZNS1_27distribution_nullary_kernelIbj15HIP_vector_typeIjLj4EES7_SF_ZZZNS5_IS7_EEvS9_mlSA_ENKSB_clEvENKSC_clEvEUljE_EEvS9_T2_RKT3_T4_EUlijE0_EEvlNS_15PhiloxCudaStateET1_SK_, .Lfunc_end31-_ZN2at6native12_GLOBAL__N_143distribution_elementwise_grid_stride_kernelIjLi4EZZZNS0_9templates4cuda21random_from_to_kernelIPNS_17CUDAGeneratorImplEEEvRNS_18TensorIteratorBaseEmlT_ENKUlvE_clEvENKUlvE6_clEvEUlP25hiprandStatePhilox4_32_10E0_ZNS1_27distribution_nullary_kernelIbj15HIP_vector_typeIjLj4EES7_SF_ZZZNS5_IS7_EEvS9_mlSA_ENKSB_clEvENKSC_clEvEUljE_EEvS9_T2_RKT3_T4_EUlijE0_EEvlNS_15PhiloxCudaStateET1_SK_
                                        ; -- End function
	.section	.AMDGPU.csdata,"",@progbits
; Kernel info:
; codeLenInByte = 5832
; NumSgprs: 62
; NumVgprs: 45
; ScratchSize: 0
; MemoryBound: 0
; FloatMode: 240
; IeeeMode: 1
; LDSByteSize: 0 bytes/workgroup (compile time only)
; SGPRBlocks: 7
; VGPRBlocks: 5
; NumSGPRsForWavesPerEU: 62
; NumVGPRsForWavesPerEU: 45
; Occupancy: 16
; WaveLimiterHint : 1
; COMPUTE_PGM_RSRC2:SCRATCH_EN: 0
; COMPUTE_PGM_RSRC2:USER_SGPR: 15
; COMPUTE_PGM_RSRC2:TRAP_HANDLER: 0
; COMPUTE_PGM_RSRC2:TGID_X_EN: 1
; COMPUTE_PGM_RSRC2:TGID_Y_EN: 0
; COMPUTE_PGM_RSRC2:TGID_Z_EN: 0
; COMPUTE_PGM_RSRC2:TIDIG_COMP_CNT: 0
	.section	.text._ZN2at6native12_GLOBAL__N_143distribution_elementwise_grid_stride_kernelImLi2EZZZNS0_9templates4cuda21random_from_to_kernelIPNS_17CUDAGeneratorImplEEEvRNS_18TensorIteratorBaseEmlT_ENKUlvE_clEvENKUlvE7_clEvEUlP25hiprandStatePhilox4_32_10E_ZNS1_27distribution_nullary_kernelIN3c104HalfEm15HIP_vector_typeIyLj2EES7_SF_ZZZNS5_IS7_EEvS9_mlSA_ENKSB_clEvENKSC_clEvEUlmE_EEvS9_T2_RKT3_T4_EUlimE_EEvlNS_15PhiloxCudaStateET1_SM_,"axG",@progbits,_ZN2at6native12_GLOBAL__N_143distribution_elementwise_grid_stride_kernelImLi2EZZZNS0_9templates4cuda21random_from_to_kernelIPNS_17CUDAGeneratorImplEEEvRNS_18TensorIteratorBaseEmlT_ENKUlvE_clEvENKUlvE7_clEvEUlP25hiprandStatePhilox4_32_10E_ZNS1_27distribution_nullary_kernelIN3c104HalfEm15HIP_vector_typeIyLj2EES7_SF_ZZZNS5_IS7_EEvS9_mlSA_ENKSB_clEvENKSC_clEvEUlmE_EEvS9_T2_RKT3_T4_EUlimE_EEvlNS_15PhiloxCudaStateET1_SM_,comdat
	.globl	_ZN2at6native12_GLOBAL__N_143distribution_elementwise_grid_stride_kernelImLi2EZZZNS0_9templates4cuda21random_from_to_kernelIPNS_17CUDAGeneratorImplEEEvRNS_18TensorIteratorBaseEmlT_ENKUlvE_clEvENKUlvE7_clEvEUlP25hiprandStatePhilox4_32_10E_ZNS1_27distribution_nullary_kernelIN3c104HalfEm15HIP_vector_typeIyLj2EES7_SF_ZZZNS5_IS7_EEvS9_mlSA_ENKSB_clEvENKSC_clEvEUlmE_EEvS9_T2_RKT3_T4_EUlimE_EEvlNS_15PhiloxCudaStateET1_SM_ ; -- Begin function _ZN2at6native12_GLOBAL__N_143distribution_elementwise_grid_stride_kernelImLi2EZZZNS0_9templates4cuda21random_from_to_kernelIPNS_17CUDAGeneratorImplEEEvRNS_18TensorIteratorBaseEmlT_ENKUlvE_clEvENKUlvE7_clEvEUlP25hiprandStatePhilox4_32_10E_ZNS1_27distribution_nullary_kernelIN3c104HalfEm15HIP_vector_typeIyLj2EES7_SF_ZZZNS5_IS7_EEvS9_mlSA_ENKSB_clEvENKSC_clEvEUlmE_EEvS9_T2_RKT3_T4_EUlimE_EEvlNS_15PhiloxCudaStateET1_SM_
	.p2align	8
	.type	_ZN2at6native12_GLOBAL__N_143distribution_elementwise_grid_stride_kernelImLi2EZZZNS0_9templates4cuda21random_from_to_kernelIPNS_17CUDAGeneratorImplEEEvRNS_18TensorIteratorBaseEmlT_ENKUlvE_clEvENKUlvE7_clEvEUlP25hiprandStatePhilox4_32_10E_ZNS1_27distribution_nullary_kernelIN3c104HalfEm15HIP_vector_typeIyLj2EES7_SF_ZZZNS5_IS7_EEvS9_mlSA_ENKSB_clEvENKSC_clEvEUlmE_EEvS9_T2_RKT3_T4_EUlimE_EEvlNS_15PhiloxCudaStateET1_SM_,@function
_ZN2at6native12_GLOBAL__N_143distribution_elementwise_grid_stride_kernelImLi2EZZZNS0_9templates4cuda21random_from_to_kernelIPNS_17CUDAGeneratorImplEEEvRNS_18TensorIteratorBaseEmlT_ENKUlvE_clEvENKUlvE7_clEvEUlP25hiprandStatePhilox4_32_10E_ZNS1_27distribution_nullary_kernelIN3c104HalfEm15HIP_vector_typeIyLj2EES7_SF_ZZZNS5_IS7_EEvS9_mlSA_ENKSB_clEvENKSC_clEvEUlmE_EEvS9_T2_RKT3_T4_EUlimE_EEvlNS_15PhiloxCudaStateET1_SM_: ; @_ZN2at6native12_GLOBAL__N_143distribution_elementwise_grid_stride_kernelImLi2EZZZNS0_9templates4cuda21random_from_to_kernelIPNS_17CUDAGeneratorImplEEEvRNS_18TensorIteratorBaseEmlT_ENKUlvE_clEvENKUlvE7_clEvEUlP25hiprandStatePhilox4_32_10E_ZNS1_27distribution_nullary_kernelIN3c104HalfEm15HIP_vector_typeIyLj2EES7_SF_ZZZNS5_IS7_EEvS9_mlSA_ENKSB_clEvENKSC_clEvEUlmE_EEvS9_T2_RKT3_T4_EUlimE_EEvlNS_15PhiloxCudaStateET1_SM_
; %bb.0:
	s_clause 0x2
	s_load_b64 s[8:9], s[0:1], 0x10
	s_load_b128 s[4:7], s[0:1], 0x0
	s_load_b32 s2, s[0:1], 0x20
	s_waitcnt lgkmcnt(0)
	v_dual_mov_b32 v2, s8 :: v_dual_mov_b32 v3, s9
	v_dual_mov_b32 v9, s7 :: v_dual_mov_b32 v8, s6
	s_bitcmp0_b32 s2, 0
	s_mov_b32 s2, 0
	s_cbranch_scc1 .LBB32_2
; %bb.1:
	v_dual_mov_b32 v1, s8 :: v_dual_mov_b32 v2, s9
	v_dual_mov_b32 v4, s6 :: v_dual_mov_b32 v5, s7
	s_load_b64 s[6:7], s[0:1], 0x18
	flat_load_b64 v[2:3], v[1:2]
	flat_load_b64 v[8:9], v[4:5]
	s_waitcnt vmcnt(1) lgkmcnt(0)
	v_add_co_u32 v2, vcc_lo, v2, s6
	v_add_co_ci_u32_e32 v3, vcc_lo, s7, v3, vcc_lo
.LBB32_2:
	s_clause 0x1
	s_load_b32 s3, s[0:1], 0x5c
	s_load_b32 s16, s[0:1], 0x50
	s_waitcnt lgkmcnt(0)
	s_and_b32 s14, s3, 0xffff
	s_add_u32 s6, s4, -1
	s_mul_i32 s12, s16, s14
	s_addc_u32 s3, s5, -1
	s_lshl_b32 s13, s12, 1
	s_cmp_lg_u64 s[2:3], 0
	s_cbranch_scc0 .LBB32_31
; %bb.3:
	v_cvt_f32_ubyte0_e32 v1, 0
	v_cvt_f32_u32_e32 v4, s13
	s_sub_u32 s8, 0, s13
	s_subb_u32 s9, 0, 0
	s_delay_alu instid0(VALU_DEP_1) | instskip(NEXT) | instid1(VALU_DEP_1)
	v_fmamk_f32 v1, v1, 0x4f800000, v4
	v_rcp_f32_e32 v1, v1
	s_waitcnt_depctr 0xfff
	v_mul_f32_e32 v1, 0x5f7ffffc, v1
	s_delay_alu instid0(VALU_DEP_1) | instskip(NEXT) | instid1(VALU_DEP_1)
	v_mul_f32_e32 v4, 0x2f800000, v1
	v_trunc_f32_e32 v4, v4
	s_delay_alu instid0(VALU_DEP_1) | instskip(SKIP_1) | instid1(VALU_DEP_2)
	v_fmamk_f32 v1, v4, 0xcf800000, v1
	v_cvt_u32_f32_e32 v4, v4
	v_cvt_u32_f32_e32 v1, v1
	s_delay_alu instid0(VALU_DEP_2) | instskip(NEXT) | instid1(VALU_DEP_2)
	v_readfirstlane_b32 s2, v4
	v_readfirstlane_b32 s7, v1
	s_delay_alu instid0(VALU_DEP_2) | instskip(NEXT) | instid1(VALU_DEP_1)
	s_mul_i32 s10, s8, s2
	s_mul_hi_u32 s17, s8, s7
	s_mul_i32 s11, s9, s7
	s_add_i32 s10, s17, s10
	s_mul_i32 s18, s8, s7
	s_add_i32 s10, s10, s11
	s_mul_hi_u32 s17, s7, s18
	s_mul_hi_u32 s19, s2, s18
	s_mul_i32 s11, s2, s18
	s_mul_hi_u32 s18, s7, s10
	s_mul_i32 s7, s7, s10
	s_mul_hi_u32 s20, s2, s10
	s_add_u32 s7, s17, s7
	s_addc_u32 s17, 0, s18
	s_add_u32 s7, s7, s11
	s_mul_i32 s10, s2, s10
	s_addc_u32 s7, s17, s19
	s_addc_u32 s11, s20, 0
	s_add_u32 s7, s7, s10
	s_addc_u32 s10, 0, s11
	v_add_co_u32 v1, s7, v1, s7
	s_delay_alu instid0(VALU_DEP_1) | instskip(SKIP_1) | instid1(VALU_DEP_1)
	s_cmp_lg_u32 s7, 0
	s_addc_u32 s2, s2, s10
	v_readfirstlane_b32 s7, v1
	s_mul_i32 s10, s8, s2
	s_delay_alu instid0(VALU_DEP_1)
	s_mul_hi_u32 s11, s8, s7
	s_mul_i32 s9, s9, s7
	s_add_i32 s10, s11, s10
	s_mul_i32 s8, s8, s7
	s_add_i32 s10, s10, s9
	s_mul_hi_u32 s11, s2, s8
	s_mul_i32 s17, s2, s8
	s_mul_hi_u32 s8, s7, s8
	s_mul_hi_u32 s18, s7, s10
	s_mul_i32 s7, s7, s10
	s_mul_hi_u32 s9, s2, s10
	s_add_u32 s7, s8, s7
	s_addc_u32 s8, 0, s18
	s_add_u32 s7, s7, s17
	s_mul_i32 s10, s2, s10
	s_addc_u32 s7, s8, s11
	s_addc_u32 s8, s9, 0
	s_add_u32 s7, s7, s10
	s_addc_u32 s8, 0, s8
	v_add_co_u32 v1, s7, v1, s7
	s_delay_alu instid0(VALU_DEP_1) | instskip(SKIP_2) | instid1(VALU_DEP_1)
	s_cmp_lg_u32 s7, 0
	s_addc_u32 s7, s2, s8
	s_ashr_i32 s8, s3, 31
	v_readfirstlane_b32 s10, v1
	s_add_u32 s2, s6, s8
	s_mov_b32 s9, s8
	s_addc_u32 s3, s3, s8
	s_delay_alu instid0(SALU_CYCLE_1) | instskip(NEXT) | instid1(SALU_CYCLE_1)
	s_xor_b64 s[2:3], s[2:3], s[8:9]
	s_mul_i32 s17, s2, s7
	s_mul_hi_u32 s18, s2, s10
	s_mul_hi_u32 s11, s2, s7
	;; [unrolled: 1-line block ×3, first 2 shown]
	s_mul_i32 s10, s3, s10
	s_add_u32 s17, s18, s17
	s_addc_u32 s11, 0, s11
	s_mul_hi_u32 s19, s3, s7
	s_add_u32 s10, s17, s10
	s_mul_i32 s7, s3, s7
	s_addc_u32 s10, s11, s20
	s_addc_u32 s11, s19, 0
	s_add_u32 s7, s10, s7
	s_addc_u32 s10, 0, s11
	s_mul_i32 s17, s13, s7
	s_add_u32 s11, s7, 1
	v_sub_co_u32 v1, s2, s2, s17
	s_mul_hi_u32 s17, s13, s7
	s_addc_u32 s18, s10, 0
	s_mul_i32 s19, s13, s10
	s_delay_alu instid0(VALU_DEP_1)
	v_sub_co_u32 v4, s20, v1, s13
	s_add_u32 s21, s7, 2
	s_addc_u32 s22, s10, 0
	s_add_i32 s17, s17, s19
	s_cmp_lg_u32 s2, 0
	v_readfirstlane_b32 s2, v4
	s_subb_u32 s3, s3, s17
	s_cmp_lg_u32 s20, 0
	s_subb_u32 s17, s3, 0
	s_delay_alu instid0(VALU_DEP_1) | instskip(SKIP_4) | instid1(SALU_CYCLE_1)
	s_cmp_ge_u32 s2, s13
	s_cselect_b32 s2, -1, 0
	s_cmp_eq_u32 s17, 0
	v_readfirstlane_b32 s17, v1
	s_cselect_b32 s2, s2, -1
	s_cmp_lg_u32 s2, 0
	s_cselect_b32 s2, s21, s11
	s_cselect_b32 s11, s22, s18
	s_cmp_ge_u32 s17, s13
	s_cselect_b32 s17, -1, 0
	s_cmp_eq_u32 s3, 0
	s_cselect_b32 s3, s17, -1
	s_delay_alu instid0(SALU_CYCLE_1) | instskip(SKIP_2) | instid1(SALU_CYCLE_1)
	s_cmp_lg_u32 s3, 0
	s_cselect_b32 s3, s11, s10
	s_cselect_b32 s2, s2, s7
	s_xor_b64 s[2:3], s[2:3], s[8:9]
	s_delay_alu instid0(SALU_CYCLE_1)
	s_sub_u32 s2, s2, s8
	s_subb_u32 s3, s3, s8
	s_cbranch_execnz .LBB32_5
.LBB32_4:
	v_cvt_f32_u32_e32 v1, s13
	s_sub_i32 s3, 0, s13
	s_delay_alu instid0(VALU_DEP_1) | instskip(SKIP_2) | instid1(VALU_DEP_1)
	v_rcp_iflag_f32_e32 v1, v1
	s_waitcnt_depctr 0xfff
	v_mul_f32_e32 v1, 0x4f7ffffe, v1
	v_cvt_u32_f32_e32 v1, v1
	s_delay_alu instid0(VALU_DEP_1) | instskip(NEXT) | instid1(VALU_DEP_1)
	v_readfirstlane_b32 s2, v1
	s_mul_i32 s3, s3, s2
	s_delay_alu instid0(SALU_CYCLE_1) | instskip(NEXT) | instid1(SALU_CYCLE_1)
	s_mul_hi_u32 s3, s2, s3
	s_add_i32 s2, s2, s3
	s_delay_alu instid0(SALU_CYCLE_1) | instskip(NEXT) | instid1(SALU_CYCLE_1)
	s_mul_hi_u32 s2, s6, s2
	s_mul_i32 s3, s2, s13
	s_delay_alu instid0(SALU_CYCLE_1)
	s_sub_i32 s3, s6, s3
	s_add_i32 s6, s2, 1
	s_sub_i32 s7, s3, s13
	s_cmp_ge_u32 s3, s13
	s_cselect_b32 s2, s6, s2
	s_cselect_b32 s3, s7, s3
	s_add_i32 s6, s2, 1
	s_cmp_ge_u32 s3, s13
	s_mov_b32 s3, 0
	s_cselect_b32 s2, s6, s2
.LBB32_5:
	v_mov_b32_e32 v10, 0
	s_add_u32 s2, s2, 1
	s_addc_u32 s3, s3, 0
	s_mul_hi_u32 s6, s16, s14
	s_mul_hi_u32 s7, s12, s2
	v_mov_b32_e32 v1, v10
	s_mul_i32 s3, s12, s3
	s_mul_i32 s6, s6, s2
	s_add_i32 s3, s7, s3
	s_mul_i32 s2, s12, s2
	v_mad_u64_u32 v[12:13], null, s14, s15, v[0:1]
	s_add_i32 s3, s3, s6
	s_mov_b32 s6, exec_lo
	s_lshl_b64 s[2:3], s[2:3], 1
	s_delay_alu instid0(VALU_DEP_1) | instid1(SALU_CYCLE_1)
	v_cmpx_gt_i64_e64 s[2:3], v[12:13]
	s_cbranch_execz .LBB32_30
; %bb.6:
	v_alignbit_b32 v17, v3, v2, 2
	v_mad_u64_u32 v[6:7], null, 0xcd9e8d57, v12, 0
	v_lshrrev_b32_e32 v18, 2, v3
	s_waitcnt vmcnt(0)
	v_mov_b32_e32 v11, v9
	v_mad_u64_u32 v[4:5], null, 0xd2511f53, v17, 0
	v_add_co_u32 v20, null, 0x9e3779b9, v8
	v_xor3_b32 v3, v8, v7, v18
	s_delay_alu instid0(VALU_DEP_4) | instskip(SKIP_2) | instid1(VALU_DEP_4)
	v_add_co_u32 v19, null, 0xbb67ae85, v11
	v_add_co_u32 v21, null, 0x3c6ef372, v8
	v_xor_b32_e32 v1, v5, v9
	v_mad_u64_u32 v[14:15], null, 0xd2511f53, v3, 0
	v_add_co_u32 v22, null, 0x76cf5d0a, v11
	s_delay_alu instid0(VALU_DEP_3) | instskip(SKIP_2) | instid1(VALU_DEP_3)
	v_xor_b32_e32 v1, v1, v13
	v_add_co_u32 v25, null, 0x78dde6e4, v8
	v_add_co_u32 v26, null, 0xed9eba14, v11
	v_mad_u64_u32 v[23:24], null, 0xcd9e8d57, v1, 0
	v_xor3_b32 v1, v19, v15, v4
	v_add_co_u32 v28, null, 0x1715609d, v8
	v_add_co_u32 v30, null, 0x646e171e, v11
	s_delay_alu instid0(VALU_DEP_3) | instskip(SKIP_3) | instid1(VALU_DEP_3)
	v_mad_u64_u32 v[3:4], null, 0xcd9e8d57, v1, 0
	v_xor3_b32 v7, v20, v24, v6
	v_add_co_u32 v24, null, 0xdaa66d2b, v8
	v_add_co_u32 v29, null, 0xb54cda56, v8
	v_mad_u64_u32 v[5:6], null, 0xd2511f53, v7, 0
	v_xor3_b32 v1, v21, v4, v23
	v_add_co_u32 v23, null, 0x32370b8f, v11
	v_add_co_u32 v32, null, 0x5384540f, v8
	s_clause 0x2
	s_load_b64 s[6:7], s[0:1], 0x30
	s_load_b32 s17, s[0:1], 0x38
	s_load_b128 s[8:11], s[0:1], 0x40
	v_xor3_b32 v4, v22, v6, v14
	v_mad_u64_u32 v[6:7], null, 0xd2511f53, v1, 0
	v_add_co_u32 v35, null, 0xf1bbcdc8, v8
	s_delay_alu instid0(VALU_DEP_3) | instskip(SKIP_2) | instid1(VALU_DEP_4)
	v_mad_u64_u32 v[14:15], null, 0xcd9e8d57, v4, 0
	v_mov_b32_e32 v41, v13
	s_mov_b32 s1, 0
	v_xor3_b32 v1, v23, v7, v5
	v_mov_b32_e32 v38, v12
	s_delay_alu instid0(VALU_DEP_4) | instskip(NEXT) | instid1(VALU_DEP_3)
	v_xor3_b32 v5, v24, v15, v3
	v_mad_u64_u32 v[3:4], null, 0xcd9e8d57, v1, 0
	s_delay_alu instid0(VALU_DEP_2) | instskip(SKIP_2) | instid1(VALU_DEP_2)
	v_mad_u64_u32 v[15:16], null, 0xd2511f53, v5, 0
	s_waitcnt lgkmcnt(0)
	s_mul_i32 s0, s16, s17
	v_xor3_b32 v1, v25, v4, v14
	s_mul_i32 s0, s0, s14
	s_delay_alu instid0(VALU_DEP_2) | instskip(NEXT) | instid1(VALU_DEP_2)
	v_xor3_b32 v14, v26, v16, v6
	v_mad_u64_u32 v[4:5], null, 0xd2511f53, v1, 0
	s_delay_alu instid0(VALU_DEP_2) | instskip(NEXT) | instid1(VALU_DEP_1)
	v_mad_u64_u32 v[6:7], null, 0xcd9e8d57, v14, 0
	v_xor3_b32 v3, v28, v7, v3
	s_delay_alu instid0(VALU_DEP_1) | instskip(NEXT) | instid1(VALU_DEP_1)
	v_mad_u64_u32 v[33:34], null, 0xd2511f53, v3, 0
	v_xor3_b32 v7, v30, v34, v4
	v_add_nc_u32_e32 v34, 0x8ff34781, v8
	v_add_co_u32 v27, null, 0xa9066899, v11
	v_add_co_u32 v31, null, 0x1fd5c5a3, v11
	;; [unrolled: 1-line block ×3, first 2 shown]
	s_delay_alu instid0(VALU_DEP_3) | instskip(NEXT) | instid1(VALU_DEP_1)
	v_xor3_b32 v1, v27, v5, v15
	v_mad_u64_u32 v[14:15], null, 0xcd9e8d57, v1, 0
	s_delay_alu instid0(VALU_DEP_1) | instskip(SKIP_1) | instid1(VALU_DEP_2)
	v_xor3_b32 v1, v29, v15, v6
	v_mad_u64_u32 v[5:6], null, 0xcd9e8d57, v7, 0
	v_mad_u64_u32 v[3:4], null, 0xd2511f53, v1, 0
	s_delay_alu instid0(VALU_DEP_2) | instskip(NEXT) | instid1(VALU_DEP_2)
	v_xor3_b32 v6, v32, v6, v14
	v_xor3_b32 v4, v31, v4, v33
	v_and_b32_e32 v33, 3, v2
	s_delay_alu instid0(VALU_DEP_3) | instskip(NEXT) | instid1(VALU_DEP_3)
	v_mad_u64_u32 v[14:15], null, 0xd2511f53, v6, 0
	v_mad_u64_u32 v[1:2], null, 0xcd9e8d57, v4, 0
	s_delay_alu instid0(VALU_DEP_1) | instskip(SKIP_1) | instid1(VALU_DEP_2)
	v_mad_u64_u32 v[6:7], null, s15, s14, v[0:1]
	s_add_i32 s15, s15, s16
	v_xor3_b32 v4, v35, v2, v5
	s_delay_alu instid0(VALU_DEP_4) | instskip(SKIP_2) | instid1(VALU_DEP_3)
	v_xor3_b32 v7, v36, v15, v3
	v_mad_u64_u32 v[2:3], null, s15, s14, v[0:1]
	s_lshl_b32 s14, s0, 1
	v_mad_u64_u32 v[15:16], null, 0xd2511f53, v4, 0
	s_delay_alu instid0(VALU_DEP_3)
	v_mad_u64_u32 v[4:5], null, 0xcd9e8d57, v7, 0
	v_add_nc_u32_e32 v37, 0x96a522ad, v9
	v_mul_lo_u32 v39, s17, v6
	v_mul_lo_u32 v40, s17, v2
	s_mov_b32 s15, 0
	v_mov_b32_e32 v6, v15
	v_xor3_b32 v3, v5, v1, v34
	v_xor3_b32 v5, v16, v14, v37
	s_branch .LBB32_9
.LBB32_7:                               ;   in Loop: Header=BB32_9 Depth=1
	s_or_b32 exec_lo, exec_lo, s0
	s_delay_alu instid0(VALU_DEP_1) | instskip(SKIP_1) | instid1(VALU_DEP_1)
	v_add_co_u32 v3, vcc_lo, v15, s10
	v_add_co_ci_u32_e32 v4, vcc_lo, s11, v16, vcc_lo
	v_xor_b32_e32 v5, v3, v4
	v_cls_i32_e32 v6, v4
	s_delay_alu instid0(VALU_DEP_2) | instskip(NEXT) | instid1(VALU_DEP_2)
	v_ashrrev_i32_e32 v5, 31, v5
	v_add_nc_u32_e32 v6, -1, v6
	s_delay_alu instid0(VALU_DEP_2) | instskip(NEXT) | instid1(VALU_DEP_1)
	v_add_nc_u32_e32 v5, 32, v5
	v_min_u32_e32 v5, v6, v5
	s_delay_alu instid0(VALU_DEP_1) | instskip(SKIP_1) | instid1(VALU_DEP_2)
	v_lshlrev_b64 v[3:4], v5, v[3:4]
	v_sub_nc_u32_e32 v5, 32, v5
	v_min_u32_e32 v3, 1, v3
	s_delay_alu instid0(VALU_DEP_1) | instskip(SKIP_1) | instid1(VALU_DEP_2)
	v_or_b32_e32 v3, v4, v3
	v_add_nc_u32_e32 v4, s15, v40
	v_cvt_f32_i32_e32 v3, v3
	s_delay_alu instid0(VALU_DEP_2) | instskip(NEXT) | instid1(VALU_DEP_2)
	v_ashrrev_i32_e32 v6, 31, v4
	v_ldexp_f32 v5, v3, v5
	v_add_co_u32 v3, vcc_lo, s6, v4
	s_delay_alu instid0(VALU_DEP_3) | instskip(NEXT) | instid1(VALU_DEP_3)
	v_add_co_ci_u32_e32 v4, vcc_lo, s7, v6, vcc_lo
	v_cvt_f16_f32_e32 v5, v5
	global_store_b16 v[3:4], v5, off
.LBB32_8:                               ;   in Loop: Header=BB32_9 Depth=1
	s_or_b32 exec_lo, exec_lo, s16
	v_add_co_u32 v12, vcc_lo, v12, s13
	v_add_co_ci_u32_e32 v13, vcc_lo, 0, v13, vcc_lo
	v_mov_b32_e32 v3, v14
	s_add_i32 s15, s15, s14
	s_waitcnt_vscnt null, 0x0
	s_delay_alu instid0(VALU_DEP_2)
	v_cmp_le_i64_e32 vcc_lo, s[2:3], v[12:13]
	s_barrier
	v_mov_b32_e32 v6, v3
	v_dual_mov_b32 v5, v2 :: v_dual_mov_b32 v4, v1
	v_mov_b32_e32 v3, v0
	s_or_b32 s1, vcc_lo, s1
	buffer_gl0_inv
	s_and_not1_b32 exec_lo, exec_lo, s1
	s_cbranch_execz .LBB32_30
.LBB32_9:                               ; =>This Inner Loop Header: Depth=1
	v_add_co_u32 v17, vcc_lo, v17, 1
	s_delay_alu instid0(VALU_DEP_1) | instskip(SKIP_2) | instid1(VALU_DEP_1)
	v_cndmask_b32_e64 v0, 0, 1, vcc_lo
	v_add_co_ci_u32_e32 v18, vcc_lo, 0, v18, vcc_lo
	s_mov_b32 s0, exec_lo
	v_cmp_eq_u32_e32 vcc_lo, 0, v18
	s_delay_alu instid0(VALU_DEP_3) | instskip(NEXT) | instid1(VALU_DEP_1)
	v_cndmask_b32_e32 v0, 0, v0, vcc_lo
	v_add_nc_u32_e32 v38, v0, v38
	s_delay_alu instid0(VALU_DEP_1) | instskip(SKIP_2) | instid1(VALU_DEP_2)
	v_cmp_eq_u32_e32 vcc_lo, 0, v38
	v_mad_u64_u32 v[14:15], null, 0xcd9e8d57, v38, 0
	v_cndmask_b32_e32 v0, 0, v0, vcc_lo
	v_xor3_b32 v7, v15, v8, v18
	s_delay_alu instid0(VALU_DEP_2) | instskip(SKIP_1) | instid1(VALU_DEP_1)
	v_add_nc_u32_e32 v41, v0, v41
	v_mad_u64_u32 v[0:1], null, 0xd2511f53, v17, 0
	v_xor_b32_e32 v1, v1, v9
	s_delay_alu instid0(VALU_DEP_1) | instskip(SKIP_1) | instid1(VALU_DEP_2)
	v_xor_b32_e32 v11, v41, v1
	v_mad_u64_u32 v[1:2], null, 0xd2511f53, v7, 0
	v_mad_u64_u32 v[15:16], null, 0xcd9e8d57, v11, 0
	s_delay_alu instid0(VALU_DEP_2) | instskip(NEXT) | instid1(VALU_DEP_2)
	v_xor3_b32 v0, v19, v2, v0
	v_xor3_b32 v2, v20, v16, v14
	s_delay_alu instid0(VALU_DEP_2) | instskip(NEXT) | instid1(VALU_DEP_2)
	v_mad_u64_u32 v[42:43], null, 0xcd9e8d57, v0, 0
	v_mad_u64_u32 v[44:45], null, 0xd2511f53, v2, 0
	s_delay_alu instid0(VALU_DEP_2) | instskip(NEXT) | instid1(VALU_DEP_2)
	v_xor3_b32 v2, v21, v43, v15
	v_xor3_b32 v7, v22, v45, v1
	s_delay_alu instid0(VALU_DEP_2) | instskip(NEXT) | instid1(VALU_DEP_2)
	;; [unrolled: 6-line block ×8, first 2 shown]
	v_mad_u64_u32 v[14:15], null, 0xd2511f53, v0, 0
	v_mad_u64_u32 v[1:2], null, 0xcd9e8d57, v7, 0
	s_delay_alu instid0(VALU_DEP_2) | instskip(NEXT) | instid1(VALU_DEP_2)
	v_xor3_b32 v7, v15, v44, v37
	v_xor3_b32 v0, v2, v42, v34
	s_delay_alu instid0(VALU_DEP_2)
	v_mov_b32_e32 v2, v7
	v_cmpx_lt_i32_e32 1, v33
	s_xor_b32 s0, exec_lo, s0
	s_cbranch_execnz .LBB32_12
; %bb.10:                               ;   in Loop: Header=BB32_9 Depth=1
	s_and_not1_saveexec_b32 s0, s0
	s_cbranch_execnz .LBB32_17
.LBB32_11:                              ;   in Loop: Header=BB32_9 Depth=1
	s_or_b32 exec_lo, exec_lo, s0
	s_delay_alu instid0(SALU_CYCLE_1)
	s_mov_b32 s16, exec_lo
	v_cmpx_gt_i64_e64 s[4:5], v[12:13]
	s_cbranch_execnz .LBB32_20
	s_branch .LBB32_25
.LBB32_12:                              ;   in Loop: Header=BB32_9 Depth=1
	s_mov_b32 s16, exec_lo
	v_cmpx_lt_i32_e32 2, v33
	s_xor_b32 s16, exec_lo, s16
; %bb.13:                               ;   in Loop: Header=BB32_9 Depth=1
	v_dual_mov_b32 v4, v6 :: v_dual_mov_b32 v5, v0
	v_mov_b32_e32 v6, v1
	s_delay_alu instid0(VALU_DEP_2) | instskip(NEXT) | instid1(VALU_DEP_3)
	v_mov_b32_e32 v3, v4
	v_mov_b32_e32 v4, v5
	s_delay_alu instid0(VALU_DEP_3)
	v_mov_b32_e32 v5, v6
	v_mov_b32_e32 v6, v7
; %bb.14:                               ;   in Loop: Header=BB32_9 Depth=1
	s_and_not1_saveexec_b32 s16, s16
; %bb.15:                               ;   in Loop: Header=BB32_9 Depth=1
	s_delay_alu instid0(VALU_DEP_1)
	v_dual_mov_b32 v3, v5 :: v_dual_mov_b32 v4, v6
	v_dual_mov_b32 v5, v0 :: v_dual_mov_b32 v6, v1
; %bb.16:                               ;   in Loop: Header=BB32_9 Depth=1
	s_or_b32 exec_lo, exec_lo, s16
	s_and_not1_saveexec_b32 s0, s0
	s_cbranch_execz .LBB32_11
.LBB32_17:                              ;   in Loop: Header=BB32_9 Depth=1
	s_mov_b32 s16, exec_lo
	v_cmpx_eq_u32_e32 1, v33
; %bb.18:                               ;   in Loop: Header=BB32_9 Depth=1
	v_dual_mov_b32 v3, v4 :: v_dual_mov_b32 v4, v5
	v_dual_mov_b32 v5, v6 :: v_dual_mov_b32 v6, v0
; %bb.19:                               ;   in Loop: Header=BB32_9 Depth=1
	s_or_b32 exec_lo, exec_lo, s16
	s_delay_alu instid0(SALU_CYCLE_1) | instskip(NEXT) | instid1(SALU_CYCLE_1)
	s_or_b32 exec_lo, exec_lo, s0
	s_mov_b32 s16, exec_lo
	v_cmpx_gt_i64_e64 s[4:5], v[12:13]
	s_cbranch_execz .LBB32_25
.LBB32_20:                              ;   in Loop: Header=BB32_9 Depth=1
	v_or_b32_e32 v11, s9, v3
                                        ; implicit-def: $vgpr15_vgpr16
	s_mov_b32 s0, exec_lo
	s_delay_alu instid0(VALU_DEP_1)
	v_cmpx_ne_u64_e32 0, v[10:11]
	s_xor_b32 s17, exec_lo, s0
	s_cbranch_execz .LBB32_22
; %bb.21:                               ;   in Loop: Header=BB32_9 Depth=1
	v_cvt_f32_u32_e32 v7, s8
	v_cvt_f32_u32_e32 v11, s9
	s_sub_u32 s0, 0, s8
	s_subb_u32 s18, 0, s9
	s_delay_alu instid0(VALU_DEP_1) | instskip(NEXT) | instid1(VALU_DEP_1)
	v_fmac_f32_e32 v7, 0x4f800000, v11
	v_rcp_f32_e32 v7, v7
	s_waitcnt_depctr 0xfff
	v_mul_f32_e32 v7, 0x5f7ffffc, v7
	s_delay_alu instid0(VALU_DEP_1) | instskip(NEXT) | instid1(VALU_DEP_1)
	v_mul_f32_e32 v11, 0x2f800000, v7
	v_trunc_f32_e32 v11, v11
	s_delay_alu instid0(VALU_DEP_1) | instskip(SKIP_1) | instid1(VALU_DEP_2)
	v_fmac_f32_e32 v7, 0xcf800000, v11
	v_cvt_u32_f32_e32 v11, v11
	v_cvt_u32_f32_e32 v7, v7
	s_delay_alu instid0(VALU_DEP_2) | instskip(NEXT) | instid1(VALU_DEP_2)
	v_mul_lo_u32 v15, s0, v11
	v_mul_hi_u32 v16, s0, v7
	v_mul_lo_u32 v42, s18, v7
	s_delay_alu instid0(VALU_DEP_2) | instskip(SKIP_1) | instid1(VALU_DEP_2)
	v_add_nc_u32_e32 v15, v16, v15
	v_mul_lo_u32 v16, s0, v7
	v_add_nc_u32_e32 v15, v15, v42
	s_delay_alu instid0(VALU_DEP_2) | instskip(NEXT) | instid1(VALU_DEP_2)
	v_mul_hi_u32 v42, v7, v16
	v_mul_lo_u32 v43, v7, v15
	v_mul_hi_u32 v44, v7, v15
	v_mul_hi_u32 v45, v11, v16
	v_mul_lo_u32 v16, v11, v16
	v_mul_hi_u32 v46, v11, v15
	v_mul_lo_u32 v15, v11, v15
	v_add_co_u32 v42, vcc_lo, v42, v43
	v_add_co_ci_u32_e32 v43, vcc_lo, 0, v44, vcc_lo
	s_delay_alu instid0(VALU_DEP_2) | instskip(NEXT) | instid1(VALU_DEP_2)
	v_add_co_u32 v16, vcc_lo, v42, v16
	v_add_co_ci_u32_e32 v16, vcc_lo, v43, v45, vcc_lo
	v_add_co_ci_u32_e32 v42, vcc_lo, 0, v46, vcc_lo
	s_delay_alu instid0(VALU_DEP_2) | instskip(NEXT) | instid1(VALU_DEP_2)
	v_add_co_u32 v15, vcc_lo, v16, v15
	v_add_co_ci_u32_e32 v16, vcc_lo, 0, v42, vcc_lo
	s_delay_alu instid0(VALU_DEP_2) | instskip(NEXT) | instid1(VALU_DEP_2)
	v_add_co_u32 v7, vcc_lo, v7, v15
	v_add_co_ci_u32_e32 v11, vcc_lo, v11, v16, vcc_lo
	s_delay_alu instid0(VALU_DEP_2) | instskip(SKIP_1) | instid1(VALU_DEP_3)
	v_mul_hi_u32 v15, s0, v7
	v_mul_lo_u32 v42, s18, v7
	v_mul_lo_u32 v16, s0, v11
	s_delay_alu instid0(VALU_DEP_1) | instskip(SKIP_1) | instid1(VALU_DEP_2)
	v_add_nc_u32_e32 v15, v15, v16
	v_mul_lo_u32 v16, s0, v7
	v_add_nc_u32_e32 v15, v15, v42
	s_delay_alu instid0(VALU_DEP_2) | instskip(NEXT) | instid1(VALU_DEP_2)
	v_mul_hi_u32 v42, v7, v16
	v_mul_lo_u32 v43, v7, v15
	v_mul_hi_u32 v44, v7, v15
	v_mul_hi_u32 v45, v11, v16
	v_mul_lo_u32 v16, v11, v16
	v_mul_hi_u32 v46, v11, v15
	v_mul_lo_u32 v15, v11, v15
	v_add_co_u32 v42, vcc_lo, v42, v43
	v_add_co_ci_u32_e32 v43, vcc_lo, 0, v44, vcc_lo
	s_delay_alu instid0(VALU_DEP_2) | instskip(NEXT) | instid1(VALU_DEP_2)
	v_add_co_u32 v16, vcc_lo, v42, v16
	v_add_co_ci_u32_e32 v16, vcc_lo, v43, v45, vcc_lo
	v_add_co_ci_u32_e32 v42, vcc_lo, 0, v46, vcc_lo
	s_delay_alu instid0(VALU_DEP_2) | instskip(NEXT) | instid1(VALU_DEP_2)
	v_add_co_u32 v15, vcc_lo, v16, v15
	v_add_co_ci_u32_e32 v16, vcc_lo, 0, v42, vcc_lo
	s_delay_alu instid0(VALU_DEP_2) | instskip(NEXT) | instid1(VALU_DEP_2)
	v_add_co_u32 v7, vcc_lo, v7, v15
	v_add_co_ci_u32_e32 v11, vcc_lo, v11, v16, vcc_lo
	s_delay_alu instid0(VALU_DEP_2) | instskip(SKIP_1) | instid1(VALU_DEP_3)
	v_mul_hi_u32 v46, v4, v7
	v_mad_u64_u32 v[42:43], null, v3, v7, 0
	v_mad_u64_u32 v[15:16], null, v4, v11, 0
	;; [unrolled: 1-line block ×3, first 2 shown]
	s_delay_alu instid0(VALU_DEP_2) | instskip(NEXT) | instid1(VALU_DEP_3)
	v_add_co_u32 v7, vcc_lo, v46, v15
	v_add_co_ci_u32_e32 v11, vcc_lo, 0, v16, vcc_lo
	s_delay_alu instid0(VALU_DEP_2) | instskip(NEXT) | instid1(VALU_DEP_2)
	v_add_co_u32 v7, vcc_lo, v7, v42
	v_add_co_ci_u32_e32 v7, vcc_lo, v11, v43, vcc_lo
	v_add_co_ci_u32_e32 v11, vcc_lo, 0, v45, vcc_lo
	s_delay_alu instid0(VALU_DEP_2) | instskip(NEXT) | instid1(VALU_DEP_2)
	v_add_co_u32 v7, vcc_lo, v7, v44
	v_add_co_ci_u32_e32 v11, vcc_lo, 0, v11, vcc_lo
	s_delay_alu instid0(VALU_DEP_2) | instskip(SKIP_1) | instid1(VALU_DEP_3)
	v_mul_lo_u32 v42, s9, v7
	v_mad_u64_u32 v[15:16], null, s8, v7, 0
	v_mul_lo_u32 v7, s8, v11
	s_delay_alu instid0(VALU_DEP_2) | instskip(NEXT) | instid1(VALU_DEP_2)
	v_sub_co_u32 v15, vcc_lo, v4, v15
	v_add3_u32 v7, v16, v7, v42
	s_delay_alu instid0(VALU_DEP_1) | instskip(NEXT) | instid1(VALU_DEP_1)
	v_sub_nc_u32_e32 v11, v3, v7
	v_subrev_co_ci_u32_e64 v11, s0, s9, v11, vcc_lo
	v_sub_co_ci_u32_e32 v3, vcc_lo, v3, v7, vcc_lo
	v_sub_co_u32 v7, vcc_lo, v15, s8
	s_delay_alu instid0(VALU_DEP_1) | instskip(SKIP_3) | instid1(VALU_DEP_3)
	v_subrev_co_ci_u32_e64 v16, s0, 0, v11, vcc_lo
	v_cmp_le_u32_e64 s0, s8, v15
	v_subrev_co_ci_u32_e32 v11, vcc_lo, s9, v11, vcc_lo
	v_cmp_le_u32_e32 vcc_lo, s9, v3
	v_cndmask_b32_e64 v42, 0, -1, s0
	v_cmp_le_u32_e64 s0, s8, v7
	v_cndmask_b32_e64 v45, 0, -1, vcc_lo
	v_cmp_eq_u32_e32 vcc_lo, s9, v16
	s_delay_alu instid0(VALU_DEP_3) | instskip(SKIP_1) | instid1(VALU_DEP_1)
	v_cndmask_b32_e64 v43, 0, -1, s0
	v_cmp_le_u32_e64 s0, s9, v16
	v_cndmask_b32_e64 v44, 0, -1, s0
	v_cmp_eq_u32_e64 s0, s9, v3
	s_delay_alu instid0(VALU_DEP_2) | instskip(SKIP_2) | instid1(VALU_DEP_3)
	v_cndmask_b32_e32 v43, v44, v43, vcc_lo
	v_sub_co_u32 v44, vcc_lo, v7, s8
	v_subrev_co_ci_u32_e32 v11, vcc_lo, 0, v11, vcc_lo
	v_cmp_ne_u32_e32 vcc_lo, 0, v43
	v_cndmask_b32_e64 v42, v45, v42, s0
	s_delay_alu instid0(VALU_DEP_3) | instskip(SKIP_1) | instid1(VALU_DEP_3)
	v_cndmask_b32_e32 v11, v16, v11, vcc_lo
	v_cndmask_b32_e32 v7, v7, v44, vcc_lo
	v_cmp_ne_u32_e32 vcc_lo, 0, v42
	s_delay_alu instid0(VALU_DEP_3) | instskip(NEXT) | instid1(VALU_DEP_3)
	v_cndmask_b32_e32 v16, v3, v11, vcc_lo
	v_cndmask_b32_e32 v15, v15, v7, vcc_lo
.LBB32_22:                              ;   in Loop: Header=BB32_9 Depth=1
	s_and_not1_saveexec_b32 s0, s17
	s_cbranch_execz .LBB32_24
; %bb.23:                               ;   in Loop: Header=BB32_9 Depth=1
	v_cvt_f32_u32_e32 v3, s8
	s_sub_i32 s17, 0, s8
	v_mov_b32_e32 v16, v10
	s_delay_alu instid0(VALU_DEP_2) | instskip(SKIP_2) | instid1(VALU_DEP_1)
	v_rcp_iflag_f32_e32 v3, v3
	s_waitcnt_depctr 0xfff
	v_mul_f32_e32 v3, 0x4f7ffffe, v3
	v_cvt_u32_f32_e32 v3, v3
	s_delay_alu instid0(VALU_DEP_1) | instskip(NEXT) | instid1(VALU_DEP_1)
	v_mul_lo_u32 v7, s17, v3
	v_mul_hi_u32 v7, v3, v7
	s_delay_alu instid0(VALU_DEP_1) | instskip(NEXT) | instid1(VALU_DEP_1)
	v_add_nc_u32_e32 v3, v3, v7
	v_mul_hi_u32 v3, v4, v3
	s_delay_alu instid0(VALU_DEP_1) | instskip(NEXT) | instid1(VALU_DEP_1)
	v_mul_lo_u32 v3, v3, s8
	v_sub_nc_u32_e32 v3, v4, v3
	s_delay_alu instid0(VALU_DEP_1) | instskip(SKIP_1) | instid1(VALU_DEP_2)
	v_subrev_nc_u32_e32 v4, s8, v3
	v_cmp_le_u32_e32 vcc_lo, s8, v3
	v_cndmask_b32_e32 v3, v3, v4, vcc_lo
	s_delay_alu instid0(VALU_DEP_1) | instskip(SKIP_1) | instid1(VALU_DEP_2)
	v_subrev_nc_u32_e32 v4, s8, v3
	v_cmp_le_u32_e32 vcc_lo, s8, v3
	v_cndmask_b32_e32 v15, v3, v4, vcc_lo
.LBB32_24:                              ;   in Loop: Header=BB32_9 Depth=1
	s_or_b32 exec_lo, exec_lo, s0
	s_delay_alu instid0(VALU_DEP_1) | instskip(SKIP_1) | instid1(VALU_DEP_1)
	v_add_co_u32 v3, vcc_lo, v15, s10
	v_add_co_ci_u32_e32 v4, vcc_lo, s11, v16, vcc_lo
	v_xor_b32_e32 v7, v3, v4
	v_cls_i32_e32 v11, v4
	s_delay_alu instid0(VALU_DEP_2) | instskip(NEXT) | instid1(VALU_DEP_2)
	v_ashrrev_i32_e32 v7, 31, v7
	v_add_nc_u32_e32 v11, -1, v11
	s_delay_alu instid0(VALU_DEP_2) | instskip(NEXT) | instid1(VALU_DEP_1)
	v_add_nc_u32_e32 v7, 32, v7
	v_min_u32_e32 v7, v11, v7
	s_delay_alu instid0(VALU_DEP_1) | instskip(SKIP_1) | instid1(VALU_DEP_2)
	v_lshlrev_b64 v[3:4], v7, v[3:4]
	v_sub_nc_u32_e32 v7, 32, v7
	v_min_u32_e32 v3, 1, v3
	s_delay_alu instid0(VALU_DEP_1) | instskip(SKIP_1) | instid1(VALU_DEP_2)
	v_or_b32_e32 v3, v4, v3
	v_add_nc_u32_e32 v4, s15, v39
	v_cvt_f32_i32_e32 v3, v3
	s_delay_alu instid0(VALU_DEP_2) | instskip(NEXT) | instid1(VALU_DEP_2)
	v_ashrrev_i32_e32 v11, 31, v4
	v_ldexp_f32 v7, v3, v7
	v_add_co_u32 v3, vcc_lo, s6, v4
	s_delay_alu instid0(VALU_DEP_3) | instskip(NEXT) | instid1(VALU_DEP_3)
	v_add_co_ci_u32_e32 v4, vcc_lo, s7, v11, vcc_lo
	v_cvt_f16_f32_e32 v7, v7
	global_store_b16 v[3:4], v7, off
.LBB32_25:                              ;   in Loop: Header=BB32_9 Depth=1
	s_or_b32 exec_lo, exec_lo, s16
	v_add_co_u32 v3, vcc_lo, s12, v12
	v_add_co_ci_u32_e32 v4, vcc_lo, 0, v13, vcc_lo
	s_mov_b32 s16, exec_lo
	s_delay_alu instid0(VALU_DEP_1)
	v_cmpx_gt_i64_e64 s[4:5], v[3:4]
	s_cbranch_execz .LBB32_8
; %bb.26:                               ;   in Loop: Header=BB32_9 Depth=1
	v_or_b32_e32 v11, s9, v5
                                        ; implicit-def: $vgpr15_vgpr16
	s_mov_b32 s0, exec_lo
	s_delay_alu instid0(VALU_DEP_1)
	v_cmpx_ne_u64_e32 0, v[10:11]
	s_xor_b32 s17, exec_lo, s0
	s_cbranch_execz .LBB32_28
; %bb.27:                               ;   in Loop: Header=BB32_9 Depth=1
	v_cvt_f32_u32_e32 v3, s8
	v_cvt_f32_u32_e32 v4, s9
	s_sub_u32 s0, 0, s8
	s_subb_u32 s18, 0, s9
	s_delay_alu instid0(VALU_DEP_1) | instskip(NEXT) | instid1(VALU_DEP_1)
	v_fmac_f32_e32 v3, 0x4f800000, v4
	v_rcp_f32_e32 v3, v3
	s_waitcnt_depctr 0xfff
	v_mul_f32_e32 v3, 0x5f7ffffc, v3
	s_delay_alu instid0(VALU_DEP_1) | instskip(NEXT) | instid1(VALU_DEP_1)
	v_mul_f32_e32 v4, 0x2f800000, v3
	v_trunc_f32_e32 v4, v4
	s_delay_alu instid0(VALU_DEP_1) | instskip(SKIP_1) | instid1(VALU_DEP_2)
	v_fmac_f32_e32 v3, 0xcf800000, v4
	v_cvt_u32_f32_e32 v4, v4
	v_cvt_u32_f32_e32 v3, v3
	s_delay_alu instid0(VALU_DEP_2) | instskip(NEXT) | instid1(VALU_DEP_2)
	v_mul_lo_u32 v7, s0, v4
	v_mul_hi_u32 v11, s0, v3
	v_mul_lo_u32 v15, s18, v3
	s_delay_alu instid0(VALU_DEP_2) | instskip(SKIP_1) | instid1(VALU_DEP_2)
	v_add_nc_u32_e32 v7, v11, v7
	v_mul_lo_u32 v11, s0, v3
	v_add_nc_u32_e32 v7, v7, v15
	s_delay_alu instid0(VALU_DEP_2) | instskip(NEXT) | instid1(VALU_DEP_2)
	v_mul_hi_u32 v15, v3, v11
	v_mul_lo_u32 v16, v3, v7
	v_mul_hi_u32 v42, v3, v7
	v_mul_hi_u32 v43, v4, v11
	v_mul_lo_u32 v11, v4, v11
	v_mul_hi_u32 v44, v4, v7
	v_mul_lo_u32 v7, v4, v7
	v_add_co_u32 v15, vcc_lo, v15, v16
	v_add_co_ci_u32_e32 v16, vcc_lo, 0, v42, vcc_lo
	s_delay_alu instid0(VALU_DEP_2) | instskip(NEXT) | instid1(VALU_DEP_2)
	v_add_co_u32 v11, vcc_lo, v15, v11
	v_add_co_ci_u32_e32 v11, vcc_lo, v16, v43, vcc_lo
	v_add_co_ci_u32_e32 v15, vcc_lo, 0, v44, vcc_lo
	s_delay_alu instid0(VALU_DEP_2) | instskip(NEXT) | instid1(VALU_DEP_2)
	v_add_co_u32 v7, vcc_lo, v11, v7
	v_add_co_ci_u32_e32 v11, vcc_lo, 0, v15, vcc_lo
	s_delay_alu instid0(VALU_DEP_2) | instskip(NEXT) | instid1(VALU_DEP_2)
	v_add_co_u32 v3, vcc_lo, v3, v7
	v_add_co_ci_u32_e32 v4, vcc_lo, v4, v11, vcc_lo
	s_delay_alu instid0(VALU_DEP_2) | instskip(SKIP_1) | instid1(VALU_DEP_3)
	v_mul_hi_u32 v7, s0, v3
	v_mul_lo_u32 v15, s18, v3
	v_mul_lo_u32 v11, s0, v4
	s_delay_alu instid0(VALU_DEP_1) | instskip(SKIP_1) | instid1(VALU_DEP_2)
	v_add_nc_u32_e32 v7, v7, v11
	v_mul_lo_u32 v11, s0, v3
	v_add_nc_u32_e32 v7, v7, v15
	s_delay_alu instid0(VALU_DEP_2) | instskip(NEXT) | instid1(VALU_DEP_2)
	v_mul_hi_u32 v15, v3, v11
	v_mul_lo_u32 v16, v3, v7
	v_mul_hi_u32 v42, v3, v7
	v_mul_hi_u32 v43, v4, v11
	v_mul_lo_u32 v11, v4, v11
	v_mul_hi_u32 v44, v4, v7
	v_mul_lo_u32 v7, v4, v7
	v_add_co_u32 v15, vcc_lo, v15, v16
	v_add_co_ci_u32_e32 v16, vcc_lo, 0, v42, vcc_lo
	s_delay_alu instid0(VALU_DEP_2) | instskip(NEXT) | instid1(VALU_DEP_2)
	v_add_co_u32 v11, vcc_lo, v15, v11
	v_add_co_ci_u32_e32 v11, vcc_lo, v16, v43, vcc_lo
	v_add_co_ci_u32_e32 v15, vcc_lo, 0, v44, vcc_lo
	s_delay_alu instid0(VALU_DEP_2) | instskip(NEXT) | instid1(VALU_DEP_2)
	v_add_co_u32 v7, vcc_lo, v11, v7
	v_add_co_ci_u32_e32 v11, vcc_lo, 0, v15, vcc_lo
	s_delay_alu instid0(VALU_DEP_2) | instskip(NEXT) | instid1(VALU_DEP_2)
	v_add_co_u32 v7, vcc_lo, v3, v7
	v_add_co_ci_u32_e32 v11, vcc_lo, v4, v11, vcc_lo
	s_delay_alu instid0(VALU_DEP_2) | instskip(SKIP_1) | instid1(VALU_DEP_3)
	v_mul_hi_u32 v44, v6, v7
	v_mad_u64_u32 v[15:16], null, v5, v7, 0
	v_mad_u64_u32 v[3:4], null, v6, v11, 0
	;; [unrolled: 1-line block ×3, first 2 shown]
	s_delay_alu instid0(VALU_DEP_2) | instskip(NEXT) | instid1(VALU_DEP_3)
	v_add_co_u32 v3, vcc_lo, v44, v3
	v_add_co_ci_u32_e32 v4, vcc_lo, 0, v4, vcc_lo
	s_delay_alu instid0(VALU_DEP_2) | instskip(NEXT) | instid1(VALU_DEP_2)
	v_add_co_u32 v3, vcc_lo, v3, v15
	v_add_co_ci_u32_e32 v3, vcc_lo, v4, v16, vcc_lo
	v_add_co_ci_u32_e32 v4, vcc_lo, 0, v43, vcc_lo
	s_delay_alu instid0(VALU_DEP_2) | instskip(NEXT) | instid1(VALU_DEP_2)
	v_add_co_u32 v7, vcc_lo, v3, v42
	v_add_co_ci_u32_e32 v11, vcc_lo, 0, v4, vcc_lo
	s_delay_alu instid0(VALU_DEP_2) | instskip(SKIP_1) | instid1(VALU_DEP_3)
	v_mul_lo_u32 v15, s9, v7
	v_mad_u64_u32 v[3:4], null, s8, v7, 0
	v_mul_lo_u32 v7, s8, v11
	s_delay_alu instid0(VALU_DEP_2) | instskip(NEXT) | instid1(VALU_DEP_2)
	v_sub_co_u32 v3, vcc_lo, v6, v3
	v_add3_u32 v4, v4, v7, v15
	s_delay_alu instid0(VALU_DEP_1) | instskip(NEXT) | instid1(VALU_DEP_1)
	v_sub_nc_u32_e32 v7, v5, v4
	v_subrev_co_ci_u32_e64 v6, s0, s9, v7, vcc_lo
	v_sub_co_ci_u32_e32 v4, vcc_lo, v5, v4, vcc_lo
	v_sub_co_u32 v5, vcc_lo, v3, s8
	s_delay_alu instid0(VALU_DEP_1) | instskip(SKIP_3) | instid1(VALU_DEP_3)
	v_subrev_co_ci_u32_e64 v7, s0, 0, v6, vcc_lo
	v_cmp_le_u32_e64 s0, s8, v3
	v_subrev_co_ci_u32_e32 v6, vcc_lo, s9, v6, vcc_lo
	v_cmp_le_u32_e32 vcc_lo, s9, v4
	v_cndmask_b32_e64 v11, 0, -1, s0
	v_cmp_le_u32_e64 s0, s8, v5
	v_cndmask_b32_e64 v42, 0, -1, vcc_lo
	v_cmp_eq_u32_e32 vcc_lo, s9, v7
	s_delay_alu instid0(VALU_DEP_3) | instskip(SKIP_1) | instid1(VALU_DEP_1)
	v_cndmask_b32_e64 v15, 0, -1, s0
	v_cmp_le_u32_e64 s0, s9, v7
	v_cndmask_b32_e64 v16, 0, -1, s0
	v_cmp_eq_u32_e64 s0, s9, v4
	s_delay_alu instid0(VALU_DEP_2) | instskip(SKIP_2) | instid1(VALU_DEP_3)
	v_cndmask_b32_e32 v15, v16, v15, vcc_lo
	v_sub_co_u32 v16, vcc_lo, v5, s8
	v_subrev_co_ci_u32_e32 v6, vcc_lo, 0, v6, vcc_lo
	v_cmp_ne_u32_e32 vcc_lo, 0, v15
	v_cndmask_b32_e64 v11, v42, v11, s0
	s_delay_alu instid0(VALU_DEP_3) | instskip(NEXT) | instid1(VALU_DEP_2)
	v_dual_cndmask_b32 v5, v5, v16 :: v_dual_cndmask_b32 v6, v7, v6
	v_cmp_ne_u32_e32 vcc_lo, 0, v11
	s_delay_alu instid0(VALU_DEP_2)
	v_dual_cndmask_b32 v16, v4, v6 :: v_dual_cndmask_b32 v15, v3, v5
                                        ; implicit-def: $vgpr3_vgpr4_vgpr5_vgpr6
.LBB32_28:                              ;   in Loop: Header=BB32_9 Depth=1
	s_and_not1_saveexec_b32 s0, s17
	s_cbranch_execz .LBB32_7
; %bb.29:                               ;   in Loop: Header=BB32_9 Depth=1
	v_cvt_f32_u32_e32 v3, s8
	s_sub_i32 s17, 0, s8
	v_mov_b32_e32 v16, v10
	s_delay_alu instid0(VALU_DEP_2) | instskip(SKIP_2) | instid1(VALU_DEP_1)
	v_rcp_iflag_f32_e32 v3, v3
	s_waitcnt_depctr 0xfff
	v_mul_f32_e32 v3, 0x4f7ffffe, v3
	v_cvt_u32_f32_e32 v3, v3
	s_delay_alu instid0(VALU_DEP_1) | instskip(NEXT) | instid1(VALU_DEP_1)
	v_mul_lo_u32 v4, s17, v3
	v_mul_hi_u32 v4, v3, v4
	s_delay_alu instid0(VALU_DEP_1) | instskip(NEXT) | instid1(VALU_DEP_1)
	v_add_nc_u32_e32 v3, v3, v4
	v_mul_hi_u32 v3, v6, v3
	s_delay_alu instid0(VALU_DEP_1) | instskip(NEXT) | instid1(VALU_DEP_1)
	v_mul_lo_u32 v3, v3, s8
	v_sub_nc_u32_e32 v3, v6, v3
	s_delay_alu instid0(VALU_DEP_1) | instskip(SKIP_1) | instid1(VALU_DEP_2)
	v_subrev_nc_u32_e32 v4, s8, v3
	v_cmp_le_u32_e32 vcc_lo, s8, v3
	v_cndmask_b32_e32 v3, v3, v4, vcc_lo
	s_delay_alu instid0(VALU_DEP_1) | instskip(SKIP_1) | instid1(VALU_DEP_2)
	v_subrev_nc_u32_e32 v4, s8, v3
	v_cmp_le_u32_e32 vcc_lo, s8, v3
	v_cndmask_b32_e32 v15, v3, v4, vcc_lo
	s_branch .LBB32_7
.LBB32_30:
	s_endpgm
.LBB32_31:
                                        ; implicit-def: $sgpr2_sgpr3
	s_branch .LBB32_4
	.section	.rodata,"a",@progbits
	.p2align	6, 0x0
	.amdhsa_kernel _ZN2at6native12_GLOBAL__N_143distribution_elementwise_grid_stride_kernelImLi2EZZZNS0_9templates4cuda21random_from_to_kernelIPNS_17CUDAGeneratorImplEEEvRNS_18TensorIteratorBaseEmlT_ENKUlvE_clEvENKUlvE7_clEvEUlP25hiprandStatePhilox4_32_10E_ZNS1_27distribution_nullary_kernelIN3c104HalfEm15HIP_vector_typeIyLj2EES7_SF_ZZZNS5_IS7_EEvS9_mlSA_ENKSB_clEvENKSC_clEvEUlmE_EEvS9_T2_RKT3_T4_EUlimE_EEvlNS_15PhiloxCudaStateET1_SM_
		.amdhsa_group_segment_fixed_size 0
		.amdhsa_private_segment_fixed_size 0
		.amdhsa_kernarg_size 336
		.amdhsa_user_sgpr_count 15
		.amdhsa_user_sgpr_dispatch_ptr 0
		.amdhsa_user_sgpr_queue_ptr 0
		.amdhsa_user_sgpr_kernarg_segment_ptr 1
		.amdhsa_user_sgpr_dispatch_id 0
		.amdhsa_user_sgpr_private_segment_size 0
		.amdhsa_wavefront_size32 1
		.amdhsa_uses_dynamic_stack 0
		.amdhsa_enable_private_segment 0
		.amdhsa_system_sgpr_workgroup_id_x 1
		.amdhsa_system_sgpr_workgroup_id_y 0
		.amdhsa_system_sgpr_workgroup_id_z 0
		.amdhsa_system_sgpr_workgroup_info 0
		.amdhsa_system_vgpr_workitem_id 0
		.amdhsa_next_free_vgpr 47
		.amdhsa_next_free_sgpr 23
		.amdhsa_reserve_vcc 1
		.amdhsa_float_round_mode_32 0
		.amdhsa_float_round_mode_16_64 0
		.amdhsa_float_denorm_mode_32 3
		.amdhsa_float_denorm_mode_16_64 3
		.amdhsa_dx10_clamp 1
		.amdhsa_ieee_mode 1
		.amdhsa_fp16_overflow 0
		.amdhsa_workgroup_processor_mode 1
		.amdhsa_memory_ordered 1
		.amdhsa_forward_progress 0
		.amdhsa_shared_vgpr_count 0
		.amdhsa_exception_fp_ieee_invalid_op 0
		.amdhsa_exception_fp_denorm_src 0
		.amdhsa_exception_fp_ieee_div_zero 0
		.amdhsa_exception_fp_ieee_overflow 0
		.amdhsa_exception_fp_ieee_underflow 0
		.amdhsa_exception_fp_ieee_inexact 0
		.amdhsa_exception_int_div_zero 0
	.end_amdhsa_kernel
	.section	.text._ZN2at6native12_GLOBAL__N_143distribution_elementwise_grid_stride_kernelImLi2EZZZNS0_9templates4cuda21random_from_to_kernelIPNS_17CUDAGeneratorImplEEEvRNS_18TensorIteratorBaseEmlT_ENKUlvE_clEvENKUlvE7_clEvEUlP25hiprandStatePhilox4_32_10E_ZNS1_27distribution_nullary_kernelIN3c104HalfEm15HIP_vector_typeIyLj2EES7_SF_ZZZNS5_IS7_EEvS9_mlSA_ENKSB_clEvENKSC_clEvEUlmE_EEvS9_T2_RKT3_T4_EUlimE_EEvlNS_15PhiloxCudaStateET1_SM_,"axG",@progbits,_ZN2at6native12_GLOBAL__N_143distribution_elementwise_grid_stride_kernelImLi2EZZZNS0_9templates4cuda21random_from_to_kernelIPNS_17CUDAGeneratorImplEEEvRNS_18TensorIteratorBaseEmlT_ENKUlvE_clEvENKUlvE7_clEvEUlP25hiprandStatePhilox4_32_10E_ZNS1_27distribution_nullary_kernelIN3c104HalfEm15HIP_vector_typeIyLj2EES7_SF_ZZZNS5_IS7_EEvS9_mlSA_ENKSB_clEvENKSC_clEvEUlmE_EEvS9_T2_RKT3_T4_EUlimE_EEvlNS_15PhiloxCudaStateET1_SM_,comdat
.Lfunc_end32:
	.size	_ZN2at6native12_GLOBAL__N_143distribution_elementwise_grid_stride_kernelImLi2EZZZNS0_9templates4cuda21random_from_to_kernelIPNS_17CUDAGeneratorImplEEEvRNS_18TensorIteratorBaseEmlT_ENKUlvE_clEvENKUlvE7_clEvEUlP25hiprandStatePhilox4_32_10E_ZNS1_27distribution_nullary_kernelIN3c104HalfEm15HIP_vector_typeIyLj2EES7_SF_ZZZNS5_IS7_EEvS9_mlSA_ENKSB_clEvENKSC_clEvEUlmE_EEvS9_T2_RKT3_T4_EUlimE_EEvlNS_15PhiloxCudaStateET1_SM_, .Lfunc_end32-_ZN2at6native12_GLOBAL__N_143distribution_elementwise_grid_stride_kernelImLi2EZZZNS0_9templates4cuda21random_from_to_kernelIPNS_17CUDAGeneratorImplEEEvRNS_18TensorIteratorBaseEmlT_ENKUlvE_clEvENKUlvE7_clEvEUlP25hiprandStatePhilox4_32_10E_ZNS1_27distribution_nullary_kernelIN3c104HalfEm15HIP_vector_typeIyLj2EES7_SF_ZZZNS5_IS7_EEvS9_mlSA_ENKSB_clEvENKSC_clEvEUlmE_EEvS9_T2_RKT3_T4_EUlimE_EEvlNS_15PhiloxCudaStateET1_SM_
                                        ; -- End function
	.section	.AMDGPU.csdata,"",@progbits
; Kernel info:
; codeLenInByte = 4608
; NumSgprs: 25
; NumVgprs: 47
; ScratchSize: 0
; MemoryBound: 0
; FloatMode: 240
; IeeeMode: 1
; LDSByteSize: 0 bytes/workgroup (compile time only)
; SGPRBlocks: 3
; VGPRBlocks: 5
; NumSGPRsForWavesPerEU: 25
; NumVGPRsForWavesPerEU: 47
; Occupancy: 16
; WaveLimiterHint : 0
; COMPUTE_PGM_RSRC2:SCRATCH_EN: 0
; COMPUTE_PGM_RSRC2:USER_SGPR: 15
; COMPUTE_PGM_RSRC2:TRAP_HANDLER: 0
; COMPUTE_PGM_RSRC2:TGID_X_EN: 1
; COMPUTE_PGM_RSRC2:TGID_Y_EN: 0
; COMPUTE_PGM_RSRC2:TGID_Z_EN: 0
; COMPUTE_PGM_RSRC2:TIDIG_COMP_CNT: 0
	.section	.text._ZN2at6native12_GLOBAL__N_143distribution_elementwise_grid_stride_kernelImLi2EZZZNS0_9templates4cuda21random_from_to_kernelIPNS_17CUDAGeneratorImplEEEvRNS_18TensorIteratorBaseEmlT_ENKUlvE_clEvENKUlvE7_clEvEUlP25hiprandStatePhilox4_32_10E_ZNS1_27distribution_nullary_kernelIN3c104HalfEm15HIP_vector_typeIyLj2EES7_SF_ZZZNS5_IS7_EEvS9_mlSA_ENKSB_clEvENKSC_clEvEUlmE_EEvS9_T2_RKT3_T4_EUlimE0_EEvlNS_15PhiloxCudaStateET1_SM_,"axG",@progbits,_ZN2at6native12_GLOBAL__N_143distribution_elementwise_grid_stride_kernelImLi2EZZZNS0_9templates4cuda21random_from_to_kernelIPNS_17CUDAGeneratorImplEEEvRNS_18TensorIteratorBaseEmlT_ENKUlvE_clEvENKUlvE7_clEvEUlP25hiprandStatePhilox4_32_10E_ZNS1_27distribution_nullary_kernelIN3c104HalfEm15HIP_vector_typeIyLj2EES7_SF_ZZZNS5_IS7_EEvS9_mlSA_ENKSB_clEvENKSC_clEvEUlmE_EEvS9_T2_RKT3_T4_EUlimE0_EEvlNS_15PhiloxCudaStateET1_SM_,comdat
	.globl	_ZN2at6native12_GLOBAL__N_143distribution_elementwise_grid_stride_kernelImLi2EZZZNS0_9templates4cuda21random_from_to_kernelIPNS_17CUDAGeneratorImplEEEvRNS_18TensorIteratorBaseEmlT_ENKUlvE_clEvENKUlvE7_clEvEUlP25hiprandStatePhilox4_32_10E_ZNS1_27distribution_nullary_kernelIN3c104HalfEm15HIP_vector_typeIyLj2EES7_SF_ZZZNS5_IS7_EEvS9_mlSA_ENKSB_clEvENKSC_clEvEUlmE_EEvS9_T2_RKT3_T4_EUlimE0_EEvlNS_15PhiloxCudaStateET1_SM_ ; -- Begin function _ZN2at6native12_GLOBAL__N_143distribution_elementwise_grid_stride_kernelImLi2EZZZNS0_9templates4cuda21random_from_to_kernelIPNS_17CUDAGeneratorImplEEEvRNS_18TensorIteratorBaseEmlT_ENKUlvE_clEvENKUlvE7_clEvEUlP25hiprandStatePhilox4_32_10E_ZNS1_27distribution_nullary_kernelIN3c104HalfEm15HIP_vector_typeIyLj2EES7_SF_ZZZNS5_IS7_EEvS9_mlSA_ENKSB_clEvENKSC_clEvEUlmE_EEvS9_T2_RKT3_T4_EUlimE0_EEvlNS_15PhiloxCudaStateET1_SM_
	.p2align	8
	.type	_ZN2at6native12_GLOBAL__N_143distribution_elementwise_grid_stride_kernelImLi2EZZZNS0_9templates4cuda21random_from_to_kernelIPNS_17CUDAGeneratorImplEEEvRNS_18TensorIteratorBaseEmlT_ENKUlvE_clEvENKUlvE7_clEvEUlP25hiprandStatePhilox4_32_10E_ZNS1_27distribution_nullary_kernelIN3c104HalfEm15HIP_vector_typeIyLj2EES7_SF_ZZZNS5_IS7_EEvS9_mlSA_ENKSB_clEvENKSC_clEvEUlmE_EEvS9_T2_RKT3_T4_EUlimE0_EEvlNS_15PhiloxCudaStateET1_SM_,@function
_ZN2at6native12_GLOBAL__N_143distribution_elementwise_grid_stride_kernelImLi2EZZZNS0_9templates4cuda21random_from_to_kernelIPNS_17CUDAGeneratorImplEEEvRNS_18TensorIteratorBaseEmlT_ENKUlvE_clEvENKUlvE7_clEvEUlP25hiprandStatePhilox4_32_10E_ZNS1_27distribution_nullary_kernelIN3c104HalfEm15HIP_vector_typeIyLj2EES7_SF_ZZZNS5_IS7_EEvS9_mlSA_ENKSB_clEvENKSC_clEvEUlmE_EEvS9_T2_RKT3_T4_EUlimE0_EEvlNS_15PhiloxCudaStateET1_SM_: ; @_ZN2at6native12_GLOBAL__N_143distribution_elementwise_grid_stride_kernelImLi2EZZZNS0_9templates4cuda21random_from_to_kernelIPNS_17CUDAGeneratorImplEEEvRNS_18TensorIteratorBaseEmlT_ENKUlvE_clEvENKUlvE7_clEvEUlP25hiprandStatePhilox4_32_10E_ZNS1_27distribution_nullary_kernelIN3c104HalfEm15HIP_vector_typeIyLj2EES7_SF_ZZZNS5_IS7_EEvS9_mlSA_ENKSB_clEvENKSC_clEvEUlmE_EEvS9_T2_RKT3_T4_EUlimE0_EEvlNS_15PhiloxCudaStateET1_SM_
; %bb.0:
	s_clause 0x2
	s_load_b64 s[4:5], s[0:1], 0x10
	s_load_b128 s[16:19], s[0:1], 0x0
	s_load_b32 s2, s[0:1], 0x20
	s_waitcnt lgkmcnt(0)
	v_dual_mov_b32 v2, s4 :: v_dual_mov_b32 v3, s5
	v_dual_mov_b32 v11, s18 :: v_dual_mov_b32 v12, s19
	s_bitcmp0_b32 s2, 0
	s_mov_b32 s2, 0
	s_cbranch_scc1 .LBB33_2
; %bb.1:
	v_dual_mov_b32 v1, s4 :: v_dual_mov_b32 v2, s5
	v_dual_mov_b32 v4, s18 :: v_dual_mov_b32 v5, s19
	s_load_b64 s[4:5], s[0:1], 0x18
	flat_load_b64 v[2:3], v[1:2]
	flat_load_b64 v[11:12], v[4:5]
	s_waitcnt vmcnt(1) lgkmcnt(0)
	v_add_co_u32 v2, vcc_lo, v2, s4
	v_add_co_ci_u32_e32 v3, vcc_lo, s5, v3, vcc_lo
.LBB33_2:
	s_clause 0x1
	s_load_b32 s3, s[0:1], 0x15c
	s_load_b32 s5, s[0:1], 0x150
	s_waitcnt lgkmcnt(0)
	s_and_b32 s4, s3, 0xffff
	s_add_u32 s6, s16, -1
	s_mul_i32 s28, s5, s4
	s_addc_u32 s3, s17, -1
	s_lshl_b32 s29, s28, 1
	s_cmp_lg_u64 s[2:3], 0
	s_cbranch_scc0 .LBB33_57
; %bb.3:
	v_cvt_f32_ubyte0_e32 v1, 0
	v_cvt_f32_u32_e32 v4, s29
	s_sub_u32 s8, 0, s29
	s_subb_u32 s9, 0, 0
	s_delay_alu instid0(VALU_DEP_1) | instskip(NEXT) | instid1(VALU_DEP_1)
	v_fmamk_f32 v1, v1, 0x4f800000, v4
	v_rcp_f32_e32 v1, v1
	s_waitcnt_depctr 0xfff
	v_mul_f32_e32 v1, 0x5f7ffffc, v1
	s_delay_alu instid0(VALU_DEP_1) | instskip(NEXT) | instid1(VALU_DEP_1)
	v_mul_f32_e32 v4, 0x2f800000, v1
	v_trunc_f32_e32 v4, v4
	s_delay_alu instid0(VALU_DEP_1) | instskip(SKIP_1) | instid1(VALU_DEP_2)
	v_fmamk_f32 v1, v4, 0xcf800000, v1
	v_cvt_u32_f32_e32 v4, v4
	v_cvt_u32_f32_e32 v1, v1
	s_delay_alu instid0(VALU_DEP_2) | instskip(NEXT) | instid1(VALU_DEP_2)
	v_readfirstlane_b32 s2, v4
	v_readfirstlane_b32 s7, v1
	s_delay_alu instid0(VALU_DEP_2) | instskip(NEXT) | instid1(VALU_DEP_1)
	s_mul_i32 s10, s8, s2
	s_mul_hi_u32 s12, s8, s7
	s_mul_i32 s11, s9, s7
	s_add_i32 s10, s12, s10
	s_mul_i32 s13, s8, s7
	s_add_i32 s10, s10, s11
	s_mul_hi_u32 s12, s7, s13
	s_mul_hi_u32 s14, s2, s13
	s_mul_i32 s11, s2, s13
	s_mul_hi_u32 s13, s7, s10
	s_mul_i32 s7, s7, s10
	s_mul_hi_u32 s18, s2, s10
	s_add_u32 s7, s12, s7
	s_addc_u32 s12, 0, s13
	s_add_u32 s7, s7, s11
	s_mul_i32 s10, s2, s10
	s_addc_u32 s7, s12, s14
	s_addc_u32 s11, s18, 0
	s_add_u32 s7, s7, s10
	s_addc_u32 s10, 0, s11
	v_add_co_u32 v1, s7, v1, s7
	s_delay_alu instid0(VALU_DEP_1) | instskip(SKIP_1) | instid1(VALU_DEP_1)
	s_cmp_lg_u32 s7, 0
	s_addc_u32 s2, s2, s10
	v_readfirstlane_b32 s7, v1
	s_mul_i32 s10, s8, s2
	s_delay_alu instid0(VALU_DEP_1)
	s_mul_hi_u32 s11, s8, s7
	s_mul_i32 s9, s9, s7
	s_add_i32 s10, s11, s10
	s_mul_i32 s8, s8, s7
	s_add_i32 s10, s10, s9
	s_mul_hi_u32 s11, s2, s8
	s_mul_i32 s12, s2, s8
	s_mul_hi_u32 s8, s7, s8
	s_mul_hi_u32 s13, s7, s10
	s_mul_i32 s7, s7, s10
	s_mul_hi_u32 s9, s2, s10
	s_add_u32 s7, s8, s7
	s_addc_u32 s8, 0, s13
	s_add_u32 s7, s7, s12
	s_mul_i32 s10, s2, s10
	s_addc_u32 s7, s8, s11
	s_addc_u32 s8, s9, 0
	s_add_u32 s7, s7, s10
	s_addc_u32 s8, 0, s8
	v_add_co_u32 v1, s7, v1, s7
	s_delay_alu instid0(VALU_DEP_1) | instskip(SKIP_2) | instid1(VALU_DEP_1)
	s_cmp_lg_u32 s7, 0
	s_addc_u32 s7, s2, s8
	s_ashr_i32 s8, s3, 31
	v_readfirstlane_b32 s10, v1
	s_add_u32 s2, s6, s8
	s_mov_b32 s9, s8
	s_addc_u32 s3, s3, s8
	s_delay_alu instid0(SALU_CYCLE_1) | instskip(NEXT) | instid1(SALU_CYCLE_1)
	s_xor_b64 s[2:3], s[2:3], s[8:9]
	s_mul_i32 s12, s2, s7
	s_mul_hi_u32 s13, s2, s10
	s_mul_hi_u32 s11, s2, s7
	s_mul_hi_u32 s18, s3, s10
	s_mul_i32 s10, s3, s10
	s_add_u32 s12, s13, s12
	s_addc_u32 s11, 0, s11
	s_mul_hi_u32 s14, s3, s7
	s_add_u32 s10, s12, s10
	s_mul_i32 s7, s3, s7
	s_addc_u32 s10, s11, s18
	s_addc_u32 s11, s14, 0
	s_add_u32 s7, s10, s7
	s_addc_u32 s10, 0, s11
	s_mul_i32 s12, s29, s7
	s_add_u32 s11, s7, 1
	v_sub_co_u32 v1, s2, s2, s12
	s_mul_hi_u32 s12, s29, s7
	s_addc_u32 s13, s10, 0
	s_mul_i32 s14, s29, s10
	s_delay_alu instid0(VALU_DEP_1)
	v_sub_co_u32 v4, s18, v1, s29
	s_add_u32 s19, s7, 2
	s_addc_u32 s20, s10, 0
	s_add_i32 s12, s12, s14
	s_cmp_lg_u32 s2, 0
	v_readfirstlane_b32 s2, v4
	s_subb_u32 s3, s3, s12
	s_cmp_lg_u32 s18, 0
	s_subb_u32 s12, s3, 0
	s_delay_alu instid0(VALU_DEP_1) | instskip(SKIP_4) | instid1(SALU_CYCLE_1)
	s_cmp_ge_u32 s2, s29
	s_cselect_b32 s2, -1, 0
	s_cmp_eq_u32 s12, 0
	v_readfirstlane_b32 s12, v1
	s_cselect_b32 s2, s2, -1
	s_cmp_lg_u32 s2, 0
	s_cselect_b32 s2, s19, s11
	s_cselect_b32 s11, s20, s13
	s_cmp_ge_u32 s12, s29
	s_cselect_b32 s12, -1, 0
	s_cmp_eq_u32 s3, 0
	s_cselect_b32 s3, s12, -1
	s_delay_alu instid0(SALU_CYCLE_1) | instskip(SKIP_2) | instid1(SALU_CYCLE_1)
	s_cmp_lg_u32 s3, 0
	s_cselect_b32 s3, s11, s10
	s_cselect_b32 s2, s2, s7
	s_xor_b64 s[2:3], s[2:3], s[8:9]
	s_delay_alu instid0(SALU_CYCLE_1)
	s_sub_u32 s2, s2, s8
	s_subb_u32 s3, s3, s8
	s_cbranch_execnz .LBB33_5
.LBB33_4:
	v_cvt_f32_u32_e32 v1, s29
	s_sub_i32 s3, 0, s29
	s_delay_alu instid0(VALU_DEP_1) | instskip(SKIP_2) | instid1(VALU_DEP_1)
	v_rcp_iflag_f32_e32 v1, v1
	s_waitcnt_depctr 0xfff
	v_mul_f32_e32 v1, 0x4f7ffffe, v1
	v_cvt_u32_f32_e32 v1, v1
	s_delay_alu instid0(VALU_DEP_1) | instskip(NEXT) | instid1(VALU_DEP_1)
	v_readfirstlane_b32 s2, v1
	s_mul_i32 s3, s3, s2
	s_delay_alu instid0(SALU_CYCLE_1) | instskip(NEXT) | instid1(SALU_CYCLE_1)
	s_mul_hi_u32 s3, s2, s3
	s_add_i32 s2, s2, s3
	s_delay_alu instid0(SALU_CYCLE_1) | instskip(NEXT) | instid1(SALU_CYCLE_1)
	s_mul_hi_u32 s2, s6, s2
	s_mul_i32 s3, s2, s29
	s_delay_alu instid0(SALU_CYCLE_1)
	s_sub_i32 s3, s6, s3
	s_add_i32 s6, s2, 1
	s_sub_i32 s7, s3, s29
	s_cmp_ge_u32 s3, s29
	s_cselect_b32 s2, s6, s2
	s_cselect_b32 s3, s7, s3
	s_add_i32 s6, s2, 1
	s_cmp_ge_u32 s3, s29
	s_mov_b32 s3, 0
	s_cselect_b32 s2, s6, s2
.LBB33_5:
	v_mov_b32_e32 v13, 0
	s_add_u32 s2, s2, 1
	s_addc_u32 s3, s3, 0
	s_mul_hi_u32 s5, s5, s4
	s_mul_hi_u32 s6, s28, s2
	v_mov_b32_e32 v1, v13
	s_mul_i32 s3, s28, s3
	s_mul_i32 s5, s5, s2
	s_add_i32 s3, s6, s3
	s_mul_i32 s2, s28, s2
	v_mad_u64_u32 v[15:16], null, s4, s15, v[0:1]
	s_add_i32 s3, s3, s5
	s_mov_b32 s4, exec_lo
	s_lshl_b64 s[2:3], s[2:3], 1
	s_delay_alu instid0(VALU_DEP_1) | instid1(SALU_CYCLE_1)
	v_cmpx_gt_i64_e64 s[2:3], v[15:16]
	s_cbranch_execz .LBB33_56
; %bb.6:
	v_alignbit_b32 v19, v3, v2, 2
	v_mad_u64_u32 v[4:5], null, 0xcd9e8d57, v15, 0
	v_lshrrev_b32_e32 v20, 2, v3
	s_waitcnt vmcnt(0)
	v_dual_mov_b32 v9, v12 :: v_dual_add_nc_u32 v30, 0x8ff34781, v11
	v_mad_u64_u32 v[0:1], null, 0xd2511f53, v19, 0
	v_add_co_u32 v22, null, 0x9e3779b9, v11
	v_xor3_b32 v3, v11, v5, v20
	s_delay_alu instid0(VALU_DEP_4) | instskip(SKIP_2) | instid1(VALU_DEP_4)
	v_add_co_u32 v21, null, 0xbb67ae85, v9
	v_add_co_u32 v23, null, 0x3c6ef372, v11
	v_xor_b32_e32 v1, v1, v12
	v_mad_u64_u32 v[5:6], null, 0xd2511f53, v3, 0
	v_add_co_u32 v24, null, 0x76cf5d0a, v9
	s_delay_alu instid0(VALU_DEP_3) | instskip(SKIP_2) | instid1(VALU_DEP_3)
	v_xor_b32_e32 v1, v1, v16
	v_add_co_u32 v25, null, 0x32370b8f, v9
	v_add_co_u32 v26, null, 0xdaa66d2b, v11
	v_mad_u64_u32 v[7:8], null, 0xcd9e8d57, v1, 0
	v_xor3_b32 v3, v21, v6, v0
	v_add_co_u32 v27, null, 0x78dde6e4, v11
	v_add_co_u32 v28, null, 0xed9eba14, v9
	s_delay_alu instid0(VALU_DEP_3) | instskip(SKIP_3) | instid1(VALU_DEP_3)
	v_mad_u64_u32 v[0:1], null, 0xcd9e8d57, v3, 0
	v_xor3_b32 v6, v22, v8, v4
	v_dual_mov_b32 v40, v15 :: v_dual_and_b32 v29, 3, v2
	v_add_co_u32 v31, null, 0xa9066899, v9
	v_mad_u64_u32 v[3:4], null, 0xd2511f53, v6, 0
	v_xor3_b32 v1, v23, v1, v7
	v_add_co_u32 v32, null, 0x1715609d, v11
	v_add_co_u32 v34, null, 0xb54cda56, v11
	;; [unrolled: 1-line block ×3, first 2 shown]
	v_xor3_b32 v8, v24, v4, v5
	v_mad_u64_u32 v[4:5], null, 0xd2511f53, v1, 0
	s_load_b256 s[4:11], s[0:1], 0x30
	v_add_co_u32 v33, null, 0x5384540f, v11
	s_delay_alu instid0(VALU_DEP_3) | instskip(SKIP_1) | instid1(VALU_DEP_4)
	v_mad_u64_u32 v[6:7], null, 0xcd9e8d57, v8, 0
	v_add_co_u32 v37, null, 0x1fd5c5a3, v9
	v_xor3_b32 v3, v25, v5, v3
	v_add_co_u32 v35, null, 0xf1bbcdc8, v11
	v_add_co_u32 v38, null, 0xdb3d7428, v9
	v_xor3_b32 v5, v26, v7, v0
	s_delay_alu instid0(VALU_DEP_4) | instskip(SKIP_2) | instid1(VALU_DEP_2)
	v_mad_u64_u32 v[0:1], null, 0xcd9e8d57, v3, 0
	s_add_u32 s18, s0, 48
	s_load_b64 s[20:21], s[0:1], 0x148
	v_mad_u64_u32 v[7:8], null, 0xd2511f53, v5, 0
	s_clause 0x1
	s_load_b64 s[22:23], s[0:1], 0xf4
	s_load_b128 s[12:15], s[0:1], 0x138
	s_addc_u32 s19, s1, 0
	v_xor3_b32 v3, v27, v1, v6
	s_waitcnt lgkmcnt(0)
	s_add_i32 s26, s4, -1
	v_add_nc_u32_e32 v39, 0x96a522ad, v12
	s_cmp_gt_u32 s26, 1
	v_xor3_b32 v5, v28, v8, v4
	v_mad_u64_u32 v[1:2], null, 0xd2511f53, v3, 0
	s_cselect_b32 s11, -1, 0
	s_cmp_lg_u32 s4, 0
	s_delay_alu instid0(VALU_DEP_2) | instskip(SKIP_2) | instid1(VALU_DEP_2)
	v_mad_u64_u32 v[3:4], null, 0xcd9e8d57, v5, 0
	s_cselect_b32 s31, -1, 0
	s_add_u32 s24, s0, 0xf4
	v_xor3_b32 v2, v31, v2, v7
	s_addc_u32 s25, s1, 0
	s_min_u32 s0, s26, 15
	s_cmp_gt_u32 s4, 1
	s_delay_alu instid0(VALU_DEP_2) | instskip(SKIP_3) | instid1(VALU_DEP_2)
	v_xor3_b32 v0, v32, v4, v0
	v_mad_u64_u32 v[4:5], null, 0xcd9e8d57, v2, 0
	s_cselect_b32 s4, -1, 0
	s_add_i32 s0, s0, 1
	v_mad_u64_u32 v[6:7], null, 0xd2511f53, v0, 0
	s_and_b32 s33, s0, 3
	s_cmp_lg_u32 s26, 2
	s_delay_alu instid0(VALU_DEP_2) | instskip(SKIP_3) | instid1(VALU_DEP_3)
	v_xor3_b32 v2, v34, v5, v3
	s_cselect_b32 s34, -1, 0
	s_and_b32 s35, s0, 28
	v_mov_b32_e32 v41, v16
	v_xor3_b32 v5, v36, v7, v1
	v_mad_u64_u32 v[0:1], null, 0xd2511f53, v2, 0
	s_cmp_lg_u32 s33, 0
	s_mov_b32 s30, 0
	s_delay_alu instid0(VALU_DEP_2) | instskip(SKIP_1) | instid1(VALU_DEP_2)
	v_mad_u64_u32 v[2:3], null, 0xcd9e8d57, v5, 0
	s_cselect_b32 s36, -1, 0
	v_xor3_b32 v1, v37, v1, v6
	s_delay_alu instid0(VALU_DEP_2) | instskip(NEXT) | instid1(VALU_DEP_2)
	v_xor3_b32 v3, v33, v3, v4
	v_mad_u64_u32 v[4:5], null, 0xcd9e8d57, v1, 0
	s_delay_alu instid0(VALU_DEP_2) | instskip(NEXT) | instid1(VALU_DEP_2)
	v_mad_u64_u32 v[6:7], null, 0xd2511f53, v3, 0
	v_xor3_b32 v1, v35, v5, v2
	s_delay_alu instid0(VALU_DEP_2) | instskip(NEXT) | instid1(VALU_DEP_2)
	v_xor3_b32 v0, v38, v7, v0
	v_mad_u64_u32 v[7:8], null, 0xd2511f53, v1, 0
	s_delay_alu instid0(VALU_DEP_2) | instskip(NEXT) | instid1(VALU_DEP_2)
	v_mad_u64_u32 v[1:2], null, 0xcd9e8d57, v0, 0
	v_mov_b32_e32 v3, v7
	s_delay_alu instid0(VALU_DEP_2) | instskip(NEXT) | instid1(VALU_DEP_4)
	v_xor3_b32 v0, v2, v4, v30
	v_xor3_b32 v2, v8, v6, v39
	s_branch .LBB33_9
.LBB33_7:                               ;   in Loop: Header=BB33_9 Depth=1
	s_or_b32 exec_lo, exec_lo, s0
	s_delay_alu instid0(VALU_DEP_1) | instskip(SKIP_1) | instid1(VALU_DEP_1)
	v_add_co_u32 v0, vcc_lo, v8, s20
	v_add_co_ci_u32_e32 v1, vcc_lo, s21, v9, vcc_lo
	v_xor_b32_e32 v2, v0, v1
	v_cls_i32_e32 v3, v1
	s_delay_alu instid0(VALU_DEP_2) | instskip(NEXT) | instid1(VALU_DEP_2)
	v_ashrrev_i32_e32 v2, 31, v2
	v_add_nc_u32_e32 v3, -1, v3
	s_delay_alu instid0(VALU_DEP_2) | instskip(NEXT) | instid1(VALU_DEP_1)
	v_add_nc_u32_e32 v2, 32, v2
	v_min_u32_e32 v2, v3, v2
	s_delay_alu instid0(VALU_DEP_1) | instskip(NEXT) | instid1(VALU_DEP_1)
	v_lshlrev_b64 v[0:1], v2, v[0:1]
	v_min_u32_e32 v0, 1, v0
	s_delay_alu instid0(VALU_DEP_1) | instskip(SKIP_1) | instid1(VALU_DEP_2)
	v_or_b32_e32 v0, v1, v0
	v_sub_nc_u32_e32 v1, 32, v2
	v_cvt_f32_i32_e32 v0, v0
	s_delay_alu instid0(VALU_DEP_1) | instskip(NEXT) | instid1(VALU_DEP_1)
	v_ldexp_f32 v0, v0, v1
	v_cvt_f16_f32_e32 v0, v0
	global_store_b16 v7, v0, s[12:13]
.LBB33_8:                               ;   in Loop: Header=BB33_9 Depth=1
	s_or_b32 exec_lo, exec_lo, s37
	v_add_co_u32 v15, vcc_lo, v15, s29
	v_add_co_ci_u32_e32 v16, vcc_lo, 0, v16, vcc_lo
	v_mov_b32_e32 v7, v17
	v_dual_mov_b32 v0, v4 :: v_dual_mov_b32 v1, v5
	s_delay_alu instid0(VALU_DEP_3) | instskip(NEXT) | instid1(VALU_DEP_3)
	v_cmp_le_i64_e32 vcc_lo, s[2:3], v[15:16]
	v_dual_mov_b32 v2, v6 :: v_dual_mov_b32 v3, v7
	s_waitcnt_vscnt null, 0x0
	s_barrier
	buffer_gl0_inv
	s_or_b32 s30, vcc_lo, s30
	s_delay_alu instid0(SALU_CYCLE_1)
	s_and_not1_b32 exec_lo, exec_lo, s30
	s_cbranch_execz .LBB33_56
.LBB33_9:                               ; =>This Loop Header: Depth=1
                                        ;     Child Loop BB33_24 Depth 2
                                        ;     Child Loop BB33_29 Depth 2
	;; [unrolled: 1-line block ×4, first 2 shown]
	v_add_co_u32 v19, vcc_lo, v19, 1
	s_delay_alu instid0(VALU_DEP_1) | instskip(SKIP_2) | instid1(VALU_DEP_1)
	v_cndmask_b32_e64 v4, 0, 1, vcc_lo
	v_add_co_ci_u32_e32 v20, vcc_lo, 0, v20, vcc_lo
	s_mov_b32 s0, exec_lo
	v_cmp_eq_u32_e32 vcc_lo, 0, v20
	s_delay_alu instid0(VALU_DEP_3) | instskip(NEXT) | instid1(VALU_DEP_1)
	v_cndmask_b32_e32 v4, 0, v4, vcc_lo
	v_add_nc_u32_e32 v40, v4, v40
	s_delay_alu instid0(VALU_DEP_1) | instskip(SKIP_2) | instid1(VALU_DEP_2)
	v_cmp_eq_u32_e32 vcc_lo, 0, v40
	v_mad_u64_u32 v[6:7], null, 0xcd9e8d57, v40, 0
	v_cndmask_b32_e32 v4, 0, v4, vcc_lo
	v_xor3_b32 v9, v7, v11, v20
	s_delay_alu instid0(VALU_DEP_2) | instskip(SKIP_1) | instid1(VALU_DEP_3)
	v_add_nc_u32_e32 v41, v4, v41
	v_mad_u64_u32 v[4:5], null, 0xd2511f53, v19, 0
	v_mad_u64_u32 v[7:8], null, 0xd2511f53, v9, 0
	s_delay_alu instid0(VALU_DEP_2) | instskip(NEXT) | instid1(VALU_DEP_2)
	v_xor_b32_e32 v5, v5, v12
	v_xor3_b32 v8, v21, v8, v4
	s_delay_alu instid0(VALU_DEP_2) | instskip(NEXT) | instid1(VALU_DEP_1)
	v_xor_b32_e32 v5, v41, v5
	v_mad_u64_u32 v[9:10], null, 0xcd9e8d57, v5, 0
	s_delay_alu instid0(VALU_DEP_3) | instskip(NEXT) | instid1(VALU_DEP_2)
	v_mad_u64_u32 v[4:5], null, 0xcd9e8d57, v8, 0
	v_xor3_b32 v6, v22, v10, v6
	s_delay_alu instid0(VALU_DEP_2) | instskip(NEXT) | instid1(VALU_DEP_2)
	v_xor3_b32 v8, v23, v5, v9
	v_mad_u64_u32 v[17:18], null, 0xd2511f53, v6, 0
	s_delay_alu instid0(VALU_DEP_2) | instskip(NEXT) | instid1(VALU_DEP_2)
	v_mad_u64_u32 v[5:6], null, 0xd2511f53, v8, 0
	v_xor3_b32 v9, v24, v18, v7
	s_delay_alu instid0(VALU_DEP_2) | instskip(NEXT) | instid1(VALU_DEP_2)
	v_xor3_b32 v6, v25, v6, v17
	v_mad_u64_u32 v[7:8], null, 0xcd9e8d57, v9, 0
	s_delay_alu instid0(VALU_DEP_1) | instskip(NEXT) | instid1(VALU_DEP_3)
	v_xor3_b32 v4, v26, v8, v4
	v_mad_u64_u32 v[8:9], null, 0xcd9e8d57, v6, 0
	s_delay_alu instid0(VALU_DEP_2) | instskip(NEXT) | instid1(VALU_DEP_2)
	v_mad_u64_u32 v[17:18], null, 0xd2511f53, v4, 0
	v_xor3_b32 v6, v27, v9, v7
	s_delay_alu instid0(VALU_DEP_2) | instskip(NEXT) | instid1(VALU_DEP_2)
	v_xor3_b32 v9, v28, v18, v5
	v_mad_u64_u32 v[4:5], null, 0xd2511f53, v6, 0
	s_delay_alu instid0(VALU_DEP_2) | instskip(NEXT) | instid1(VALU_DEP_2)
	v_mad_u64_u32 v[6:7], null, 0xcd9e8d57, v9, 0
	v_xor3_b32 v5, v31, v5, v17
	s_delay_alu instid0(VALU_DEP_2) | instskip(NEXT) | instid1(VALU_DEP_2)
	;; [unrolled: 6-line block ×6, first 2 shown]
	v_xor3_b32 v4, v6, v7, v30
	v_mov_b32_e32 v6, v10
	v_cmpx_lt_i32_e32 1, v29
	s_xor_b32 s0, exec_lo, s0
	s_cbranch_execnz .LBB33_12
; %bb.10:                               ;   in Loop: Header=BB33_9 Depth=1
	s_and_not1_saveexec_b32 s0, s0
	s_cbranch_execnz .LBB33_17
.LBB33_11:                              ;   in Loop: Header=BB33_9 Depth=1
	s_or_b32 exec_lo, exec_lo, s0
	s_delay_alu instid0(SALU_CYCLE_1)
	s_mov_b32 s37, exec_lo
	v_cmpx_gt_i64_e64 s[16:17], v[15:16]
	s_cbranch_execnz .LBB33_20
	s_branch .LBB33_38
.LBB33_12:                              ;   in Loop: Header=BB33_9 Depth=1
	s_mov_b32 s1, exec_lo
	v_cmpx_lt_i32_e32 2, v29
	s_xor_b32 s1, exec_lo, s1
; %bb.13:                               ;   in Loop: Header=BB33_9 Depth=1
	v_dual_mov_b32 v7, v3 :: v_dual_mov_b32 v8, v4
	v_mov_b32_e32 v9, v5
	s_delay_alu instid0(VALU_DEP_2) | instskip(NEXT) | instid1(VALU_DEP_2)
	v_dual_mov_b32 v0, v7 :: v_dual_mov_b32 v1, v8
	v_dual_mov_b32 v2, v9 :: v_dual_mov_b32 v3, v10
; %bb.14:                               ;   in Loop: Header=BB33_9 Depth=1
	s_and_not1_saveexec_b32 s1, s1
; %bb.15:                               ;   in Loop: Header=BB33_9 Depth=1
	s_delay_alu instid0(VALU_DEP_1)
	v_dual_mov_b32 v0, v2 :: v_dual_mov_b32 v1, v3
	v_dual_mov_b32 v2, v4 :: v_dual_mov_b32 v3, v5
; %bb.16:                               ;   in Loop: Header=BB33_9 Depth=1
	s_or_b32 exec_lo, exec_lo, s1
	s_and_not1_saveexec_b32 s0, s0
	s_cbranch_execz .LBB33_11
.LBB33_17:                              ;   in Loop: Header=BB33_9 Depth=1
	s_mov_b32 s1, exec_lo
	v_cmpx_eq_u32_e32 1, v29
; %bb.18:                               ;   in Loop: Header=BB33_9 Depth=1
	v_dual_mov_b32 v0, v1 :: v_dual_mov_b32 v1, v2
	v_dual_mov_b32 v2, v3 :: v_dual_mov_b32 v3, v4
; %bb.19:                               ;   in Loop: Header=BB33_9 Depth=1
	s_or_b32 exec_lo, exec_lo, s1
	s_delay_alu instid0(SALU_CYCLE_1) | instskip(NEXT) | instid1(SALU_CYCLE_1)
	s_or_b32 exec_lo, exec_lo, s0
	s_mov_b32 s37, exec_lo
	v_cmpx_gt_i64_e64 s[16:17], v[15:16]
	s_cbranch_execz .LBB33_38
.LBB33_20:                              ;   in Loop: Header=BB33_9 Depth=1
	s_and_not1_b32 vcc_lo, exec_lo, s11
	s_cbranch_vccnz .LBB33_26
; %bb.21:                               ;   in Loop: Header=BB33_9 Depth=1
	v_mov_b32_e32 v7, 0
	s_and_not1_b32 vcc_lo, exec_lo, s31
	s_cbranch_vccnz .LBB33_30
; %bb.22:                               ;   in Loop: Header=BB33_9 Depth=1
	s_and_not1_b32 vcc_lo, exec_lo, s34
	s_mov_b32 s0, 0
	s_cbranch_vccnz .LBB33_27
; %bb.23:                               ;   in Loop: Header=BB33_9 Depth=1
	v_dual_mov_b32 v7, 0 :: v_dual_mov_b32 v8, v15
	s_mov_b32 s38, 0
	s_mov_b64 s[0:1], s[18:19]
	s_mov_b64 s[26:27], s[24:25]
.LBB33_24:                              ;   Parent Loop BB33_9 Depth=1
                                        ; =>  This Inner Loop Header: Depth=2
	s_clause 0x1
	s_load_b256 s[40:47], s[0:1], 0x4
	s_load_b128 s[48:51], s[0:1], 0x24
	s_load_b128 s[52:55], s[26:27], 0x0
	s_add_u32 s0, s0, 48
	s_addc_u32 s1, s1, 0
	s_add_i32 s38, s38, 4
	s_add_u32 s26, s26, 16
	s_addc_u32 s27, s27, 0
	s_cmp_lg_u32 s35, s38
	s_waitcnt lgkmcnt(0)
	v_mul_hi_u32 v9, s41, v8
	s_delay_alu instid0(VALU_DEP_1) | instskip(NEXT) | instid1(VALU_DEP_1)
	v_add_nc_u32_e32 v9, v8, v9
	v_lshrrev_b32_e32 v9, s42, v9
	s_delay_alu instid0(VALU_DEP_1) | instskip(SKIP_1) | instid1(VALU_DEP_2)
	v_mul_hi_u32 v10, s44, v9
	v_mul_lo_u32 v42, v9, s40
	v_add_nc_u32_e32 v10, v9, v10
	s_delay_alu instid0(VALU_DEP_2) | instskip(NEXT) | instid1(VALU_DEP_2)
	v_sub_nc_u32_e32 v42, v8, v42
	v_lshrrev_b32_e32 v10, s45, v10
	s_delay_alu instid0(VALU_DEP_2) | instskip(NEXT) | instid1(VALU_DEP_2)
	v_mul_lo_u32 v42, v42, s52
	v_mul_hi_u32 v14, s47, v10
	v_mul_lo_u32 v43, v10, s43
	s_delay_alu instid0(VALU_DEP_2) | instskip(NEXT) | instid1(VALU_DEP_2)
	v_add_nc_u32_e32 v14, v10, v14
	v_sub_nc_u32_e32 v9, v9, v43
	s_delay_alu instid0(VALU_DEP_2) | instskip(NEXT) | instid1(VALU_DEP_2)
	v_lshrrev_b32_e32 v14, s48, v14
	v_mul_lo_u32 v9, v9, s53
	s_delay_alu instid0(VALU_DEP_2) | instskip(NEXT) | instid1(VALU_DEP_2)
	v_mul_hi_u32 v18, s50, v14
	v_add3_u32 v7, v42, v7, v9
	s_delay_alu instid0(VALU_DEP_2) | instskip(NEXT) | instid1(VALU_DEP_1)
	v_add_nc_u32_e32 v18, v14, v18
	v_lshrrev_b32_e32 v8, s51, v18
	v_mul_lo_u32 v18, v14, s46
	s_delay_alu instid0(VALU_DEP_2) | instskip(NEXT) | instid1(VALU_DEP_2)
	v_mul_lo_u32 v44, v8, s49
	v_sub_nc_u32_e32 v10, v10, v18
	s_delay_alu instid0(VALU_DEP_2) | instskip(NEXT) | instid1(VALU_DEP_2)
	v_sub_nc_u32_e32 v14, v14, v44
	v_mul_lo_u32 v10, v10, s54
	s_delay_alu instid0(VALU_DEP_2) | instskip(NEXT) | instid1(VALU_DEP_1)
	v_mul_lo_u32 v14, v14, s55
	v_add3_u32 v7, v10, v7, v14
	s_cbranch_scc1 .LBB33_24
; %bb.25:                               ;   in Loop: Header=BB33_9 Depth=1
	s_mov_b32 s0, s35
	s_and_not1_b32 vcc_lo, exec_lo, s36
	s_cbranch_vccz .LBB33_28
	s_branch .LBB33_30
.LBB33_26:                              ;   in Loop: Header=BB33_9 Depth=1
                                        ; implicit-def: $vgpr7
	s_branch .LBB33_31
.LBB33_27:                              ;   in Loop: Header=BB33_9 Depth=1
	v_mov_b32_e32 v8, v15
	s_and_not1_b32 vcc_lo, exec_lo, s36
	s_cbranch_vccnz .LBB33_30
.LBB33_28:                              ;   in Loop: Header=BB33_9 Depth=1
	s_lshl_b32 s1, s0, 2
	s_mul_i32 s26, s0, 12
	s_add_u32 s0, s24, s1
	s_addc_u32 s1, s25, 0
	s_add_u32 s26, s18, s26
	s_addc_u32 s27, s19, 0
	s_mov_b32 s38, s33
	.p2align	6
.LBB33_29:                              ;   Parent Loop BB33_9 Depth=1
                                        ; =>  This Inner Loop Header: Depth=2
	s_clause 0x1
	s_load_b64 s[40:41], s[26:27], 0x4
	s_load_b32 s39, s[26:27], 0xc
	s_add_u32 s26, s26, 12
	s_addc_u32 s27, s27, 0
	s_waitcnt lgkmcnt(0)
	v_mul_hi_u32 v9, s41, v8
	s_load_b32 s41, s[0:1], 0x0
	s_add_u32 s0, s0, 4
	s_addc_u32 s1, s1, 0
	s_add_i32 s38, s38, -1
	s_delay_alu instid0(SALU_CYCLE_1) | instskip(NEXT) | instid1(VALU_DEP_1)
	s_cmp_lg_u32 s38, 0
	v_add_nc_u32_e32 v9, v8, v9
	s_delay_alu instid0(VALU_DEP_1) | instskip(NEXT) | instid1(VALU_DEP_1)
	v_lshrrev_b32_e32 v14, s39, v9
	v_mul_lo_u32 v9, v14, s40
	s_delay_alu instid0(VALU_DEP_1) | instskip(SKIP_1) | instid1(VALU_DEP_1)
	v_sub_nc_u32_e32 v8, v8, v9
	s_waitcnt lgkmcnt(0)
	v_mad_u64_u32 v[9:10], null, v8, s41, v[7:8]
	s_delay_alu instid0(VALU_DEP_1)
	v_dual_mov_b32 v8, v14 :: v_dual_mov_b32 v7, v9
	s_cbranch_scc1 .LBB33_29
.LBB33_30:                              ;   in Loop: Header=BB33_9 Depth=1
	s_cbranch_execnz .LBB33_33
.LBB33_31:                              ;   in Loop: Header=BB33_9 Depth=1
	v_mul_hi_u32 v7, v15, s6
	s_and_not1_b32 vcc_lo, exec_lo, s4
	s_delay_alu instid0(VALU_DEP_1) | instskip(NEXT) | instid1(VALU_DEP_1)
	v_add_nc_u32_e32 v7, v7, v15
	v_lshrrev_b32_e32 v8, s7, v7
	s_delay_alu instid0(VALU_DEP_1) | instskip(NEXT) | instid1(VALU_DEP_1)
	v_mul_lo_u32 v7, v8, s5
	v_sub_nc_u32_e32 v7, v15, v7
	s_delay_alu instid0(VALU_DEP_1)
	v_mul_lo_u32 v7, v7, s22
	s_cbranch_vccnz .LBB33_33
; %bb.32:                               ;   in Loop: Header=BB33_9 Depth=1
	v_mul_hi_u32 v9, s9, v8
	s_delay_alu instid0(VALU_DEP_1) | instskip(NEXT) | instid1(VALU_DEP_1)
	v_add_nc_u32_e32 v9, v8, v9
	v_lshrrev_b32_e32 v9, s10, v9
	s_delay_alu instid0(VALU_DEP_1) | instskip(NEXT) | instid1(VALU_DEP_1)
	v_mul_lo_u32 v9, v9, s8
	v_sub_nc_u32_e32 v10, v8, v9
	s_delay_alu instid0(VALU_DEP_1) | instskip(NEXT) | instid1(VALU_DEP_1)
	v_mad_u64_u32 v[8:9], null, v10, s23, v[7:8]
	v_mov_b32_e32 v7, v8
.LBB33_33:                              ;   in Loop: Header=BB33_9 Depth=1
	v_or_b32_e32 v14, s15, v0
                                        ; implicit-def: $vgpr8_vgpr9
	s_mov_b32 s0, exec_lo
	s_delay_alu instid0(VALU_DEP_1)
	v_cmpx_ne_u64_e32 0, v[13:14]
	s_xor_b32 s1, exec_lo, s0
	s_cbranch_execz .LBB33_35
; %bb.34:                               ;   in Loop: Header=BB33_9 Depth=1
	v_cvt_f32_u32_e32 v8, s14
	v_cvt_f32_u32_e32 v9, s15
	s_sub_u32 s0, 0, s14
	s_subb_u32 s26, 0, s15
	s_delay_alu instid0(VALU_DEP_1) | instskip(NEXT) | instid1(VALU_DEP_1)
	v_fmac_f32_e32 v8, 0x4f800000, v9
	v_rcp_f32_e32 v8, v8
	s_waitcnt_depctr 0xfff
	v_mul_f32_e32 v8, 0x5f7ffffc, v8
	s_delay_alu instid0(VALU_DEP_1) | instskip(NEXT) | instid1(VALU_DEP_1)
	v_mul_f32_e32 v9, 0x2f800000, v8
	v_trunc_f32_e32 v9, v9
	s_delay_alu instid0(VALU_DEP_1) | instskip(SKIP_1) | instid1(VALU_DEP_2)
	v_fmac_f32_e32 v8, 0xcf800000, v9
	v_cvt_u32_f32_e32 v9, v9
	v_cvt_u32_f32_e32 v8, v8
	s_delay_alu instid0(VALU_DEP_2) | instskip(NEXT) | instid1(VALU_DEP_2)
	v_mul_lo_u32 v10, s0, v9
	v_mul_hi_u32 v14, s0, v8
	v_mul_lo_u32 v18, s26, v8
	s_delay_alu instid0(VALU_DEP_2) | instskip(SKIP_1) | instid1(VALU_DEP_2)
	v_add_nc_u32_e32 v10, v14, v10
	v_mul_lo_u32 v14, s0, v8
	v_add_nc_u32_e32 v10, v10, v18
	s_delay_alu instid0(VALU_DEP_2) | instskip(NEXT) | instid1(VALU_DEP_2)
	v_mul_hi_u32 v18, v8, v14
	v_mul_lo_u32 v42, v8, v10
	v_mul_hi_u32 v43, v8, v10
	v_mul_hi_u32 v44, v9, v14
	v_mul_lo_u32 v14, v9, v14
	v_mul_hi_u32 v45, v9, v10
	v_mul_lo_u32 v10, v9, v10
	v_add_co_u32 v18, vcc_lo, v18, v42
	v_add_co_ci_u32_e32 v42, vcc_lo, 0, v43, vcc_lo
	s_delay_alu instid0(VALU_DEP_2) | instskip(NEXT) | instid1(VALU_DEP_2)
	v_add_co_u32 v14, vcc_lo, v18, v14
	v_add_co_ci_u32_e32 v14, vcc_lo, v42, v44, vcc_lo
	v_add_co_ci_u32_e32 v18, vcc_lo, 0, v45, vcc_lo
	s_delay_alu instid0(VALU_DEP_2) | instskip(NEXT) | instid1(VALU_DEP_2)
	v_add_co_u32 v10, vcc_lo, v14, v10
	v_add_co_ci_u32_e32 v14, vcc_lo, 0, v18, vcc_lo
	s_delay_alu instid0(VALU_DEP_2) | instskip(NEXT) | instid1(VALU_DEP_2)
	v_add_co_u32 v8, vcc_lo, v8, v10
	v_add_co_ci_u32_e32 v9, vcc_lo, v9, v14, vcc_lo
	s_delay_alu instid0(VALU_DEP_2) | instskip(SKIP_1) | instid1(VALU_DEP_3)
	v_mul_hi_u32 v10, s0, v8
	v_mul_lo_u32 v18, s26, v8
	v_mul_lo_u32 v14, s0, v9
	s_delay_alu instid0(VALU_DEP_1) | instskip(SKIP_1) | instid1(VALU_DEP_2)
	v_add_nc_u32_e32 v10, v10, v14
	v_mul_lo_u32 v14, s0, v8
	v_add_nc_u32_e32 v10, v10, v18
	s_delay_alu instid0(VALU_DEP_2) | instskip(NEXT) | instid1(VALU_DEP_2)
	v_mul_hi_u32 v18, v8, v14
	v_mul_lo_u32 v42, v8, v10
	v_mul_hi_u32 v43, v8, v10
	v_mul_hi_u32 v44, v9, v14
	v_mul_lo_u32 v14, v9, v14
	v_mul_hi_u32 v45, v9, v10
	v_mul_lo_u32 v10, v9, v10
	v_add_co_u32 v18, vcc_lo, v18, v42
	v_add_co_ci_u32_e32 v42, vcc_lo, 0, v43, vcc_lo
	s_delay_alu instid0(VALU_DEP_2) | instskip(NEXT) | instid1(VALU_DEP_2)
	v_add_co_u32 v14, vcc_lo, v18, v14
	v_add_co_ci_u32_e32 v14, vcc_lo, v42, v44, vcc_lo
	v_add_co_ci_u32_e32 v18, vcc_lo, 0, v45, vcc_lo
	s_delay_alu instid0(VALU_DEP_2) | instskip(NEXT) | instid1(VALU_DEP_2)
	v_add_co_u32 v10, vcc_lo, v14, v10
	v_add_co_ci_u32_e32 v14, vcc_lo, 0, v18, vcc_lo
	s_delay_alu instid0(VALU_DEP_2) | instskip(NEXT) | instid1(VALU_DEP_2)
	v_add_co_u32 v10, vcc_lo, v8, v10
	v_add_co_ci_u32_e32 v14, vcc_lo, v9, v14, vcc_lo
	s_delay_alu instid0(VALU_DEP_2) | instskip(SKIP_1) | instid1(VALU_DEP_3)
	v_mul_hi_u32 v18, v1, v10
	v_mad_u64_u32 v[42:43], null, v0, v10, 0
	v_mad_u64_u32 v[8:9], null, v1, v14, 0
	;; [unrolled: 1-line block ×3, first 2 shown]
	s_delay_alu instid0(VALU_DEP_2) | instskip(NEXT) | instid1(VALU_DEP_3)
	v_add_co_u32 v8, vcc_lo, v18, v8
	v_add_co_ci_u32_e32 v9, vcc_lo, 0, v9, vcc_lo
	s_delay_alu instid0(VALU_DEP_2) | instskip(NEXT) | instid1(VALU_DEP_2)
	v_add_co_u32 v8, vcc_lo, v8, v42
	v_add_co_ci_u32_e32 v8, vcc_lo, v9, v43, vcc_lo
	v_add_co_ci_u32_e32 v9, vcc_lo, 0, v45, vcc_lo
	s_delay_alu instid0(VALU_DEP_2) | instskip(NEXT) | instid1(VALU_DEP_2)
	v_add_co_u32 v10, vcc_lo, v8, v44
	v_add_co_ci_u32_e32 v14, vcc_lo, 0, v9, vcc_lo
	s_delay_alu instid0(VALU_DEP_2) | instskip(SKIP_1) | instid1(VALU_DEP_3)
	v_mul_lo_u32 v18, s15, v10
	v_mad_u64_u32 v[8:9], null, s14, v10, 0
	v_mul_lo_u32 v10, s14, v14
	s_delay_alu instid0(VALU_DEP_2) | instskip(NEXT) | instid1(VALU_DEP_2)
	v_sub_co_u32 v8, vcc_lo, v1, v8
	v_add3_u32 v9, v9, v10, v18
	s_delay_alu instid0(VALU_DEP_1) | instskip(NEXT) | instid1(VALU_DEP_1)
	v_sub_nc_u32_e32 v10, v0, v9
	v_subrev_co_ci_u32_e64 v10, s0, s15, v10, vcc_lo
	v_sub_co_ci_u32_e32 v0, vcc_lo, v0, v9, vcc_lo
	v_sub_co_u32 v9, vcc_lo, v8, s14
	s_delay_alu instid0(VALU_DEP_1) | instskip(SKIP_3) | instid1(VALU_DEP_3)
	v_subrev_co_ci_u32_e64 v14, s0, 0, v10, vcc_lo
	v_cmp_le_u32_e64 s0, s14, v8
	v_subrev_co_ci_u32_e32 v10, vcc_lo, s15, v10, vcc_lo
	v_cmp_le_u32_e32 vcc_lo, s15, v0
	v_cndmask_b32_e64 v18, 0, -1, s0
	v_cmp_le_u32_e64 s0, s14, v9
	v_cndmask_b32_e64 v44, 0, -1, vcc_lo
	v_cmp_eq_u32_e32 vcc_lo, s15, v14
	s_delay_alu instid0(VALU_DEP_3) | instskip(SKIP_1) | instid1(VALU_DEP_1)
	v_cndmask_b32_e64 v42, 0, -1, s0
	v_cmp_le_u32_e64 s0, s15, v14
	v_cndmask_b32_e64 v43, 0, -1, s0
	v_cmp_eq_u32_e64 s0, s15, v0
	s_delay_alu instid0(VALU_DEP_2) | instskip(SKIP_2) | instid1(VALU_DEP_3)
	v_cndmask_b32_e32 v42, v43, v42, vcc_lo
	v_sub_co_u32 v43, vcc_lo, v9, s14
	v_subrev_co_ci_u32_e32 v10, vcc_lo, 0, v10, vcc_lo
	v_cmp_ne_u32_e32 vcc_lo, 0, v42
	v_cndmask_b32_e64 v18, v44, v18, s0
	s_delay_alu instid0(VALU_DEP_3) | instskip(SKIP_1) | instid1(VALU_DEP_3)
	v_cndmask_b32_e32 v10, v14, v10, vcc_lo
	v_cndmask_b32_e32 v14, v9, v43, vcc_lo
	v_cmp_ne_u32_e32 vcc_lo, 0, v18
	s_delay_alu instid0(VALU_DEP_3) | instskip(NEXT) | instid1(VALU_DEP_3)
	v_cndmask_b32_e32 v9, v0, v10, vcc_lo
	v_cndmask_b32_e32 v8, v8, v14, vcc_lo
.LBB33_35:                              ;   in Loop: Header=BB33_9 Depth=1
	s_and_not1_saveexec_b32 s0, s1
	s_cbranch_execz .LBB33_37
; %bb.36:                               ;   in Loop: Header=BB33_9 Depth=1
	v_cvt_f32_u32_e32 v0, s14
	s_sub_i32 s1, 0, s14
	v_mov_b32_e32 v9, v13
	s_delay_alu instid0(VALU_DEP_2) | instskip(SKIP_2) | instid1(VALU_DEP_1)
	v_rcp_iflag_f32_e32 v0, v0
	s_waitcnt_depctr 0xfff
	v_mul_f32_e32 v0, 0x4f7ffffe, v0
	v_cvt_u32_f32_e32 v0, v0
	s_delay_alu instid0(VALU_DEP_1) | instskip(NEXT) | instid1(VALU_DEP_1)
	v_mul_lo_u32 v8, s1, v0
	v_mul_hi_u32 v8, v0, v8
	s_delay_alu instid0(VALU_DEP_1) | instskip(NEXT) | instid1(VALU_DEP_1)
	v_add_nc_u32_e32 v0, v0, v8
	v_mul_hi_u32 v0, v1, v0
	s_delay_alu instid0(VALU_DEP_1) | instskip(NEXT) | instid1(VALU_DEP_1)
	v_mul_lo_u32 v0, v0, s14
	v_sub_nc_u32_e32 v0, v1, v0
	s_delay_alu instid0(VALU_DEP_1) | instskip(SKIP_1) | instid1(VALU_DEP_2)
	v_subrev_nc_u32_e32 v1, s14, v0
	v_cmp_le_u32_e32 vcc_lo, s14, v0
	v_cndmask_b32_e32 v0, v0, v1, vcc_lo
	s_delay_alu instid0(VALU_DEP_1) | instskip(SKIP_1) | instid1(VALU_DEP_2)
	v_subrev_nc_u32_e32 v1, s14, v0
	v_cmp_le_u32_e32 vcc_lo, s14, v0
	v_cndmask_b32_e32 v8, v0, v1, vcc_lo
.LBB33_37:                              ;   in Loop: Header=BB33_9 Depth=1
	s_or_b32 exec_lo, exec_lo, s0
	s_delay_alu instid0(VALU_DEP_1) | instskip(SKIP_1) | instid1(VALU_DEP_1)
	v_add_co_u32 v0, vcc_lo, v8, s20
	v_add_co_ci_u32_e32 v1, vcc_lo, s21, v9, vcc_lo
	v_xor_b32_e32 v8, v0, v1
	v_cls_i32_e32 v9, v1
	s_delay_alu instid0(VALU_DEP_2) | instskip(NEXT) | instid1(VALU_DEP_2)
	v_ashrrev_i32_e32 v8, 31, v8
	v_add_nc_u32_e32 v9, -1, v9
	s_delay_alu instid0(VALU_DEP_2) | instskip(NEXT) | instid1(VALU_DEP_1)
	v_add_nc_u32_e32 v8, 32, v8
	v_min_u32_e32 v8, v9, v8
	s_delay_alu instid0(VALU_DEP_1) | instskip(NEXT) | instid1(VALU_DEP_1)
	v_lshlrev_b64 v[0:1], v8, v[0:1]
	v_min_u32_e32 v0, 1, v0
	s_delay_alu instid0(VALU_DEP_1) | instskip(SKIP_1) | instid1(VALU_DEP_2)
	v_or_b32_e32 v0, v1, v0
	v_sub_nc_u32_e32 v1, 32, v8
	v_cvt_f32_i32_e32 v0, v0
	s_delay_alu instid0(VALU_DEP_1) | instskip(NEXT) | instid1(VALU_DEP_1)
	v_ldexp_f32 v0, v0, v1
	v_cvt_f16_f32_e32 v0, v0
	global_store_b16 v7, v0, s[12:13]
.LBB33_38:                              ;   in Loop: Header=BB33_9 Depth=1
	s_or_b32 exec_lo, exec_lo, s37
	v_add_co_u32 v0, vcc_lo, v15, s28
	v_add_co_ci_u32_e32 v1, vcc_lo, 0, v16, vcc_lo
	s_mov_b32 s37, exec_lo
	s_delay_alu instid0(VALU_DEP_1)
	v_cmpx_gt_i64_e64 s[16:17], v[0:1]
	s_cbranch_execz .LBB33_8
; %bb.39:                               ;   in Loop: Header=BB33_9 Depth=1
	s_and_not1_b32 vcc_lo, exec_lo, s11
	s_cbranch_vccnz .LBB33_45
; %bb.40:                               ;   in Loop: Header=BB33_9 Depth=1
	v_mov_b32_e32 v7, 0
	s_and_not1_b32 vcc_lo, exec_lo, s31
	s_cbranch_vccnz .LBB33_49
; %bb.41:                               ;   in Loop: Header=BB33_9 Depth=1
	s_and_not1_b32 vcc_lo, exec_lo, s34
	s_mov_b32 s0, 0
	s_cbranch_vccnz .LBB33_46
; %bb.42:                               ;   in Loop: Header=BB33_9 Depth=1
	v_mov_b32_e32 v7, 0
	v_mov_b32_e32 v1, v0
	s_mov_b32 s38, 0
	s_mov_b64 s[0:1], s[18:19]
	s_mov_b64 s[26:27], s[24:25]
.LBB33_43:                              ;   Parent Loop BB33_9 Depth=1
                                        ; =>  This Inner Loop Header: Depth=2
	s_clause 0x1
	s_load_b256 s[40:47], s[0:1], 0x4
	s_load_b128 s[48:51], s[0:1], 0x24
	s_load_b128 s[52:55], s[26:27], 0x0
	s_add_u32 s0, s0, 48
	s_addc_u32 s1, s1, 0
	s_add_i32 s38, s38, 4
	s_add_u32 s26, s26, 16
	s_addc_u32 s27, s27, 0
	s_cmp_eq_u32 s35, s38
	s_waitcnt lgkmcnt(0)
	v_mul_hi_u32 v8, s41, v1
	s_delay_alu instid0(VALU_DEP_1) | instskip(NEXT) | instid1(VALU_DEP_1)
	v_add_nc_u32_e32 v8, v1, v8
	v_lshrrev_b32_e32 v8, s42, v8
	s_delay_alu instid0(VALU_DEP_1) | instskip(SKIP_1) | instid1(VALU_DEP_2)
	v_mul_hi_u32 v9, s44, v8
	v_mul_lo_u32 v18, v8, s40
	v_add_nc_u32_e32 v9, v8, v9
	s_delay_alu instid0(VALU_DEP_2) | instskip(NEXT) | instid1(VALU_DEP_2)
	v_sub_nc_u32_e32 v18, v1, v18
	v_lshrrev_b32_e32 v9, s45, v9
	s_delay_alu instid0(VALU_DEP_2) | instskip(NEXT) | instid1(VALU_DEP_2)
	v_mul_lo_u32 v18, v18, s52
	v_mul_hi_u32 v10, s47, v9
	v_mul_lo_u32 v42, v9, s43
	s_delay_alu instid0(VALU_DEP_2) | instskip(NEXT) | instid1(VALU_DEP_2)
	v_add_nc_u32_e32 v10, v9, v10
	v_sub_nc_u32_e32 v8, v8, v42
	s_delay_alu instid0(VALU_DEP_2) | instskip(NEXT) | instid1(VALU_DEP_2)
	v_lshrrev_b32_e32 v10, s48, v10
	v_mul_lo_u32 v8, v8, s53
	s_delay_alu instid0(VALU_DEP_2) | instskip(NEXT) | instid1(VALU_DEP_2)
	v_mul_hi_u32 v14, s50, v10
	v_add3_u32 v7, v18, v7, v8
	s_delay_alu instid0(VALU_DEP_2) | instskip(NEXT) | instid1(VALU_DEP_1)
	v_add_nc_u32_e32 v14, v10, v14
	v_lshrrev_b32_e32 v1, s51, v14
	v_mul_lo_u32 v14, v10, s46
	s_delay_alu instid0(VALU_DEP_2) | instskip(NEXT) | instid1(VALU_DEP_2)
	v_mul_lo_u32 v43, v1, s49
	v_sub_nc_u32_e32 v9, v9, v14
	s_delay_alu instid0(VALU_DEP_2) | instskip(NEXT) | instid1(VALU_DEP_2)
	v_sub_nc_u32_e32 v10, v10, v43
	v_mul_lo_u32 v9, v9, s54
	s_delay_alu instid0(VALU_DEP_2) | instskip(NEXT) | instid1(VALU_DEP_1)
	v_mul_lo_u32 v10, v10, s55
	v_add3_u32 v7, v9, v7, v10
	s_cbranch_scc0 .LBB33_43
; %bb.44:                               ;   in Loop: Header=BB33_9 Depth=1
	s_mov_b32 s0, s35
	s_and_not1_b32 vcc_lo, exec_lo, s36
	s_cbranch_vccz .LBB33_47
	s_branch .LBB33_49
.LBB33_45:                              ;   in Loop: Header=BB33_9 Depth=1
                                        ; implicit-def: $vgpr7
	s_branch .LBB33_50
.LBB33_46:                              ;   in Loop: Header=BB33_9 Depth=1
	v_mov_b32_e32 v1, v0
	s_and_not1_b32 vcc_lo, exec_lo, s36
	s_cbranch_vccnz .LBB33_49
.LBB33_47:                              ;   in Loop: Header=BB33_9 Depth=1
	s_lshl_b32 s1, s0, 2
	s_mul_i32 s26, s0, 12
	s_add_u32 s0, s24, s1
	s_addc_u32 s1, s25, 0
	s_add_u32 s26, s18, s26
	s_addc_u32 s27, s19, 0
	s_mov_b32 s38, s33
	.p2align	6
.LBB33_48:                              ;   Parent Loop BB33_9 Depth=1
                                        ; =>  This Inner Loop Header: Depth=2
	s_clause 0x1
	s_load_b64 s[40:41], s[26:27], 0x4
	s_load_b32 s39, s[26:27], 0xc
	s_add_u32 s26, s26, 12
	s_addc_u32 s27, s27, 0
	s_waitcnt lgkmcnt(0)
	v_mul_hi_u32 v8, s41, v1
	s_load_b32 s41, s[0:1], 0x0
	s_add_u32 s0, s0, 4
	s_addc_u32 s1, s1, 0
	s_add_i32 s38, s38, -1
	s_delay_alu instid0(SALU_CYCLE_1) | instskip(NEXT) | instid1(VALU_DEP_1)
	s_cmp_lg_u32 s38, 0
	v_add_nc_u32_e32 v8, v1, v8
	s_delay_alu instid0(VALU_DEP_1) | instskip(NEXT) | instid1(VALU_DEP_1)
	v_lshrrev_b32_e32 v10, s39, v8
	v_mul_lo_u32 v8, v10, s40
	s_delay_alu instid0(VALU_DEP_1) | instskip(SKIP_1) | instid1(VALU_DEP_1)
	v_sub_nc_u32_e32 v1, v1, v8
	s_waitcnt lgkmcnt(0)
	v_mad_u64_u32 v[8:9], null, v1, s41, v[7:8]
	v_mov_b32_e32 v1, v10
	s_delay_alu instid0(VALU_DEP_2)
	v_mov_b32_e32 v7, v8
	s_cbranch_scc1 .LBB33_48
.LBB33_49:                              ;   in Loop: Header=BB33_9 Depth=1
	s_cbranch_execnz .LBB33_52
.LBB33_50:                              ;   in Loop: Header=BB33_9 Depth=1
	v_mul_hi_u32 v1, v0, s6
	s_and_not1_b32 vcc_lo, exec_lo, s4
	s_delay_alu instid0(VALU_DEP_1) | instskip(NEXT) | instid1(VALU_DEP_1)
	v_add_nc_u32_e32 v1, v1, v0
	v_lshrrev_b32_e32 v1, s7, v1
	s_delay_alu instid0(VALU_DEP_1) | instskip(NEXT) | instid1(VALU_DEP_1)
	v_mul_lo_u32 v7, v1, s5
	v_sub_nc_u32_e32 v0, v0, v7
	s_delay_alu instid0(VALU_DEP_1)
	v_mul_lo_u32 v7, v0, s22
	s_cbranch_vccnz .LBB33_52
; %bb.51:                               ;   in Loop: Header=BB33_9 Depth=1
	v_mul_hi_u32 v0, s9, v1
	s_delay_alu instid0(VALU_DEP_1) | instskip(NEXT) | instid1(VALU_DEP_1)
	v_add_nc_u32_e32 v0, v1, v0
	v_lshrrev_b32_e32 v0, s10, v0
	s_delay_alu instid0(VALU_DEP_1) | instskip(NEXT) | instid1(VALU_DEP_1)
	v_mul_lo_u32 v0, v0, s8
	v_sub_nc_u32_e32 v8, v1, v0
	s_delay_alu instid0(VALU_DEP_1) | instskip(NEXT) | instid1(VALU_DEP_1)
	v_mad_u64_u32 v[0:1], null, v8, s23, v[7:8]
	v_mov_b32_e32 v7, v0
.LBB33_52:                              ;   in Loop: Header=BB33_9 Depth=1
	v_or_b32_e32 v14, s15, v2
                                        ; implicit-def: $vgpr8_vgpr9
	s_mov_b32 s0, exec_lo
	s_delay_alu instid0(VALU_DEP_1)
	v_cmpx_ne_u64_e32 0, v[13:14]
	s_xor_b32 s1, exec_lo, s0
	s_cbranch_execz .LBB33_54
; %bb.53:                               ;   in Loop: Header=BB33_9 Depth=1
	v_cvt_f32_u32_e32 v0, s14
	v_cvt_f32_u32_e32 v1, s15
	s_sub_u32 s0, 0, s14
	s_subb_u32 s26, 0, s15
	s_delay_alu instid0(VALU_DEP_1) | instskip(NEXT) | instid1(VALU_DEP_1)
	v_fmac_f32_e32 v0, 0x4f800000, v1
	v_rcp_f32_e32 v0, v0
	s_waitcnt_depctr 0xfff
	v_mul_f32_e32 v0, 0x5f7ffffc, v0
	s_delay_alu instid0(VALU_DEP_1) | instskip(NEXT) | instid1(VALU_DEP_1)
	v_mul_f32_e32 v1, 0x2f800000, v0
	v_trunc_f32_e32 v1, v1
	s_delay_alu instid0(VALU_DEP_1) | instskip(SKIP_1) | instid1(VALU_DEP_2)
	v_fmac_f32_e32 v0, 0xcf800000, v1
	v_cvt_u32_f32_e32 v1, v1
	v_cvt_u32_f32_e32 v0, v0
	s_delay_alu instid0(VALU_DEP_2) | instskip(NEXT) | instid1(VALU_DEP_2)
	v_mul_lo_u32 v8, s0, v1
	v_mul_hi_u32 v9, s0, v0
	v_mul_lo_u32 v10, s26, v0
	s_delay_alu instid0(VALU_DEP_2) | instskip(SKIP_1) | instid1(VALU_DEP_2)
	v_add_nc_u32_e32 v8, v9, v8
	v_mul_lo_u32 v9, s0, v0
	v_add_nc_u32_e32 v8, v8, v10
	s_delay_alu instid0(VALU_DEP_2) | instskip(NEXT) | instid1(VALU_DEP_2)
	v_mul_hi_u32 v10, v0, v9
	v_mul_lo_u32 v14, v0, v8
	v_mul_hi_u32 v18, v0, v8
	v_mul_hi_u32 v42, v1, v9
	v_mul_lo_u32 v9, v1, v9
	v_mul_hi_u32 v43, v1, v8
	v_mul_lo_u32 v8, v1, v8
	v_add_co_u32 v10, vcc_lo, v10, v14
	v_add_co_ci_u32_e32 v14, vcc_lo, 0, v18, vcc_lo
	s_delay_alu instid0(VALU_DEP_2) | instskip(NEXT) | instid1(VALU_DEP_2)
	v_add_co_u32 v9, vcc_lo, v10, v9
	v_add_co_ci_u32_e32 v9, vcc_lo, v14, v42, vcc_lo
	v_add_co_ci_u32_e32 v10, vcc_lo, 0, v43, vcc_lo
	s_delay_alu instid0(VALU_DEP_2) | instskip(NEXT) | instid1(VALU_DEP_2)
	v_add_co_u32 v8, vcc_lo, v9, v8
	v_add_co_ci_u32_e32 v9, vcc_lo, 0, v10, vcc_lo
	s_delay_alu instid0(VALU_DEP_2) | instskip(NEXT) | instid1(VALU_DEP_2)
	v_add_co_u32 v0, vcc_lo, v0, v8
	v_add_co_ci_u32_e32 v1, vcc_lo, v1, v9, vcc_lo
	s_delay_alu instid0(VALU_DEP_2) | instskip(SKIP_1) | instid1(VALU_DEP_3)
	v_mul_hi_u32 v8, s0, v0
	v_mul_lo_u32 v10, s26, v0
	v_mul_lo_u32 v9, s0, v1
	s_delay_alu instid0(VALU_DEP_1) | instskip(SKIP_1) | instid1(VALU_DEP_2)
	v_add_nc_u32_e32 v8, v8, v9
	v_mul_lo_u32 v9, s0, v0
	v_add_nc_u32_e32 v8, v8, v10
	s_delay_alu instid0(VALU_DEP_2) | instskip(NEXT) | instid1(VALU_DEP_2)
	v_mul_hi_u32 v10, v0, v9
	v_mul_lo_u32 v14, v0, v8
	v_mul_hi_u32 v18, v0, v8
	v_mul_hi_u32 v42, v1, v9
	v_mul_lo_u32 v9, v1, v9
	v_mul_hi_u32 v43, v1, v8
	v_mul_lo_u32 v8, v1, v8
	v_add_co_u32 v10, vcc_lo, v10, v14
	v_add_co_ci_u32_e32 v14, vcc_lo, 0, v18, vcc_lo
	s_delay_alu instid0(VALU_DEP_2) | instskip(NEXT) | instid1(VALU_DEP_2)
	v_add_co_u32 v9, vcc_lo, v10, v9
	v_add_co_ci_u32_e32 v9, vcc_lo, v14, v42, vcc_lo
	v_add_co_ci_u32_e32 v10, vcc_lo, 0, v43, vcc_lo
	s_delay_alu instid0(VALU_DEP_2) | instskip(NEXT) | instid1(VALU_DEP_2)
	v_add_co_u32 v8, vcc_lo, v9, v8
	v_add_co_ci_u32_e32 v9, vcc_lo, 0, v10, vcc_lo
	s_delay_alu instid0(VALU_DEP_2) | instskip(NEXT) | instid1(VALU_DEP_2)
	v_add_co_u32 v10, vcc_lo, v0, v8
	v_add_co_ci_u32_e32 v14, vcc_lo, v1, v9, vcc_lo
	s_delay_alu instid0(VALU_DEP_2) | instskip(SKIP_1) | instid1(VALU_DEP_3)
	v_mul_hi_u32 v18, v3, v10
	v_mad_u64_u32 v[8:9], null, v2, v10, 0
	v_mad_u64_u32 v[0:1], null, v3, v14, 0
	;; [unrolled: 1-line block ×3, first 2 shown]
	s_delay_alu instid0(VALU_DEP_2) | instskip(NEXT) | instid1(VALU_DEP_3)
	v_add_co_u32 v0, vcc_lo, v18, v0
	v_add_co_ci_u32_e32 v1, vcc_lo, 0, v1, vcc_lo
	s_delay_alu instid0(VALU_DEP_2) | instskip(NEXT) | instid1(VALU_DEP_2)
	v_add_co_u32 v0, vcc_lo, v0, v8
	v_add_co_ci_u32_e32 v0, vcc_lo, v1, v9, vcc_lo
	v_add_co_ci_u32_e32 v1, vcc_lo, 0, v43, vcc_lo
	s_delay_alu instid0(VALU_DEP_2) | instskip(NEXT) | instid1(VALU_DEP_2)
	v_add_co_u32 v8, vcc_lo, v0, v42
	v_add_co_ci_u32_e32 v9, vcc_lo, 0, v1, vcc_lo
	s_delay_alu instid0(VALU_DEP_2) | instskip(SKIP_1) | instid1(VALU_DEP_3)
	v_mul_lo_u32 v10, s15, v8
	v_mad_u64_u32 v[0:1], null, s14, v8, 0
	v_mul_lo_u32 v8, s14, v9
	s_delay_alu instid0(VALU_DEP_2) | instskip(NEXT) | instid1(VALU_DEP_2)
	v_sub_co_u32 v0, vcc_lo, v3, v0
	v_add3_u32 v1, v1, v8, v10
	s_delay_alu instid0(VALU_DEP_1) | instskip(NEXT) | instid1(VALU_DEP_1)
	v_sub_nc_u32_e32 v8, v2, v1
	v_subrev_co_ci_u32_e64 v3, s0, s15, v8, vcc_lo
	v_sub_co_ci_u32_e32 v1, vcc_lo, v2, v1, vcc_lo
	v_sub_co_u32 v2, vcc_lo, v0, s14
	s_delay_alu instid0(VALU_DEP_1) | instskip(SKIP_3) | instid1(VALU_DEP_3)
	v_subrev_co_ci_u32_e64 v8, s0, 0, v3, vcc_lo
	v_cmp_le_u32_e64 s0, s14, v0
	v_subrev_co_ci_u32_e32 v3, vcc_lo, s15, v3, vcc_lo
	v_cmp_le_u32_e32 vcc_lo, s15, v1
	v_cndmask_b32_e64 v9, 0, -1, s0
	v_cmp_le_u32_e64 s0, s14, v2
	v_cndmask_b32_e64 v18, 0, -1, vcc_lo
	v_cmp_eq_u32_e32 vcc_lo, s15, v8
	s_delay_alu instid0(VALU_DEP_3) | instskip(SKIP_1) | instid1(VALU_DEP_1)
	v_cndmask_b32_e64 v10, 0, -1, s0
	v_cmp_le_u32_e64 s0, s15, v8
	v_cndmask_b32_e64 v14, 0, -1, s0
	v_cmp_eq_u32_e64 s0, s15, v1
	s_delay_alu instid0(VALU_DEP_2) | instskip(SKIP_2) | instid1(VALU_DEP_3)
	v_cndmask_b32_e32 v10, v14, v10, vcc_lo
	v_sub_co_u32 v14, vcc_lo, v2, s14
	v_subrev_co_ci_u32_e32 v3, vcc_lo, 0, v3, vcc_lo
	v_cmp_ne_u32_e32 vcc_lo, 0, v10
	v_cndmask_b32_e64 v9, v18, v9, s0
	s_delay_alu instid0(VALU_DEP_3) | instskip(NEXT) | instid1(VALU_DEP_2)
	v_dual_cndmask_b32 v3, v8, v3 :: v_dual_cndmask_b32 v2, v2, v14
	v_cmp_ne_u32_e32 vcc_lo, 0, v9
	s_delay_alu instid0(VALU_DEP_2)
	v_dual_cndmask_b32 v9, v1, v3 :: v_dual_cndmask_b32 v8, v0, v2
                                        ; implicit-def: $vgpr0_vgpr1_vgpr2_vgpr3
.LBB33_54:                              ;   in Loop: Header=BB33_9 Depth=1
	s_and_not1_saveexec_b32 s0, s1
	s_cbranch_execz .LBB33_7
; %bb.55:                               ;   in Loop: Header=BB33_9 Depth=1
	v_cvt_f32_u32_e32 v0, s14
	s_sub_i32 s1, 0, s14
	v_mov_b32_e32 v9, v13
	s_delay_alu instid0(VALU_DEP_2) | instskip(SKIP_2) | instid1(VALU_DEP_1)
	v_rcp_iflag_f32_e32 v0, v0
	s_waitcnt_depctr 0xfff
	v_mul_f32_e32 v0, 0x4f7ffffe, v0
	v_cvt_u32_f32_e32 v0, v0
	s_delay_alu instid0(VALU_DEP_1) | instskip(NEXT) | instid1(VALU_DEP_1)
	v_mul_lo_u32 v1, s1, v0
	v_mul_hi_u32 v1, v0, v1
	s_delay_alu instid0(VALU_DEP_1) | instskip(NEXT) | instid1(VALU_DEP_1)
	v_add_nc_u32_e32 v0, v0, v1
	v_mul_hi_u32 v0, v3, v0
	s_delay_alu instid0(VALU_DEP_1) | instskip(NEXT) | instid1(VALU_DEP_1)
	v_mul_lo_u32 v0, v0, s14
	v_sub_nc_u32_e32 v0, v3, v0
	s_delay_alu instid0(VALU_DEP_1) | instskip(SKIP_1) | instid1(VALU_DEP_2)
	v_subrev_nc_u32_e32 v1, s14, v0
	v_cmp_le_u32_e32 vcc_lo, s14, v0
	v_cndmask_b32_e32 v0, v0, v1, vcc_lo
	s_delay_alu instid0(VALU_DEP_1) | instskip(SKIP_1) | instid1(VALU_DEP_2)
	v_subrev_nc_u32_e32 v1, s14, v0
	v_cmp_le_u32_e32 vcc_lo, s14, v0
	v_cndmask_b32_e32 v8, v0, v1, vcc_lo
	s_branch .LBB33_7
.LBB33_56:
	s_endpgm
.LBB33_57:
                                        ; implicit-def: $sgpr2_sgpr3
	s_branch .LBB33_4
	.section	.rodata,"a",@progbits
	.p2align	6, 0x0
	.amdhsa_kernel _ZN2at6native12_GLOBAL__N_143distribution_elementwise_grid_stride_kernelImLi2EZZZNS0_9templates4cuda21random_from_to_kernelIPNS_17CUDAGeneratorImplEEEvRNS_18TensorIteratorBaseEmlT_ENKUlvE_clEvENKUlvE7_clEvEUlP25hiprandStatePhilox4_32_10E_ZNS1_27distribution_nullary_kernelIN3c104HalfEm15HIP_vector_typeIyLj2EES7_SF_ZZZNS5_IS7_EEvS9_mlSA_ENKSB_clEvENKSC_clEvEUlmE_EEvS9_T2_RKT3_T4_EUlimE0_EEvlNS_15PhiloxCudaStateET1_SM_
		.amdhsa_group_segment_fixed_size 0
		.amdhsa_private_segment_fixed_size 0
		.amdhsa_kernarg_size 592
		.amdhsa_user_sgpr_count 15
		.amdhsa_user_sgpr_dispatch_ptr 0
		.amdhsa_user_sgpr_queue_ptr 0
		.amdhsa_user_sgpr_kernarg_segment_ptr 1
		.amdhsa_user_sgpr_dispatch_id 0
		.amdhsa_user_sgpr_private_segment_size 0
		.amdhsa_wavefront_size32 1
		.amdhsa_uses_dynamic_stack 0
		.amdhsa_enable_private_segment 0
		.amdhsa_system_sgpr_workgroup_id_x 1
		.amdhsa_system_sgpr_workgroup_id_y 0
		.amdhsa_system_sgpr_workgroup_id_z 0
		.amdhsa_system_sgpr_workgroup_info 0
		.amdhsa_system_vgpr_workitem_id 0
		.amdhsa_next_free_vgpr 46
		.amdhsa_next_free_sgpr 56
		.amdhsa_reserve_vcc 1
		.amdhsa_float_round_mode_32 0
		.amdhsa_float_round_mode_16_64 0
		.amdhsa_float_denorm_mode_32 3
		.amdhsa_float_denorm_mode_16_64 3
		.amdhsa_dx10_clamp 1
		.amdhsa_ieee_mode 1
		.amdhsa_fp16_overflow 0
		.amdhsa_workgroup_processor_mode 1
		.amdhsa_memory_ordered 1
		.amdhsa_forward_progress 0
		.amdhsa_shared_vgpr_count 0
		.amdhsa_exception_fp_ieee_invalid_op 0
		.amdhsa_exception_fp_denorm_src 0
		.amdhsa_exception_fp_ieee_div_zero 0
		.amdhsa_exception_fp_ieee_overflow 0
		.amdhsa_exception_fp_ieee_underflow 0
		.amdhsa_exception_fp_ieee_inexact 0
		.amdhsa_exception_int_div_zero 0
	.end_amdhsa_kernel
	.section	.text._ZN2at6native12_GLOBAL__N_143distribution_elementwise_grid_stride_kernelImLi2EZZZNS0_9templates4cuda21random_from_to_kernelIPNS_17CUDAGeneratorImplEEEvRNS_18TensorIteratorBaseEmlT_ENKUlvE_clEvENKUlvE7_clEvEUlP25hiprandStatePhilox4_32_10E_ZNS1_27distribution_nullary_kernelIN3c104HalfEm15HIP_vector_typeIyLj2EES7_SF_ZZZNS5_IS7_EEvS9_mlSA_ENKSB_clEvENKSC_clEvEUlmE_EEvS9_T2_RKT3_T4_EUlimE0_EEvlNS_15PhiloxCudaStateET1_SM_,"axG",@progbits,_ZN2at6native12_GLOBAL__N_143distribution_elementwise_grid_stride_kernelImLi2EZZZNS0_9templates4cuda21random_from_to_kernelIPNS_17CUDAGeneratorImplEEEvRNS_18TensorIteratorBaseEmlT_ENKUlvE_clEvENKUlvE7_clEvEUlP25hiprandStatePhilox4_32_10E_ZNS1_27distribution_nullary_kernelIN3c104HalfEm15HIP_vector_typeIyLj2EES7_SF_ZZZNS5_IS7_EEvS9_mlSA_ENKSB_clEvENKSC_clEvEUlmE_EEvS9_T2_RKT3_T4_EUlimE0_EEvlNS_15PhiloxCudaStateET1_SM_,comdat
.Lfunc_end33:
	.size	_ZN2at6native12_GLOBAL__N_143distribution_elementwise_grid_stride_kernelImLi2EZZZNS0_9templates4cuda21random_from_to_kernelIPNS_17CUDAGeneratorImplEEEvRNS_18TensorIteratorBaseEmlT_ENKUlvE_clEvENKUlvE7_clEvEUlP25hiprandStatePhilox4_32_10E_ZNS1_27distribution_nullary_kernelIN3c104HalfEm15HIP_vector_typeIyLj2EES7_SF_ZZZNS5_IS7_EEvS9_mlSA_ENKSB_clEvENKSC_clEvEUlmE_EEvS9_T2_RKT3_T4_EUlimE0_EEvlNS_15PhiloxCudaStateET1_SM_, .Lfunc_end33-_ZN2at6native12_GLOBAL__N_143distribution_elementwise_grid_stride_kernelImLi2EZZZNS0_9templates4cuda21random_from_to_kernelIPNS_17CUDAGeneratorImplEEEvRNS_18TensorIteratorBaseEmlT_ENKUlvE_clEvENKUlvE7_clEvEUlP25hiprandStatePhilox4_32_10E_ZNS1_27distribution_nullary_kernelIN3c104HalfEm15HIP_vector_typeIyLj2EES7_SF_ZZZNS5_IS7_EEvS9_mlSA_ENKSB_clEvENKSC_clEvEUlmE_EEvS9_T2_RKT3_T4_EUlimE0_EEvlNS_15PhiloxCudaStateET1_SM_
                                        ; -- End function
	.section	.AMDGPU.csdata,"",@progbits
; Kernel info:
; codeLenInByte = 5808
; NumSgprs: 58
; NumVgprs: 46
; ScratchSize: 0
; MemoryBound: 0
; FloatMode: 240
; IeeeMode: 1
; LDSByteSize: 0 bytes/workgroup (compile time only)
; SGPRBlocks: 7
; VGPRBlocks: 5
; NumSGPRsForWavesPerEU: 58
; NumVGPRsForWavesPerEU: 46
; Occupancy: 16
; WaveLimiterHint : 1
; COMPUTE_PGM_RSRC2:SCRATCH_EN: 0
; COMPUTE_PGM_RSRC2:USER_SGPR: 15
; COMPUTE_PGM_RSRC2:TRAP_HANDLER: 0
; COMPUTE_PGM_RSRC2:TGID_X_EN: 1
; COMPUTE_PGM_RSRC2:TGID_Y_EN: 0
; COMPUTE_PGM_RSRC2:TGID_Z_EN: 0
; COMPUTE_PGM_RSRC2:TIDIG_COMP_CNT: 0
	.section	.text._ZN2at6native12_GLOBAL__N_143distribution_elementwise_grid_stride_kernelIjLi4EZZZNS0_9templates4cuda21random_from_to_kernelIPNS_17CUDAGeneratorImplEEEvRNS_18TensorIteratorBaseEmlT_ENKUlvE_clEvENKUlvE7_clEvEUlP25hiprandStatePhilox4_32_10E0_ZNS1_27distribution_nullary_kernelIN3c104HalfEj15HIP_vector_typeIjLj4EES7_SF_ZZZNS5_IS7_EEvS9_mlSA_ENKSB_clEvENKSC_clEvEUljE_EEvS9_T2_RKT3_T4_EUlijE_EEvlNS_15PhiloxCudaStateET1_SM_,"axG",@progbits,_ZN2at6native12_GLOBAL__N_143distribution_elementwise_grid_stride_kernelIjLi4EZZZNS0_9templates4cuda21random_from_to_kernelIPNS_17CUDAGeneratorImplEEEvRNS_18TensorIteratorBaseEmlT_ENKUlvE_clEvENKUlvE7_clEvEUlP25hiprandStatePhilox4_32_10E0_ZNS1_27distribution_nullary_kernelIN3c104HalfEj15HIP_vector_typeIjLj4EES7_SF_ZZZNS5_IS7_EEvS9_mlSA_ENKSB_clEvENKSC_clEvEUljE_EEvS9_T2_RKT3_T4_EUlijE_EEvlNS_15PhiloxCudaStateET1_SM_,comdat
	.globl	_ZN2at6native12_GLOBAL__N_143distribution_elementwise_grid_stride_kernelIjLi4EZZZNS0_9templates4cuda21random_from_to_kernelIPNS_17CUDAGeneratorImplEEEvRNS_18TensorIteratorBaseEmlT_ENKUlvE_clEvENKUlvE7_clEvEUlP25hiprandStatePhilox4_32_10E0_ZNS1_27distribution_nullary_kernelIN3c104HalfEj15HIP_vector_typeIjLj4EES7_SF_ZZZNS5_IS7_EEvS9_mlSA_ENKSB_clEvENKSC_clEvEUljE_EEvS9_T2_RKT3_T4_EUlijE_EEvlNS_15PhiloxCudaStateET1_SM_ ; -- Begin function _ZN2at6native12_GLOBAL__N_143distribution_elementwise_grid_stride_kernelIjLi4EZZZNS0_9templates4cuda21random_from_to_kernelIPNS_17CUDAGeneratorImplEEEvRNS_18TensorIteratorBaseEmlT_ENKUlvE_clEvENKUlvE7_clEvEUlP25hiprandStatePhilox4_32_10E0_ZNS1_27distribution_nullary_kernelIN3c104HalfEj15HIP_vector_typeIjLj4EES7_SF_ZZZNS5_IS7_EEvS9_mlSA_ENKSB_clEvENKSC_clEvEUljE_EEvS9_T2_RKT3_T4_EUlijE_EEvlNS_15PhiloxCudaStateET1_SM_
	.p2align	8
	.type	_ZN2at6native12_GLOBAL__N_143distribution_elementwise_grid_stride_kernelIjLi4EZZZNS0_9templates4cuda21random_from_to_kernelIPNS_17CUDAGeneratorImplEEEvRNS_18TensorIteratorBaseEmlT_ENKUlvE_clEvENKUlvE7_clEvEUlP25hiprandStatePhilox4_32_10E0_ZNS1_27distribution_nullary_kernelIN3c104HalfEj15HIP_vector_typeIjLj4EES7_SF_ZZZNS5_IS7_EEvS9_mlSA_ENKSB_clEvENKSC_clEvEUljE_EEvS9_T2_RKT3_T4_EUlijE_EEvlNS_15PhiloxCudaStateET1_SM_,@function
_ZN2at6native12_GLOBAL__N_143distribution_elementwise_grid_stride_kernelIjLi4EZZZNS0_9templates4cuda21random_from_to_kernelIPNS_17CUDAGeneratorImplEEEvRNS_18TensorIteratorBaseEmlT_ENKUlvE_clEvENKUlvE7_clEvEUlP25hiprandStatePhilox4_32_10E0_ZNS1_27distribution_nullary_kernelIN3c104HalfEj15HIP_vector_typeIjLj4EES7_SF_ZZZNS5_IS7_EEvS9_mlSA_ENKSB_clEvENKSC_clEvEUljE_EEvS9_T2_RKT3_T4_EUlijE_EEvlNS_15PhiloxCudaStateET1_SM_: ; @_ZN2at6native12_GLOBAL__N_143distribution_elementwise_grid_stride_kernelIjLi4EZZZNS0_9templates4cuda21random_from_to_kernelIPNS_17CUDAGeneratorImplEEEvRNS_18TensorIteratorBaseEmlT_ENKUlvE_clEvENKUlvE7_clEvEUlP25hiprandStatePhilox4_32_10E0_ZNS1_27distribution_nullary_kernelIN3c104HalfEj15HIP_vector_typeIjLj4EES7_SF_ZZZNS5_IS7_EEvS9_mlSA_ENKSB_clEvENKSC_clEvEUljE_EEvS9_T2_RKT3_T4_EUlijE_EEvlNS_15PhiloxCudaStateET1_SM_
; %bb.0:
	s_clause 0x2
	s_load_b64 s[8:9], s[0:1], 0x10
	s_load_b128 s[4:7], s[0:1], 0x0
	s_load_b32 s2, s[0:1], 0x20
	s_waitcnt lgkmcnt(0)
	v_dual_mov_b32 v2, s8 :: v_dual_mov_b32 v3, s9
	v_dual_mov_b32 v11, s7 :: v_dual_mov_b32 v10, s6
	s_bitcmp0_b32 s2, 0
	s_mov_b32 s2, 0
	s_cbranch_scc1 .LBB34_2
; %bb.1:
	v_dual_mov_b32 v1, s8 :: v_dual_mov_b32 v2, s9
	v_dual_mov_b32 v4, s6 :: v_dual_mov_b32 v5, s7
	s_load_b64 s[6:7], s[0:1], 0x18
	flat_load_b64 v[2:3], v[1:2]
	flat_load_b64 v[10:11], v[4:5]
	s_waitcnt vmcnt(1) lgkmcnt(0)
	v_add_co_u32 v2, vcc_lo, v2, s6
	v_add_co_ci_u32_e32 v3, vcc_lo, s7, v3, vcc_lo
.LBB34_2:
	s_clause 0x1
	s_load_b32 s3, s[0:1], 0x5c
	s_load_b32 s16, s[0:1], 0x50
	s_waitcnt lgkmcnt(0)
	s_and_b32 s14, s3, 0xffff
	s_add_u32 s6, s4, -1
	s_mul_i32 s10, s16, s14
	s_addc_u32 s3, s5, -1
	s_lshl_b32 s11, s10, 2
	s_cmp_lg_u64 s[2:3], 0
	s_cbranch_scc0 .LBB34_35
; %bb.3:
	v_cvt_f32_ubyte0_e32 v1, 0
	v_cvt_f32_u32_e32 v4, s11
	s_sub_u32 s8, 0, s11
	s_subb_u32 s9, 0, 0
	s_delay_alu instid0(VALU_DEP_1) | instskip(NEXT) | instid1(VALU_DEP_1)
	v_fmamk_f32 v1, v1, 0x4f800000, v4
	v_rcp_f32_e32 v1, v1
	s_waitcnt_depctr 0xfff
	v_mul_f32_e32 v1, 0x5f7ffffc, v1
	s_delay_alu instid0(VALU_DEP_1) | instskip(NEXT) | instid1(VALU_DEP_1)
	v_mul_f32_e32 v4, 0x2f800000, v1
	v_trunc_f32_e32 v4, v4
	s_delay_alu instid0(VALU_DEP_1) | instskip(SKIP_1) | instid1(VALU_DEP_2)
	v_fmamk_f32 v1, v4, 0xcf800000, v1
	v_cvt_u32_f32_e32 v4, v4
	v_cvt_u32_f32_e32 v1, v1
	s_delay_alu instid0(VALU_DEP_2) | instskip(NEXT) | instid1(VALU_DEP_2)
	v_readfirstlane_b32 s2, v4
	v_readfirstlane_b32 s7, v1
	s_delay_alu instid0(VALU_DEP_2) | instskip(NEXT) | instid1(VALU_DEP_1)
	s_mul_i32 s12, s8, s2
	s_mul_hi_u32 s17, s8, s7
	s_mul_i32 s13, s9, s7
	s_add_i32 s12, s17, s12
	s_mul_i32 s18, s8, s7
	s_add_i32 s12, s12, s13
	s_mul_hi_u32 s17, s7, s18
	s_mul_hi_u32 s19, s2, s18
	s_mul_i32 s13, s2, s18
	s_mul_hi_u32 s18, s7, s12
	s_mul_i32 s7, s7, s12
	s_mul_hi_u32 s20, s2, s12
	s_add_u32 s7, s17, s7
	s_addc_u32 s17, 0, s18
	s_add_u32 s7, s7, s13
	s_mul_i32 s12, s2, s12
	s_addc_u32 s7, s17, s19
	s_addc_u32 s13, s20, 0
	s_add_u32 s7, s7, s12
	s_addc_u32 s12, 0, s13
	v_add_co_u32 v1, s7, v1, s7
	s_delay_alu instid0(VALU_DEP_1) | instskip(SKIP_1) | instid1(VALU_DEP_1)
	s_cmp_lg_u32 s7, 0
	s_addc_u32 s2, s2, s12
	v_readfirstlane_b32 s7, v1
	s_mul_i32 s12, s8, s2
	s_delay_alu instid0(VALU_DEP_1)
	s_mul_hi_u32 s13, s8, s7
	s_mul_i32 s9, s9, s7
	s_add_i32 s12, s13, s12
	s_mul_i32 s8, s8, s7
	s_add_i32 s12, s12, s9
	s_mul_hi_u32 s13, s2, s8
	s_mul_i32 s17, s2, s8
	s_mul_hi_u32 s8, s7, s8
	s_mul_hi_u32 s18, s7, s12
	s_mul_i32 s7, s7, s12
	s_mul_hi_u32 s9, s2, s12
	s_add_u32 s7, s8, s7
	s_addc_u32 s8, 0, s18
	s_add_u32 s7, s7, s17
	s_mul_i32 s12, s2, s12
	s_addc_u32 s7, s8, s13
	s_addc_u32 s8, s9, 0
	s_add_u32 s7, s7, s12
	s_addc_u32 s8, 0, s8
	v_add_co_u32 v1, s7, v1, s7
	s_delay_alu instid0(VALU_DEP_1) | instskip(SKIP_2) | instid1(VALU_DEP_1)
	s_cmp_lg_u32 s7, 0
	s_addc_u32 s7, s2, s8
	s_ashr_i32 s8, s3, 31
	v_readfirstlane_b32 s12, v1
	s_add_u32 s2, s6, s8
	s_mov_b32 s9, s8
	s_addc_u32 s3, s3, s8
	s_delay_alu instid0(SALU_CYCLE_1) | instskip(NEXT) | instid1(SALU_CYCLE_1)
	s_xor_b64 s[2:3], s[2:3], s[8:9]
	s_mul_i32 s17, s2, s7
	s_mul_hi_u32 s18, s2, s12
	s_mul_hi_u32 s13, s2, s7
	s_mul_hi_u32 s20, s3, s12
	s_mul_i32 s12, s3, s12
	s_add_u32 s17, s18, s17
	s_addc_u32 s13, 0, s13
	s_mul_hi_u32 s19, s3, s7
	s_add_u32 s12, s17, s12
	s_mul_i32 s7, s3, s7
	s_addc_u32 s12, s13, s20
	s_addc_u32 s13, s19, 0
	s_add_u32 s7, s12, s7
	s_addc_u32 s12, 0, s13
	s_mul_i32 s17, s11, s7
	s_add_u32 s13, s7, 1
	v_sub_co_u32 v1, s2, s2, s17
	s_mul_hi_u32 s17, s11, s7
	s_addc_u32 s18, s12, 0
	s_mul_i32 s19, s11, s12
	s_delay_alu instid0(VALU_DEP_1)
	v_sub_co_u32 v4, s20, v1, s11
	s_add_u32 s21, s7, 2
	s_addc_u32 s22, s12, 0
	s_add_i32 s17, s17, s19
	s_cmp_lg_u32 s2, 0
	v_readfirstlane_b32 s2, v4
	s_subb_u32 s3, s3, s17
	s_cmp_lg_u32 s20, 0
	s_subb_u32 s17, s3, 0
	s_delay_alu instid0(VALU_DEP_1) | instskip(SKIP_4) | instid1(SALU_CYCLE_1)
	s_cmp_ge_u32 s2, s11
	s_cselect_b32 s2, -1, 0
	s_cmp_eq_u32 s17, 0
	v_readfirstlane_b32 s17, v1
	s_cselect_b32 s2, s2, -1
	s_cmp_lg_u32 s2, 0
	s_cselect_b32 s2, s21, s13
	s_cselect_b32 s13, s22, s18
	s_cmp_ge_u32 s17, s11
	s_cselect_b32 s17, -1, 0
	s_cmp_eq_u32 s3, 0
	s_cselect_b32 s3, s17, -1
	s_delay_alu instid0(SALU_CYCLE_1) | instskip(SKIP_2) | instid1(SALU_CYCLE_1)
	s_cmp_lg_u32 s3, 0
	s_cselect_b32 s3, s13, s12
	s_cselect_b32 s2, s2, s7
	s_xor_b64 s[2:3], s[2:3], s[8:9]
	s_delay_alu instid0(SALU_CYCLE_1)
	s_sub_u32 s2, s2, s8
	s_subb_u32 s3, s3, s8
	s_cbranch_execnz .LBB34_5
.LBB34_4:
	v_cvt_f32_u32_e32 v1, s11
	s_sub_i32 s3, 0, s11
	s_delay_alu instid0(VALU_DEP_1) | instskip(SKIP_2) | instid1(VALU_DEP_1)
	v_rcp_iflag_f32_e32 v1, v1
	s_waitcnt_depctr 0xfff
	v_mul_f32_e32 v1, 0x4f7ffffe, v1
	v_cvt_u32_f32_e32 v1, v1
	s_delay_alu instid0(VALU_DEP_1) | instskip(NEXT) | instid1(VALU_DEP_1)
	v_readfirstlane_b32 s2, v1
	s_mul_i32 s3, s3, s2
	s_delay_alu instid0(SALU_CYCLE_1) | instskip(NEXT) | instid1(SALU_CYCLE_1)
	s_mul_hi_u32 s3, s2, s3
	s_add_i32 s2, s2, s3
	s_delay_alu instid0(SALU_CYCLE_1) | instskip(NEXT) | instid1(SALU_CYCLE_1)
	s_mul_hi_u32 s2, s6, s2
	s_mul_i32 s3, s2, s11
	s_delay_alu instid0(SALU_CYCLE_1)
	s_sub_i32 s3, s6, s3
	s_add_i32 s6, s2, 1
	s_sub_i32 s7, s3, s11
	s_cmp_ge_u32 s3, s11
	s_cselect_b32 s2, s6, s2
	s_cselect_b32 s3, s7, s3
	s_add_i32 s6, s2, 1
	s_cmp_ge_u32 s3, s11
	s_mov_b32 s3, 0
	s_cselect_b32 s2, s6, s2
.LBB34_5:
	v_mov_b32_e32 v1, 0
	s_add_u32 s2, s2, 1
	s_addc_u32 s3, s3, 0
	s_mul_hi_u32 s6, s10, s2
	s_mul_i32 s3, s10, s3
	v_mad_u64_u32 v[12:13], null, s14, s15, v[0:1]
	s_mul_hi_u32 s7, s16, s14
	s_add_i32 s3, s6, s3
	s_mul_i32 s7, s7, s2
	s_mul_i32 s2, s10, s2
	s_add_i32 s3, s3, s7
	s_delay_alu instid0(SALU_CYCLE_1)
	s_lshl_b64 s[6:7], s[2:3], 2
	s_mov_b32 s2, exec_lo
	v_cmpx_gt_i64_e64 s[6:7], v[12:13]
	s_cbranch_execz .LBB34_34
; %bb.6:
	v_alignbit_b32 v16, v3, v2, 2
	v_mad_u64_u32 v[6:7], null, 0xcd9e8d57, v12, 0
	v_lshrrev_b32_e32 v17, 2, v3
	s_waitcnt vmcnt(0)
	v_dual_mov_b32 v37, v11 :: v_dual_and_b32 v28, 3, v2
	v_mad_u64_u32 v[4:5], null, 0xd2511f53, v16, 0
	v_add_co_u32 v19, null, 0x9e3779b9, v10
	s_delay_alu instid0(VALU_DEP_3) | instskip(SKIP_1) | instid1(VALU_DEP_4)
	v_add_co_u32 v18, null, 0xbb67ae85, v37
	v_add_co_u32 v20, null, 0x3c6ef372, v10
	v_xor_b32_e32 v3, v5, v11
	v_xor3_b32 v5, v10, v7, v17
	v_add_co_u32 v21, null, 0x76cf5d0a, v37
	v_add_co_u32 v22, null, 0x32370b8f, v37
	s_delay_alu instid0(VALU_DEP_4) | instskip(NEXT) | instid1(VALU_DEP_4)
	v_xor_b32_e32 v3, v3, v13
	v_mad_u64_u32 v[7:8], null, 0xd2511f53, v5, 0
	v_add_co_u32 v23, null, 0xdaa66d2b, v10
	s_delay_alu instid0(VALU_DEP_3) | instskip(SKIP_1) | instid1(VALU_DEP_4)
	v_mad_u64_u32 v[14:15], null, 0xcd9e8d57, v3, 0
	v_add_co_u32 v24, null, 0x78dde6e4, v10
	v_xor3_b32 v5, v18, v8, v4
	v_add_co_u32 v25, null, 0xed9eba14, v37
	v_add_co_u32 v26, null, 0xa9066899, v37
	v_xor3_b32 v8, v19, v15, v6
	s_delay_alu instid0(VALU_DEP_4) | instskip(SKIP_1) | instid1(VALU_DEP_3)
	v_mad_u64_u32 v[3:4], null, 0xcd9e8d57, v5, 0
	v_add_co_u32 v27, null, 0x1715609d, v10
	v_mad_u64_u32 v[5:6], null, 0xd2511f53, v8, 0
	v_add_co_u32 v32, null, 0xb54cda56, v10
	s_delay_alu instid0(VALU_DEP_4) | instskip(SKIP_3) | instid1(VALU_DEP_4)
	v_xor3_b32 v4, v20, v4, v14
	v_add_co_u32 v33, null, 0x646e171e, v37
	v_add_co_u32 v31, null, 0x5384540f, v10
	v_xor3_b32 v14, v21, v6, v7
	v_mad_u64_u32 v[6:7], null, 0xd2511f53, v4, 0
	v_add_co_u32 v35, null, 0x1fd5c5a3, v37
	s_delay_alu instid0(VALU_DEP_3) | instskip(SKIP_4) | instid1(VALU_DEP_4)
	v_mad_u64_u32 v[8:9], null, 0xcd9e8d57, v14, 0
	s_clause 0x1
	s_load_b64 s[8:9], s[0:1], 0x30
	s_load_b32 s17, s[0:1], 0x38
	v_add_co_u32 v34, null, 0xf1bbcdc8, v10
	v_xor3_b32 v5, v22, v7, v5
	v_add_co_u32 v37, null, 0xdb3d7428, v37
	s_delay_alu instid0(VALU_DEP_4) | instskip(SKIP_1) | instid1(VALU_DEP_3)
	v_xor3_b32 v7, v23, v9, v3
	s_load_b128 s[0:3], s[0:1], 0x40
	v_mad_u64_u32 v[3:4], null, 0xcd9e8d57, v5, 0
	s_mul_i32 s18, s16, 3
	s_delay_alu instid0(VALU_DEP_2) | instskip(SKIP_3) | instid1(VALU_DEP_2)
	v_mad_u64_u32 v[14:15], null, 0xd2511f53, v7, 0
	s_lshl_b32 s19, s16, 1
	s_add_i32 s20, s15, s16
	s_add_i32 s18, s15, s18
	v_xor3_b32 v7, v24, v4, v8
	v_mad_u64_u32 v[41:42], null, s20, s14, v[0:1]
	s_delay_alu instid0(VALU_DEP_3) | instskip(SKIP_1) | instid1(VALU_DEP_4)
	v_xor3_b32 v8, v25, v15, v6
	v_mad_u64_u32 v[39:40], null, s18, s14, v[0:1]
	v_mad_u64_u32 v[4:5], null, 0xd2511f53, v7, 0
	s_delay_alu instid0(VALU_DEP_3)
	v_mad_u64_u32 v[6:7], null, 0xcd9e8d57, v8, 0
	v_dual_mov_b32 v36, v12 :: v_dual_add_nc_u32 v29, 0x8ff34781, v10
	v_add_nc_u32_e32 v30, 0x96a522ad, v11
	s_waitcnt lgkmcnt(0)
	v_mul_lo_u32 v39, s17, v39
	v_xor3_b32 v5, v26, v5, v14
	v_mul_lo_u32 v41, s17, v41
	v_xor3_b32 v9, v27, v7, v3
	s_mov_b32 s12, 0
	s_lshl_b32 s13, s10, 1
	v_mad_u64_u32 v[2:3], null, 0xcd9e8d57, v5, 0
	s_delay_alu instid0(VALU_DEP_2) | instskip(NEXT) | instid1(VALU_DEP_2)
	v_mad_u64_u32 v[7:8], null, 0xd2511f53, v9, 0
	v_xor3_b32 v6, v32, v3, v6
	s_delay_alu instid0(VALU_DEP_2) | instskip(SKIP_1) | instid1(VALU_DEP_3)
	v_xor3_b32 v14, v33, v8, v4
	v_mad_u64_u32 v[3:4], null, s15, s14, v[0:1]
	v_mad_u64_u32 v[4:5], null, 0xd2511f53, v6, 0
	s_delay_alu instid0(VALU_DEP_3) | instskip(SKIP_1) | instid1(VALU_DEP_3)
	v_mad_u64_u32 v[8:9], null, 0xcd9e8d57, v14, 0
	s_add_i32 s15, s15, s19
	v_mul_lo_u32 v38, s17, v3
	s_delay_alu instid0(VALU_DEP_3) | instskip(NEXT) | instid1(VALU_DEP_3)
	v_xor3_b32 v7, v35, v5, v7
	v_xor3_b32 v2, v31, v9, v2
	s_delay_alu instid0(VALU_DEP_2) | instskip(NEXT) | instid1(VALU_DEP_2)
	v_mad_u64_u32 v[5:6], null, 0xcd9e8d57, v7, 0
	v_mad_u64_u32 v[14:15], null, 0xd2511f53, v2, 0
	s_delay_alu instid0(VALU_DEP_2) | instskip(SKIP_1) | instid1(VALU_DEP_3)
	v_xor3_b32 v2, v34, v6, v8
	v_mad_u64_u32 v[8:9], null, s15, s14, v[0:1]
	v_xor3_b32 v4, v37, v15, v4
	s_mul_i32 s15, s16, s17
	s_delay_alu instid0(VALU_DEP_3) | instskip(SKIP_1) | instid1(VALU_DEP_2)
	v_mad_u64_u32 v[42:43], null, 0xd2511f53, v2, 0
	s_mul_i32 s15, s15, s14
	v_mad_u64_u32 v[6:7], null, 0xcd9e8d57, v4, 0
	s_delay_alu instid0(VALU_DEP_4) | instskip(SKIP_2) | instid1(VALU_DEP_3)
	v_mul_lo_u32 v40, s17, v8
	s_mul_i32 s14, s10, 3
	s_lshl_b32 s15, s15, 2
	v_mov_b32_e32 v8, v42
	v_mov_b32_e32 v42, v13
	s_mov_b32 s16, 0
	s_delay_alu instid0(VALU_DEP_4)
	v_xor3_b32 v5, v7, v5, v29
	v_xor3_b32 v7, v43, v14, v30
	s_branch .LBB34_9
.LBB34_7:                               ;   in Loop: Header=BB34_9 Depth=1
	s_or_b32 exec_lo, exec_lo, s18
	s_delay_alu instid0(VALU_DEP_1) | instskip(SKIP_1) | instid1(VALU_DEP_1)
	v_add_co_u32 v5, vcc_lo, v0, s2
	v_add_co_ci_u32_e32 v6, vcc_lo, s3, v1, vcc_lo
	v_xor_b32_e32 v0, v5, v6
	v_cls_i32_e32 v7, v6
	s_delay_alu instid0(VALU_DEP_2) | instskip(NEXT) | instid1(VALU_DEP_2)
	v_ashrrev_i32_e32 v0, 31, v0
	v_add_nc_u32_e32 v7, -1, v7
	s_delay_alu instid0(VALU_DEP_2) | instskip(NEXT) | instid1(VALU_DEP_1)
	v_add_nc_u32_e32 v0, 32, v0
	v_min_u32_e32 v0, v7, v0
	s_delay_alu instid0(VALU_DEP_1) | instskip(SKIP_1) | instid1(VALU_DEP_2)
	v_lshlrev_b64 v[5:6], v0, v[5:6]
	v_sub_nc_u32_e32 v0, 32, v0
	v_min_u32_e32 v5, 1, v5
	s_delay_alu instid0(VALU_DEP_1) | instskip(SKIP_1) | instid1(VALU_DEP_2)
	v_or_b32_e32 v5, v6, v5
	v_add_nc_u32_e32 v6, s16, v39
	v_cvt_f32_i32_e32 v5, v5
	s_delay_alu instid0(VALU_DEP_2) | instskip(NEXT) | instid1(VALU_DEP_2)
	v_ashrrev_i32_e32 v7, 31, v6
	v_ldexp_f32 v0, v5, v0
	v_add_co_u32 v5, vcc_lo, s8, v6
	s_delay_alu instid0(VALU_DEP_3) | instskip(NEXT) | instid1(VALU_DEP_3)
	v_add_co_ci_u32_e32 v6, vcc_lo, s9, v7, vcc_lo
	v_cvt_f16_f32_e32 v0, v0
	global_store_b16 v[5:6], v0, off
.LBB34_8:                               ;   in Loop: Header=BB34_9 Depth=1
	s_or_b32 exec_lo, exec_lo, s17
	v_add_co_u32 v12, vcc_lo, v12, s11
	v_add_co_ci_u32_e32 v13, vcc_lo, 0, v13, vcc_lo
	v_mov_b32_e32 v5, v14
	s_add_i32 s16, s16, s15
	s_waitcnt_vscnt null, 0x0
	s_delay_alu instid0(VALU_DEP_2)
	v_cmp_le_i64_e32 vcc_lo, s[6:7], v[12:13]
	s_barrier
	v_mov_b32_e32 v8, v5
	v_dual_mov_b32 v7, v4 :: v_dual_mov_b32 v6, v3
	v_mov_b32_e32 v5, v2
	s_or_b32 s12, vcc_lo, s12
	buffer_gl0_inv
	s_and_not1_b32 exec_lo, exec_lo, s12
	s_cbranch_execz .LBB34_34
.LBB34_9:                               ; =>This Inner Loop Header: Depth=1
	v_add_co_u32 v16, vcc_lo, v16, 1
	s_delay_alu instid0(VALU_DEP_1) | instskip(SKIP_1) | instid1(VALU_DEP_3)
	v_cndmask_b32_e64 v0, 0, 1, vcc_lo
	v_add_co_ci_u32_e32 v17, vcc_lo, 0, v17, vcc_lo
	v_mad_u64_u32 v[2:3], null, 0xd2511f53, v16, 0
	s_mov_b32 s17, exec_lo
	s_delay_alu instid0(VALU_DEP_2) | instskip(SKIP_1) | instid1(VALU_DEP_1)
	v_cmp_eq_u32_e32 vcc_lo, 0, v17
	v_cndmask_b32_e32 v0, 0, v0, vcc_lo
	v_add_nc_u32_e32 v36, v0, v36
	s_delay_alu instid0(VALU_DEP_1) | instskip(SKIP_2) | instid1(VALU_DEP_2)
	v_cmp_eq_u32_e32 vcc_lo, 0, v36
	v_mad_u64_u32 v[14:15], null, 0xcd9e8d57, v36, 0
	v_cndmask_b32_e32 v0, 0, v0, vcc_lo
	v_xor3_b32 v9, v15, v10, v17
	s_delay_alu instid0(VALU_DEP_2) | instskip(SKIP_1) | instid1(VALU_DEP_3)
	v_add_nc_u32_e32 v42, v0, v42
	v_xor_b32_e32 v0, v3, v11
	v_mad_u64_u32 v[3:4], null, 0xd2511f53, v9, 0
	s_delay_alu instid0(VALU_DEP_2) | instskip(NEXT) | instid1(VALU_DEP_1)
	v_xor_b32_e32 v0, v42, v0
	v_mad_u64_u32 v[43:44], null, 0xcd9e8d57, v0, 0
	s_delay_alu instid0(VALU_DEP_3) | instskip(NEXT) | instid1(VALU_DEP_2)
	v_xor3_b32 v0, v18, v4, v2
	v_xor3_b32 v2, v19, v44, v14
	s_delay_alu instid0(VALU_DEP_2) | instskip(NEXT) | instid1(VALU_DEP_2)
	v_mad_u64_u32 v[14:15], null, 0xcd9e8d57, v0, 0
	v_mad_u64_u32 v[44:45], null, 0xd2511f53, v2, 0
	s_delay_alu instid0(VALU_DEP_2) | instskip(NEXT) | instid1(VALU_DEP_2)
	v_xor3_b32 v0, v20, v15, v43
	v_xor3_b32 v4, v21, v45, v3
	s_delay_alu instid0(VALU_DEP_2) | instskip(NEXT) | instid1(VALU_DEP_2)
	v_mad_u64_u32 v[2:3], null, 0xd2511f53, v0, 0
	v_mad_u64_u32 v[45:46], null, 0xcd9e8d57, v4, 0
	s_delay_alu instid0(VALU_DEP_2) | instskip(NEXT) | instid1(VALU_DEP_2)
	;; [unrolled: 6-line block ×8, first 2 shown]
	v_xor3_b32 v9, v15, v46, v30
	v_xor3_b32 v2, v4, v44, v29
	s_delay_alu instid0(VALU_DEP_2)
	v_mov_b32_e32 v4, v9
	v_cmpx_lt_i32_e32 1, v28
	s_xor_b32 s17, exec_lo, s17
	s_cbranch_execnz .LBB34_12
; %bb.10:                               ;   in Loop: Header=BB34_9 Depth=1
	s_and_not1_saveexec_b32 s17, s17
	s_cbranch_execnz .LBB34_17
.LBB34_11:                              ;   in Loop: Header=BB34_9 Depth=1
	s_or_b32 exec_lo, exec_lo, s17
	s_delay_alu instid0(SALU_CYCLE_1)
	s_mov_b32 s17, exec_lo
	v_cmpx_gt_i64_e64 s[4:5], v[12:13]
	s_cbranch_execnz .LBB34_20
	s_branch .LBB34_23
.LBB34_12:                              ;   in Loop: Header=BB34_9 Depth=1
	s_mov_b32 s18, exec_lo
	v_cmpx_lt_i32_e32 2, v28
	s_xor_b32 s18, exec_lo, s18
; %bb.13:                               ;   in Loop: Header=BB34_9 Depth=1
	v_dual_mov_b32 v6, v8 :: v_dual_mov_b32 v7, v2
	v_mov_b32_e32 v8, v3
	s_delay_alu instid0(VALU_DEP_2) | instskip(NEXT) | instid1(VALU_DEP_3)
	v_mov_b32_e32 v5, v6
	v_mov_b32_e32 v6, v7
	s_delay_alu instid0(VALU_DEP_3)
	v_mov_b32_e32 v7, v8
	v_mov_b32_e32 v8, v9
; %bb.14:                               ;   in Loop: Header=BB34_9 Depth=1
	s_and_not1_saveexec_b32 s18, s18
; %bb.15:                               ;   in Loop: Header=BB34_9 Depth=1
	s_delay_alu instid0(VALU_DEP_1)
	v_dual_mov_b32 v5, v7 :: v_dual_mov_b32 v6, v8
	v_dual_mov_b32 v7, v2 :: v_dual_mov_b32 v8, v3
; %bb.16:                               ;   in Loop: Header=BB34_9 Depth=1
	s_or_b32 exec_lo, exec_lo, s18
	s_and_not1_saveexec_b32 s17, s17
	s_cbranch_execz .LBB34_11
.LBB34_17:                              ;   in Loop: Header=BB34_9 Depth=1
	s_mov_b32 s18, exec_lo
	v_cmpx_eq_u32_e32 1, v28
; %bb.18:                               ;   in Loop: Header=BB34_9 Depth=1
	v_dual_mov_b32 v5, v6 :: v_dual_mov_b32 v6, v7
	v_dual_mov_b32 v7, v8 :: v_dual_mov_b32 v8, v2
; %bb.19:                               ;   in Loop: Header=BB34_9 Depth=1
	s_or_b32 exec_lo, exec_lo, s18
	s_delay_alu instid0(SALU_CYCLE_1) | instskip(NEXT) | instid1(SALU_CYCLE_1)
	s_or_b32 exec_lo, exec_lo, s17
	s_mov_b32 s17, exec_lo
	v_cmpx_gt_i64_e64 s[4:5], v[12:13]
	s_cbranch_execz .LBB34_23
.LBB34_20:                              ;   in Loop: Header=BB34_9 Depth=1
	v_mov_b32_e32 v0, v5
	s_mov_b32 s18, exec_lo
	s_delay_alu instid0(VALU_DEP_1)
	v_cmpx_le_u64_e64 s[0:1], v[0:1]
	s_cbranch_execz .LBB34_22
; %bb.21:                               ;   in Loop: Header=BB34_9 Depth=1
	v_cvt_f32_u32_e32 v5, s0
	s_sub_i32 s19, 0, s0
	s_delay_alu instid0(VALU_DEP_1) | instskip(SKIP_2) | instid1(VALU_DEP_1)
	v_rcp_iflag_f32_e32 v5, v5
	s_waitcnt_depctr 0xfff
	v_mul_f32_e32 v5, 0x4f7ffffe, v5
	v_cvt_u32_f32_e32 v5, v5
	s_delay_alu instid0(VALU_DEP_1) | instskip(NEXT) | instid1(VALU_DEP_1)
	v_mul_lo_u32 v9, s19, v5
	v_mul_hi_u32 v9, v5, v9
	s_delay_alu instid0(VALU_DEP_1) | instskip(NEXT) | instid1(VALU_DEP_1)
	v_add_nc_u32_e32 v5, v5, v9
	v_mul_hi_u32 v5, v0, v5
	s_delay_alu instid0(VALU_DEP_1) | instskip(NEXT) | instid1(VALU_DEP_1)
	v_mul_lo_u32 v5, v5, s0
	v_sub_nc_u32_e32 v0, v0, v5
	s_delay_alu instid0(VALU_DEP_1) | instskip(SKIP_1) | instid1(VALU_DEP_2)
	v_subrev_nc_u32_e32 v5, s0, v0
	v_cmp_le_u32_e32 vcc_lo, s0, v0
	v_cndmask_b32_e32 v0, v0, v5, vcc_lo
	s_delay_alu instid0(VALU_DEP_1) | instskip(SKIP_1) | instid1(VALU_DEP_2)
	v_subrev_nc_u32_e32 v5, s0, v0
	v_cmp_le_u32_e32 vcc_lo, s0, v0
	v_cndmask_b32_e32 v0, v0, v5, vcc_lo
.LBB34_22:                              ;   in Loop: Header=BB34_9 Depth=1
	s_or_b32 exec_lo, exec_lo, s18
	s_delay_alu instid0(VALU_DEP_1) | instskip(SKIP_2) | instid1(VALU_DEP_2)
	v_add_co_u32 v43, vcc_lo, v0, s2
	v_add_co_ci_u32_e32 v44, vcc_lo, s3, v1, vcc_lo
	v_add_nc_u32_e32 v9, s16, v38
	v_xor_b32_e32 v0, v43, v44
	v_cls_i32_e32 v5, v44
	s_delay_alu instid0(VALU_DEP_3) | instskip(NEXT) | instid1(VALU_DEP_3)
	v_ashrrev_i32_e32 v15, 31, v9
	v_ashrrev_i32_e32 v0, 31, v0
	s_delay_alu instid0(VALU_DEP_3) | instskip(NEXT) | instid1(VALU_DEP_2)
	v_add_nc_u32_e32 v5, -1, v5
	v_add_nc_u32_e32 v0, 32, v0
	s_delay_alu instid0(VALU_DEP_1) | instskip(NEXT) | instid1(VALU_DEP_1)
	v_min_u32_e32 v0, v5, v0
	v_lshlrev_b64 v[43:44], v0, v[43:44]
	v_sub_nc_u32_e32 v0, 32, v0
	s_delay_alu instid0(VALU_DEP_2) | instskip(SKIP_1) | instid1(VALU_DEP_2)
	v_min_u32_e32 v5, 1, v43
	v_add_co_u32 v43, vcc_lo, s8, v9
	v_or_b32_e32 v5, v44, v5
	v_add_co_ci_u32_e32 v44, vcc_lo, s9, v15, vcc_lo
	s_delay_alu instid0(VALU_DEP_2) | instskip(NEXT) | instid1(VALU_DEP_1)
	v_cvt_f32_i32_e32 v5, v5
	v_ldexp_f32 v0, v5, v0
	s_delay_alu instid0(VALU_DEP_1)
	v_cvt_f16_f32_e32 v0, v0
	global_store_b16 v[43:44], v0, off
.LBB34_23:                              ;   in Loop: Header=BB34_9 Depth=1
	s_or_b32 exec_lo, exec_lo, s17
	v_add_co_u32 v43, vcc_lo, s10, v12
	v_add_co_ci_u32_e32 v44, vcc_lo, 0, v13, vcc_lo
	s_mov_b32 s17, exec_lo
	s_delay_alu instid0(VALU_DEP_1)
	v_cmpx_gt_i64_e64 s[4:5], v[43:44]
	s_cbranch_execz .LBB34_27
; %bb.24:                               ;   in Loop: Header=BB34_9 Depth=1
	v_mov_b32_e32 v0, v6
	s_mov_b32 s18, exec_lo
	s_delay_alu instid0(VALU_DEP_1)
	v_cmpx_le_u64_e64 s[0:1], v[0:1]
	s_cbranch_execz .LBB34_26
; %bb.25:                               ;   in Loop: Header=BB34_9 Depth=1
	v_cvt_f32_u32_e32 v5, s0
	s_sub_i32 s19, 0, s0
	s_delay_alu instid0(VALU_DEP_1) | instskip(SKIP_2) | instid1(VALU_DEP_1)
	v_rcp_iflag_f32_e32 v5, v5
	s_waitcnt_depctr 0xfff
	v_mul_f32_e32 v5, 0x4f7ffffe, v5
	v_cvt_u32_f32_e32 v5, v5
	s_delay_alu instid0(VALU_DEP_1) | instskip(NEXT) | instid1(VALU_DEP_1)
	v_mul_lo_u32 v6, s19, v5
	v_mul_hi_u32 v6, v5, v6
	s_delay_alu instid0(VALU_DEP_1) | instskip(NEXT) | instid1(VALU_DEP_1)
	v_add_nc_u32_e32 v5, v5, v6
	v_mul_hi_u32 v5, v0, v5
	s_delay_alu instid0(VALU_DEP_1) | instskip(NEXT) | instid1(VALU_DEP_1)
	v_mul_lo_u32 v5, v5, s0
	v_sub_nc_u32_e32 v0, v0, v5
	s_delay_alu instid0(VALU_DEP_1) | instskip(SKIP_1) | instid1(VALU_DEP_2)
	v_subrev_nc_u32_e32 v5, s0, v0
	v_cmp_le_u32_e32 vcc_lo, s0, v0
	v_cndmask_b32_e32 v0, v0, v5, vcc_lo
	s_delay_alu instid0(VALU_DEP_1) | instskip(SKIP_1) | instid1(VALU_DEP_2)
	v_subrev_nc_u32_e32 v5, s0, v0
	v_cmp_le_u32_e32 vcc_lo, s0, v0
	v_cndmask_b32_e32 v0, v0, v5, vcc_lo
.LBB34_26:                              ;   in Loop: Header=BB34_9 Depth=1
	s_or_b32 exec_lo, exec_lo, s18
	s_delay_alu instid0(VALU_DEP_1) | instskip(SKIP_1) | instid1(VALU_DEP_1)
	v_add_co_u32 v5, vcc_lo, v0, s2
	v_add_co_ci_u32_e32 v6, vcc_lo, s3, v1, vcc_lo
	v_xor_b32_e32 v0, v5, v6
	v_cls_i32_e32 v9, v6
	s_delay_alu instid0(VALU_DEP_2) | instskip(NEXT) | instid1(VALU_DEP_2)
	v_ashrrev_i32_e32 v0, 31, v0
	v_add_nc_u32_e32 v9, -1, v9
	s_delay_alu instid0(VALU_DEP_2) | instskip(NEXT) | instid1(VALU_DEP_1)
	v_add_nc_u32_e32 v0, 32, v0
	v_min_u32_e32 v0, v9, v0
	s_delay_alu instid0(VALU_DEP_1) | instskip(SKIP_1) | instid1(VALU_DEP_2)
	v_lshlrev_b64 v[5:6], v0, v[5:6]
	v_sub_nc_u32_e32 v0, 32, v0
	v_min_u32_e32 v5, 1, v5
	s_delay_alu instid0(VALU_DEP_1) | instskip(SKIP_1) | instid1(VALU_DEP_2)
	v_or_b32_e32 v5, v6, v5
	v_add_nc_u32_e32 v6, s16, v41
	v_cvt_f32_i32_e32 v5, v5
	s_delay_alu instid0(VALU_DEP_2) | instskip(NEXT) | instid1(VALU_DEP_2)
	v_ashrrev_i32_e32 v9, 31, v6
	v_ldexp_f32 v0, v5, v0
	v_add_co_u32 v5, vcc_lo, s8, v6
	s_delay_alu instid0(VALU_DEP_3) | instskip(NEXT) | instid1(VALU_DEP_3)
	v_add_co_ci_u32_e32 v6, vcc_lo, s9, v9, vcc_lo
	v_cvt_f16_f32_e32 v0, v0
	global_store_b16 v[5:6], v0, off
.LBB34_27:                              ;   in Loop: Header=BB34_9 Depth=1
	s_or_b32 exec_lo, exec_lo, s17
	v_add_co_u32 v5, vcc_lo, s13, v12
	v_add_co_ci_u32_e32 v6, vcc_lo, 0, v13, vcc_lo
	s_mov_b32 s17, exec_lo
	s_delay_alu instid0(VALU_DEP_1)
	v_cmpx_gt_i64_e64 s[4:5], v[5:6]
	s_cbranch_execz .LBB34_31
; %bb.28:                               ;   in Loop: Header=BB34_9 Depth=1
	v_mov_b32_e32 v0, v7
	s_mov_b32 s18, exec_lo
	s_delay_alu instid0(VALU_DEP_1)
	v_cmpx_le_u64_e64 s[0:1], v[0:1]
	s_cbranch_execz .LBB34_30
; %bb.29:                               ;   in Loop: Header=BB34_9 Depth=1
	v_cvt_f32_u32_e32 v5, s0
	s_sub_i32 s19, 0, s0
	s_delay_alu instid0(VALU_DEP_1) | instskip(SKIP_2) | instid1(VALU_DEP_1)
	v_rcp_iflag_f32_e32 v5, v5
	s_waitcnt_depctr 0xfff
	v_mul_f32_e32 v5, 0x4f7ffffe, v5
	v_cvt_u32_f32_e32 v5, v5
	s_delay_alu instid0(VALU_DEP_1) | instskip(NEXT) | instid1(VALU_DEP_1)
	v_mul_lo_u32 v6, s19, v5
	v_mul_hi_u32 v6, v5, v6
	s_delay_alu instid0(VALU_DEP_1) | instskip(NEXT) | instid1(VALU_DEP_1)
	v_add_nc_u32_e32 v5, v5, v6
	v_mul_hi_u32 v5, v0, v5
	s_delay_alu instid0(VALU_DEP_1) | instskip(NEXT) | instid1(VALU_DEP_1)
	v_mul_lo_u32 v5, v5, s0
	v_sub_nc_u32_e32 v0, v0, v5
	s_delay_alu instid0(VALU_DEP_1) | instskip(SKIP_1) | instid1(VALU_DEP_2)
	v_subrev_nc_u32_e32 v5, s0, v0
	v_cmp_le_u32_e32 vcc_lo, s0, v0
	v_cndmask_b32_e32 v0, v0, v5, vcc_lo
	s_delay_alu instid0(VALU_DEP_1) | instskip(SKIP_1) | instid1(VALU_DEP_2)
	v_subrev_nc_u32_e32 v5, s0, v0
	v_cmp_le_u32_e32 vcc_lo, s0, v0
	v_cndmask_b32_e32 v0, v0, v5, vcc_lo
.LBB34_30:                              ;   in Loop: Header=BB34_9 Depth=1
	s_or_b32 exec_lo, exec_lo, s18
	s_delay_alu instid0(VALU_DEP_1) | instskip(SKIP_1) | instid1(VALU_DEP_1)
	v_add_co_u32 v5, vcc_lo, v0, s2
	v_add_co_ci_u32_e32 v6, vcc_lo, s3, v1, vcc_lo
	v_xor_b32_e32 v0, v5, v6
	v_cls_i32_e32 v7, v6
	s_delay_alu instid0(VALU_DEP_2) | instskip(NEXT) | instid1(VALU_DEP_2)
	v_ashrrev_i32_e32 v0, 31, v0
	v_add_nc_u32_e32 v7, -1, v7
	s_delay_alu instid0(VALU_DEP_2) | instskip(NEXT) | instid1(VALU_DEP_1)
	v_add_nc_u32_e32 v0, 32, v0
	v_min_u32_e32 v0, v7, v0
	s_delay_alu instid0(VALU_DEP_1) | instskip(SKIP_1) | instid1(VALU_DEP_2)
	v_lshlrev_b64 v[5:6], v0, v[5:6]
	v_sub_nc_u32_e32 v0, 32, v0
	v_min_u32_e32 v5, 1, v5
	s_delay_alu instid0(VALU_DEP_1) | instskip(SKIP_1) | instid1(VALU_DEP_2)
	v_or_b32_e32 v5, v6, v5
	v_add_nc_u32_e32 v6, s16, v40
	v_cvt_f32_i32_e32 v5, v5
	s_delay_alu instid0(VALU_DEP_2) | instskip(NEXT) | instid1(VALU_DEP_2)
	v_ashrrev_i32_e32 v7, 31, v6
	v_ldexp_f32 v0, v5, v0
	v_add_co_u32 v5, vcc_lo, s8, v6
	s_delay_alu instid0(VALU_DEP_3) | instskip(NEXT) | instid1(VALU_DEP_3)
	v_add_co_ci_u32_e32 v6, vcc_lo, s9, v7, vcc_lo
	v_cvt_f16_f32_e32 v0, v0
	global_store_b16 v[5:6], v0, off
.LBB34_31:                              ;   in Loop: Header=BB34_9 Depth=1
	s_or_b32 exec_lo, exec_lo, s17
	v_add_co_u32 v5, vcc_lo, s14, v12
	v_add_co_ci_u32_e32 v6, vcc_lo, 0, v13, vcc_lo
	s_mov_b32 s17, exec_lo
	s_delay_alu instid0(VALU_DEP_1)
	v_cmpx_gt_i64_e64 s[4:5], v[5:6]
	s_cbranch_execz .LBB34_8
; %bb.32:                               ;   in Loop: Header=BB34_9 Depth=1
	v_mov_b32_e32 v0, v8
	s_mov_b32 s18, exec_lo
	s_delay_alu instid0(VALU_DEP_1)
	v_cmpx_le_u64_e64 s[0:1], v[0:1]
	s_cbranch_execz .LBB34_7
; %bb.33:                               ;   in Loop: Header=BB34_9 Depth=1
	v_cvt_f32_u32_e32 v5, s0
	s_sub_i32 s19, 0, s0
	s_delay_alu instid0(VALU_DEP_1) | instskip(SKIP_2) | instid1(VALU_DEP_1)
	v_rcp_iflag_f32_e32 v5, v5
	s_waitcnt_depctr 0xfff
	v_mul_f32_e32 v5, 0x4f7ffffe, v5
	v_cvt_u32_f32_e32 v5, v5
	s_delay_alu instid0(VALU_DEP_1) | instskip(NEXT) | instid1(VALU_DEP_1)
	v_mul_lo_u32 v6, s19, v5
	v_mul_hi_u32 v6, v5, v6
	s_delay_alu instid0(VALU_DEP_1) | instskip(NEXT) | instid1(VALU_DEP_1)
	v_add_nc_u32_e32 v5, v5, v6
	v_mul_hi_u32 v5, v0, v5
	s_delay_alu instid0(VALU_DEP_1) | instskip(NEXT) | instid1(VALU_DEP_1)
	v_mul_lo_u32 v5, v5, s0
	v_sub_nc_u32_e32 v0, v0, v5
	s_delay_alu instid0(VALU_DEP_1) | instskip(SKIP_1) | instid1(VALU_DEP_2)
	v_subrev_nc_u32_e32 v5, s0, v0
	v_cmp_le_u32_e32 vcc_lo, s0, v0
	v_cndmask_b32_e32 v0, v0, v5, vcc_lo
	s_delay_alu instid0(VALU_DEP_1) | instskip(SKIP_1) | instid1(VALU_DEP_2)
	v_subrev_nc_u32_e32 v5, s0, v0
	v_cmp_le_u32_e32 vcc_lo, s0, v0
	v_cndmask_b32_e32 v0, v0, v5, vcc_lo
	s_branch .LBB34_7
.LBB34_34:
	s_endpgm
.LBB34_35:
                                        ; implicit-def: $sgpr2_sgpr3
	s_branch .LBB34_4
	.section	.rodata,"a",@progbits
	.p2align	6, 0x0
	.amdhsa_kernel _ZN2at6native12_GLOBAL__N_143distribution_elementwise_grid_stride_kernelIjLi4EZZZNS0_9templates4cuda21random_from_to_kernelIPNS_17CUDAGeneratorImplEEEvRNS_18TensorIteratorBaseEmlT_ENKUlvE_clEvENKUlvE7_clEvEUlP25hiprandStatePhilox4_32_10E0_ZNS1_27distribution_nullary_kernelIN3c104HalfEj15HIP_vector_typeIjLj4EES7_SF_ZZZNS5_IS7_EEvS9_mlSA_ENKSB_clEvENKSC_clEvEUljE_EEvS9_T2_RKT3_T4_EUlijE_EEvlNS_15PhiloxCudaStateET1_SM_
		.amdhsa_group_segment_fixed_size 0
		.amdhsa_private_segment_fixed_size 0
		.amdhsa_kernarg_size 336
		.amdhsa_user_sgpr_count 15
		.amdhsa_user_sgpr_dispatch_ptr 0
		.amdhsa_user_sgpr_queue_ptr 0
		.amdhsa_user_sgpr_kernarg_segment_ptr 1
		.amdhsa_user_sgpr_dispatch_id 0
		.amdhsa_user_sgpr_private_segment_size 0
		.amdhsa_wavefront_size32 1
		.amdhsa_uses_dynamic_stack 0
		.amdhsa_enable_private_segment 0
		.amdhsa_system_sgpr_workgroup_id_x 1
		.amdhsa_system_sgpr_workgroup_id_y 0
		.amdhsa_system_sgpr_workgroup_id_z 0
		.amdhsa_system_sgpr_workgroup_info 0
		.amdhsa_system_vgpr_workitem_id 0
		.amdhsa_next_free_vgpr 48
		.amdhsa_next_free_sgpr 23
		.amdhsa_reserve_vcc 1
		.amdhsa_float_round_mode_32 0
		.amdhsa_float_round_mode_16_64 0
		.amdhsa_float_denorm_mode_32 3
		.amdhsa_float_denorm_mode_16_64 3
		.amdhsa_dx10_clamp 1
		.amdhsa_ieee_mode 1
		.amdhsa_fp16_overflow 0
		.amdhsa_workgroup_processor_mode 1
		.amdhsa_memory_ordered 1
		.amdhsa_forward_progress 0
		.amdhsa_shared_vgpr_count 0
		.amdhsa_exception_fp_ieee_invalid_op 0
		.amdhsa_exception_fp_denorm_src 0
		.amdhsa_exception_fp_ieee_div_zero 0
		.amdhsa_exception_fp_ieee_overflow 0
		.amdhsa_exception_fp_ieee_underflow 0
		.amdhsa_exception_fp_ieee_inexact 0
		.amdhsa_exception_int_div_zero 0
	.end_amdhsa_kernel
	.section	.text._ZN2at6native12_GLOBAL__N_143distribution_elementwise_grid_stride_kernelIjLi4EZZZNS0_9templates4cuda21random_from_to_kernelIPNS_17CUDAGeneratorImplEEEvRNS_18TensorIteratorBaseEmlT_ENKUlvE_clEvENKUlvE7_clEvEUlP25hiprandStatePhilox4_32_10E0_ZNS1_27distribution_nullary_kernelIN3c104HalfEj15HIP_vector_typeIjLj4EES7_SF_ZZZNS5_IS7_EEvS9_mlSA_ENKSB_clEvENKSC_clEvEUljE_EEvS9_T2_RKT3_T4_EUlijE_EEvlNS_15PhiloxCudaStateET1_SM_,"axG",@progbits,_ZN2at6native12_GLOBAL__N_143distribution_elementwise_grid_stride_kernelIjLi4EZZZNS0_9templates4cuda21random_from_to_kernelIPNS_17CUDAGeneratorImplEEEvRNS_18TensorIteratorBaseEmlT_ENKUlvE_clEvENKUlvE7_clEvEUlP25hiprandStatePhilox4_32_10E0_ZNS1_27distribution_nullary_kernelIN3c104HalfEj15HIP_vector_typeIjLj4EES7_SF_ZZZNS5_IS7_EEvS9_mlSA_ENKSB_clEvENKSC_clEvEUljE_EEvS9_T2_RKT3_T4_EUlijE_EEvlNS_15PhiloxCudaStateET1_SM_,comdat
.Lfunc_end34:
	.size	_ZN2at6native12_GLOBAL__N_143distribution_elementwise_grid_stride_kernelIjLi4EZZZNS0_9templates4cuda21random_from_to_kernelIPNS_17CUDAGeneratorImplEEEvRNS_18TensorIteratorBaseEmlT_ENKUlvE_clEvENKUlvE7_clEvEUlP25hiprandStatePhilox4_32_10E0_ZNS1_27distribution_nullary_kernelIN3c104HalfEj15HIP_vector_typeIjLj4EES7_SF_ZZZNS5_IS7_EEvS9_mlSA_ENKSB_clEvENKSC_clEvEUljE_EEvS9_T2_RKT3_T4_EUlijE_EEvlNS_15PhiloxCudaStateET1_SM_, .Lfunc_end34-_ZN2at6native12_GLOBAL__N_143distribution_elementwise_grid_stride_kernelIjLi4EZZZNS0_9templates4cuda21random_from_to_kernelIPNS_17CUDAGeneratorImplEEEvRNS_18TensorIteratorBaseEmlT_ENKUlvE_clEvENKUlvE7_clEvEUlP25hiprandStatePhilox4_32_10E0_ZNS1_27distribution_nullary_kernelIN3c104HalfEj15HIP_vector_typeIjLj4EES7_SF_ZZZNS5_IS7_EEvS9_mlSA_ENKSB_clEvENKSC_clEvEUljE_EEvS9_T2_RKT3_T4_EUlijE_EEvlNS_15PhiloxCudaStateET1_SM_
                                        ; -- End function
	.section	.AMDGPU.csdata,"",@progbits
; Kernel info:
; codeLenInByte = 3784
; NumSgprs: 25
; NumVgprs: 48
; ScratchSize: 0
; MemoryBound: 0
; FloatMode: 240
; IeeeMode: 1
; LDSByteSize: 0 bytes/workgroup (compile time only)
; SGPRBlocks: 3
; VGPRBlocks: 5
; NumSGPRsForWavesPerEU: 25
; NumVGPRsForWavesPerEU: 48
; Occupancy: 16
; WaveLimiterHint : 0
; COMPUTE_PGM_RSRC2:SCRATCH_EN: 0
; COMPUTE_PGM_RSRC2:USER_SGPR: 15
; COMPUTE_PGM_RSRC2:TRAP_HANDLER: 0
; COMPUTE_PGM_RSRC2:TGID_X_EN: 1
; COMPUTE_PGM_RSRC2:TGID_Y_EN: 0
; COMPUTE_PGM_RSRC2:TGID_Z_EN: 0
; COMPUTE_PGM_RSRC2:TIDIG_COMP_CNT: 0
	.section	.text._ZN2at6native12_GLOBAL__N_143distribution_elementwise_grid_stride_kernelIjLi4EZZZNS0_9templates4cuda21random_from_to_kernelIPNS_17CUDAGeneratorImplEEEvRNS_18TensorIteratorBaseEmlT_ENKUlvE_clEvENKUlvE7_clEvEUlP25hiprandStatePhilox4_32_10E0_ZNS1_27distribution_nullary_kernelIN3c104HalfEj15HIP_vector_typeIjLj4EES7_SF_ZZZNS5_IS7_EEvS9_mlSA_ENKSB_clEvENKSC_clEvEUljE_EEvS9_T2_RKT3_T4_EUlijE0_EEvlNS_15PhiloxCudaStateET1_SM_,"axG",@progbits,_ZN2at6native12_GLOBAL__N_143distribution_elementwise_grid_stride_kernelIjLi4EZZZNS0_9templates4cuda21random_from_to_kernelIPNS_17CUDAGeneratorImplEEEvRNS_18TensorIteratorBaseEmlT_ENKUlvE_clEvENKUlvE7_clEvEUlP25hiprandStatePhilox4_32_10E0_ZNS1_27distribution_nullary_kernelIN3c104HalfEj15HIP_vector_typeIjLj4EES7_SF_ZZZNS5_IS7_EEvS9_mlSA_ENKSB_clEvENKSC_clEvEUljE_EEvS9_T2_RKT3_T4_EUlijE0_EEvlNS_15PhiloxCudaStateET1_SM_,comdat
	.globl	_ZN2at6native12_GLOBAL__N_143distribution_elementwise_grid_stride_kernelIjLi4EZZZNS0_9templates4cuda21random_from_to_kernelIPNS_17CUDAGeneratorImplEEEvRNS_18TensorIteratorBaseEmlT_ENKUlvE_clEvENKUlvE7_clEvEUlP25hiprandStatePhilox4_32_10E0_ZNS1_27distribution_nullary_kernelIN3c104HalfEj15HIP_vector_typeIjLj4EES7_SF_ZZZNS5_IS7_EEvS9_mlSA_ENKSB_clEvENKSC_clEvEUljE_EEvS9_T2_RKT3_T4_EUlijE0_EEvlNS_15PhiloxCudaStateET1_SM_ ; -- Begin function _ZN2at6native12_GLOBAL__N_143distribution_elementwise_grid_stride_kernelIjLi4EZZZNS0_9templates4cuda21random_from_to_kernelIPNS_17CUDAGeneratorImplEEEvRNS_18TensorIteratorBaseEmlT_ENKUlvE_clEvENKUlvE7_clEvEUlP25hiprandStatePhilox4_32_10E0_ZNS1_27distribution_nullary_kernelIN3c104HalfEj15HIP_vector_typeIjLj4EES7_SF_ZZZNS5_IS7_EEvS9_mlSA_ENKSB_clEvENKSC_clEvEUljE_EEvS9_T2_RKT3_T4_EUlijE0_EEvlNS_15PhiloxCudaStateET1_SM_
	.p2align	8
	.type	_ZN2at6native12_GLOBAL__N_143distribution_elementwise_grid_stride_kernelIjLi4EZZZNS0_9templates4cuda21random_from_to_kernelIPNS_17CUDAGeneratorImplEEEvRNS_18TensorIteratorBaseEmlT_ENKUlvE_clEvENKUlvE7_clEvEUlP25hiprandStatePhilox4_32_10E0_ZNS1_27distribution_nullary_kernelIN3c104HalfEj15HIP_vector_typeIjLj4EES7_SF_ZZZNS5_IS7_EEvS9_mlSA_ENKSB_clEvENKSC_clEvEUljE_EEvS9_T2_RKT3_T4_EUlijE0_EEvlNS_15PhiloxCudaStateET1_SM_,@function
_ZN2at6native12_GLOBAL__N_143distribution_elementwise_grid_stride_kernelIjLi4EZZZNS0_9templates4cuda21random_from_to_kernelIPNS_17CUDAGeneratorImplEEEvRNS_18TensorIteratorBaseEmlT_ENKUlvE_clEvENKUlvE7_clEvEUlP25hiprandStatePhilox4_32_10E0_ZNS1_27distribution_nullary_kernelIN3c104HalfEj15HIP_vector_typeIjLj4EES7_SF_ZZZNS5_IS7_EEvS9_mlSA_ENKSB_clEvENKSC_clEvEUljE_EEvS9_T2_RKT3_T4_EUlijE0_EEvlNS_15PhiloxCudaStateET1_SM_: ; @_ZN2at6native12_GLOBAL__N_143distribution_elementwise_grid_stride_kernelIjLi4EZZZNS0_9templates4cuda21random_from_to_kernelIPNS_17CUDAGeneratorImplEEEvRNS_18TensorIteratorBaseEmlT_ENKUlvE_clEvENKUlvE7_clEvEUlP25hiprandStatePhilox4_32_10E0_ZNS1_27distribution_nullary_kernelIN3c104HalfEj15HIP_vector_typeIjLj4EES7_SF_ZZZNS5_IS7_EEvS9_mlSA_ENKSB_clEvENKSC_clEvEUljE_EEvS9_T2_RKT3_T4_EUlijE0_EEvlNS_15PhiloxCudaStateET1_SM_
; %bb.0:
	s_clause 0x2
	s_load_b64 s[4:5], s[0:1], 0x10
	s_load_b128 s[16:19], s[0:1], 0x0
	s_load_b32 s2, s[0:1], 0x20
	s_waitcnt lgkmcnt(0)
	v_dual_mov_b32 v2, s4 :: v_dual_mov_b32 v3, s5
	v_dual_mov_b32 v13, s18 :: v_dual_mov_b32 v14, s19
	s_bitcmp0_b32 s2, 0
	s_mov_b32 s2, 0
	s_cbranch_scc1 .LBB35_2
; %bb.1:
	v_dual_mov_b32 v1, s4 :: v_dual_mov_b32 v2, s5
	v_dual_mov_b32 v4, s18 :: v_dual_mov_b32 v5, s19
	s_load_b64 s[4:5], s[0:1], 0x18
	flat_load_b64 v[2:3], v[1:2]
	flat_load_b64 v[13:14], v[4:5]
	s_waitcnt vmcnt(1) lgkmcnt(0)
	v_add_co_u32 v2, vcc_lo, v2, s4
	v_add_co_ci_u32_e32 v3, vcc_lo, s5, v3, vcc_lo
.LBB35_2:
	s_clause 0x1
	s_load_b32 s3, s[0:1], 0x15c
	s_load_b32 s4, s[0:1], 0x150
	s_waitcnt lgkmcnt(0)
	s_and_b32 s5, s3, 0xffff
	s_add_u32 s6, s16, -1
	s_mul_i32 s28, s4, s5
	s_addc_u32 s3, s17, -1
	s_lshl_b32 s29, s28, 2
	s_cmp_lg_u64 s[2:3], 0
	s_cbranch_scc0 .LBB35_87
; %bb.3:
	v_cvt_f32_ubyte0_e32 v1, 0
	v_cvt_f32_u32_e32 v4, s29
	s_sub_u32 s8, 0, s29
	s_subb_u32 s9, 0, 0
	s_delay_alu instid0(VALU_DEP_1) | instskip(NEXT) | instid1(VALU_DEP_1)
	v_fmamk_f32 v1, v1, 0x4f800000, v4
	v_rcp_f32_e32 v1, v1
	s_waitcnt_depctr 0xfff
	v_mul_f32_e32 v1, 0x5f7ffffc, v1
	s_delay_alu instid0(VALU_DEP_1) | instskip(NEXT) | instid1(VALU_DEP_1)
	v_mul_f32_e32 v4, 0x2f800000, v1
	v_trunc_f32_e32 v4, v4
	s_delay_alu instid0(VALU_DEP_1) | instskip(SKIP_1) | instid1(VALU_DEP_2)
	v_fmamk_f32 v1, v4, 0xcf800000, v1
	v_cvt_u32_f32_e32 v4, v4
	v_cvt_u32_f32_e32 v1, v1
	s_delay_alu instid0(VALU_DEP_2) | instskip(NEXT) | instid1(VALU_DEP_2)
	v_readfirstlane_b32 s2, v4
	v_readfirstlane_b32 s7, v1
	s_delay_alu instid0(VALU_DEP_2) | instskip(NEXT) | instid1(VALU_DEP_1)
	s_mul_i32 s10, s8, s2
	s_mul_hi_u32 s12, s8, s7
	s_mul_i32 s11, s9, s7
	s_add_i32 s10, s12, s10
	s_mul_i32 s13, s8, s7
	s_add_i32 s10, s10, s11
	s_mul_hi_u32 s12, s7, s13
	s_mul_hi_u32 s14, s2, s13
	s_mul_i32 s11, s2, s13
	s_mul_hi_u32 s13, s7, s10
	s_mul_i32 s7, s7, s10
	s_mul_hi_u32 s18, s2, s10
	s_add_u32 s7, s12, s7
	s_addc_u32 s12, 0, s13
	s_add_u32 s7, s7, s11
	s_mul_i32 s10, s2, s10
	s_addc_u32 s7, s12, s14
	s_addc_u32 s11, s18, 0
	s_add_u32 s7, s7, s10
	s_addc_u32 s10, 0, s11
	v_add_co_u32 v1, s7, v1, s7
	s_delay_alu instid0(VALU_DEP_1) | instskip(SKIP_1) | instid1(VALU_DEP_1)
	s_cmp_lg_u32 s7, 0
	s_addc_u32 s2, s2, s10
	v_readfirstlane_b32 s7, v1
	s_mul_i32 s10, s8, s2
	s_delay_alu instid0(VALU_DEP_1)
	s_mul_hi_u32 s11, s8, s7
	s_mul_i32 s9, s9, s7
	s_add_i32 s10, s11, s10
	s_mul_i32 s8, s8, s7
	s_add_i32 s10, s10, s9
	s_mul_hi_u32 s11, s2, s8
	s_mul_i32 s12, s2, s8
	s_mul_hi_u32 s8, s7, s8
	s_mul_hi_u32 s13, s7, s10
	s_mul_i32 s7, s7, s10
	s_mul_hi_u32 s9, s2, s10
	s_add_u32 s7, s8, s7
	s_addc_u32 s8, 0, s13
	s_add_u32 s7, s7, s12
	s_mul_i32 s10, s2, s10
	s_addc_u32 s7, s8, s11
	s_addc_u32 s8, s9, 0
	s_add_u32 s7, s7, s10
	s_addc_u32 s8, 0, s8
	v_add_co_u32 v1, s7, v1, s7
	s_delay_alu instid0(VALU_DEP_1) | instskip(SKIP_2) | instid1(VALU_DEP_1)
	s_cmp_lg_u32 s7, 0
	s_addc_u32 s7, s2, s8
	s_ashr_i32 s8, s3, 31
	v_readfirstlane_b32 s10, v1
	s_add_u32 s2, s6, s8
	s_mov_b32 s9, s8
	s_addc_u32 s3, s3, s8
	s_delay_alu instid0(SALU_CYCLE_1) | instskip(NEXT) | instid1(SALU_CYCLE_1)
	s_xor_b64 s[2:3], s[2:3], s[8:9]
	s_mul_i32 s12, s2, s7
	s_mul_hi_u32 s13, s2, s10
	s_mul_hi_u32 s11, s2, s7
	s_mul_hi_u32 s18, s3, s10
	s_mul_i32 s10, s3, s10
	s_add_u32 s12, s13, s12
	s_addc_u32 s11, 0, s11
	s_mul_hi_u32 s14, s3, s7
	s_add_u32 s10, s12, s10
	s_mul_i32 s7, s3, s7
	s_addc_u32 s10, s11, s18
	s_addc_u32 s11, s14, 0
	s_add_u32 s7, s10, s7
	s_addc_u32 s10, 0, s11
	s_mul_i32 s12, s29, s7
	s_add_u32 s11, s7, 1
	v_sub_co_u32 v1, s2, s2, s12
	s_mul_hi_u32 s12, s29, s7
	s_addc_u32 s13, s10, 0
	s_mul_i32 s14, s29, s10
	s_delay_alu instid0(VALU_DEP_1)
	v_sub_co_u32 v4, s18, v1, s29
	s_add_u32 s19, s7, 2
	s_addc_u32 s20, s10, 0
	s_add_i32 s12, s12, s14
	s_cmp_lg_u32 s2, 0
	v_readfirstlane_b32 s2, v4
	s_subb_u32 s3, s3, s12
	s_cmp_lg_u32 s18, 0
	s_subb_u32 s12, s3, 0
	s_delay_alu instid0(VALU_DEP_1) | instskip(SKIP_4) | instid1(SALU_CYCLE_1)
	s_cmp_ge_u32 s2, s29
	s_cselect_b32 s2, -1, 0
	s_cmp_eq_u32 s12, 0
	v_readfirstlane_b32 s12, v1
	s_cselect_b32 s2, s2, -1
	s_cmp_lg_u32 s2, 0
	s_cselect_b32 s2, s19, s11
	s_cselect_b32 s11, s20, s13
	s_cmp_ge_u32 s12, s29
	s_cselect_b32 s12, -1, 0
	s_cmp_eq_u32 s3, 0
	s_cselect_b32 s3, s12, -1
	s_delay_alu instid0(SALU_CYCLE_1) | instskip(SKIP_2) | instid1(SALU_CYCLE_1)
	s_cmp_lg_u32 s3, 0
	s_cselect_b32 s3, s11, s10
	s_cselect_b32 s2, s2, s7
	s_xor_b64 s[2:3], s[2:3], s[8:9]
	s_delay_alu instid0(SALU_CYCLE_1)
	s_sub_u32 s2, s2, s8
	s_subb_u32 s3, s3, s8
	s_cbranch_execnz .LBB35_5
.LBB35_4:
	v_cvt_f32_u32_e32 v1, s29
	s_sub_i32 s3, 0, s29
	s_delay_alu instid0(VALU_DEP_1) | instskip(SKIP_2) | instid1(VALU_DEP_1)
	v_rcp_iflag_f32_e32 v1, v1
	s_waitcnt_depctr 0xfff
	v_mul_f32_e32 v1, 0x4f7ffffe, v1
	v_cvt_u32_f32_e32 v1, v1
	s_delay_alu instid0(VALU_DEP_1) | instskip(NEXT) | instid1(VALU_DEP_1)
	v_readfirstlane_b32 s2, v1
	s_mul_i32 s3, s3, s2
	s_delay_alu instid0(SALU_CYCLE_1) | instskip(NEXT) | instid1(SALU_CYCLE_1)
	s_mul_hi_u32 s3, s2, s3
	s_add_i32 s2, s2, s3
	s_delay_alu instid0(SALU_CYCLE_1) | instskip(NEXT) | instid1(SALU_CYCLE_1)
	s_mul_hi_u32 s2, s6, s2
	s_mul_i32 s3, s2, s29
	s_delay_alu instid0(SALU_CYCLE_1)
	s_sub_i32 s3, s6, s3
	s_add_i32 s6, s2, 1
	s_sub_i32 s7, s3, s29
	s_cmp_ge_u32 s3, s29
	s_cselect_b32 s2, s6, s2
	s_cselect_b32 s3, s7, s3
	s_add_i32 s6, s2, 1
	s_cmp_ge_u32 s3, s29
	s_mov_b32 s3, 0
	s_cselect_b32 s2, s6, s2
.LBB35_5:
	v_mov_b32_e32 v1, 0
	s_add_u32 s2, s2, 1
	s_addc_u32 s3, s3, 0
	s_mul_hi_u32 s6, s28, s2
	s_mul_i32 s3, s28, s3
	v_mad_u64_u32 v[15:16], null, s5, s15, v[0:1]
	s_mul_hi_u32 s4, s4, s5
	s_add_i32 s3, s6, s3
	s_mul_i32 s4, s4, s2
	s_mul_i32 s2, s28, s2
	s_add_i32 s3, s3, s4
	s_mov_b32 s4, exec_lo
	s_lshl_b64 s[2:3], s[2:3], 2
	s_delay_alu instid0(SALU_CYCLE_1)
	v_cmpx_gt_i64_e64 s[2:3], v[15:16]
	s_cbranch_execz .LBB35_86
; %bb.6:
	v_alignbit_b32 v19, v3, v2, 2
	v_mad_u64_u32 v[6:7], null, 0xcd9e8d57, v15, 0
	v_lshrrev_b32_e32 v20, 2, v3
	s_waitcnt vmcnt(0)
	v_dual_mov_b32 v11, v14 :: v_dual_add_nc_u32 v28, 0x8ff34781, v13
	v_mad_u64_u32 v[4:5], null, 0xd2511f53, v19, 0
	v_add_co_u32 v22, null, 0x9e3779b9, v13
	v_xor3_b32 v3, v13, v7, v20
	s_delay_alu instid0(VALU_DEP_4) | instskip(SKIP_2) | instid1(VALU_DEP_4)
	v_add_co_u32 v21, null, 0xbb67ae85, v11
	v_add_co_u32 v23, null, 0x3c6ef372, v13
	v_xor_b32_e32 v0, v5, v14
	v_mad_u64_u32 v[7:8], null, 0xd2511f53, v3, 0
	v_add_co_u32 v24, null, 0x76cf5d0a, v11
	s_delay_alu instid0(VALU_DEP_3) | instskip(SKIP_2) | instid1(VALU_DEP_3)
	v_xor_b32_e32 v0, v0, v16
	v_add_co_u32 v25, null, 0x32370b8f, v11
	v_add_co_u32 v26, null, 0xdaa66d2b, v13
	v_mad_u64_u32 v[9:10], null, 0xcd9e8d57, v0, 0
	v_xor3_b32 v0, v21, v8, v4
	v_dual_mov_b32 v38, v15 :: v_dual_and_b32 v27, 3, v2
	v_add_co_u32 v29, null, 0x78dde6e4, v13
	s_delay_alu instid0(VALU_DEP_3) | instskip(SKIP_3) | instid1(VALU_DEP_3)
	v_mad_u64_u32 v[3:4], null, 0xcd9e8d57, v0, 0
	v_xor3_b32 v8, v22, v10, v6
	v_add_co_u32 v31, null, 0xed9eba14, v11
	v_add_co_u32 v33, null, 0xa9066899, v11
	v_mad_u64_u32 v[5:6], null, 0xd2511f53, v8, 0
	v_xor3_b32 v0, v23, v4, v9
	v_add_co_u32 v34, null, 0x1715609d, v13
	v_add_co_u32 v35, null, 0xb54cda56, v13
	;; [unrolled: 1-line block ×3, first 2 shown]
	v_xor3_b32 v4, v24, v6, v7
	v_mad_u64_u32 v[6:7], null, 0xd2511f53, v0, 0
	s_load_b256 s[4:11], s[0:1], 0x30
	v_add_co_u32 v32, null, 0x5384540f, v13
	s_delay_alu instid0(VALU_DEP_3) | instskip(SKIP_1) | instid1(VALU_DEP_4)
	v_mad_u64_u32 v[8:9], null, 0xcd9e8d57, v4, 0
	v_add_co_u32 v39, null, 0x1fd5c5a3, v11
	v_xor3_b32 v0, v25, v7, v5
	v_add_co_u32 v36, null, 0xf1bbcdc8, v13
	v_add_co_u32 v40, null, 0xdb3d7428, v11
	v_xor3_b32 v7, v26, v9, v3
	s_delay_alu instid0(VALU_DEP_4) | instskip(SKIP_2) | instid1(VALU_DEP_2)
	v_mad_u64_u32 v[2:3], null, 0xcd9e8d57, v0, 0
	s_add_u32 s18, s0, 48
	s_load_b64 s[20:21], s[0:1], 0x148
	v_mad_u64_u32 v[4:5], null, 0xd2511f53, v7, 0
	s_clause 0x1
	s_load_b64 s[22:23], s[0:1], 0xf4
	s_load_b128 s[12:15], s[0:1], 0x138
	s_addc_u32 s19, s1, 0
	v_xor3_b32 v0, v29, v3, v8
	s_waitcnt lgkmcnt(0)
	s_add_i32 s24, s4, -1
	v_mov_b32_e32 v41, v16
	s_cmp_gt_u32 s24, 1
	v_xor3_b32 v3, v31, v5, v6
	v_mad_u64_u32 v[5:6], null, 0xd2511f53, v0, 0
	s_cselect_b32 s11, -1, 0
	s_cmp_lg_u32 s4, 0
	s_delay_alu instid0(VALU_DEP_2) | instskip(SKIP_2) | instid1(VALU_DEP_2)
	v_mad_u64_u32 v[7:8], null, 0xcd9e8d57, v3, 0
	s_cselect_b32 s31, -1, 0
	s_add_u32 s0, s0, 0xf4
	v_xor3_b32 v0, v33, v6, v4
	s_addc_u32 s1, s1, 0
	s_min_u32 s25, s24, 15
	s_cmp_gt_u32 s4, 1
	s_delay_alu instid0(VALU_DEP_2) | instskip(SKIP_3) | instid1(VALU_DEP_2)
	v_xor3_b32 v4, v34, v8, v2
	v_mad_u64_u32 v[2:3], null, 0xcd9e8d57, v0, 0
	s_cselect_b32 s4, -1, 0
	s_add_i32 s25, s25, 1
	v_mad_u64_u32 v[8:9], null, 0xd2511f53, v4, 0
	s_lshl_b32 s33, s28, 1
	s_and_b32 s34, s25, 3
	s_delay_alu instid0(VALU_DEP_2) | instskip(SKIP_3) | instid1(VALU_DEP_2)
	v_xor3_b32 v0, v35, v3, v7
	s_cmp_lg_u32 s24, 2
	s_mov_b32 s30, 0
	s_cselect_b32 s35, -1, 0
	v_xor3_b32 v7, v37, v9, v5
	v_mad_u64_u32 v[3:4], null, 0xd2511f53, v0, 0
	s_and_b32 s36, s25, 28
	s_cmp_lg_u32 s34, 0
	s_delay_alu instid0(VALU_DEP_2) | instskip(SKIP_2) | instid1(VALU_DEP_2)
	v_mad_u64_u32 v[5:6], null, 0xcd9e8d57, v7, 0
	s_mul_i32 s37, s28, 3
	s_cselect_b32 s38, -1, 0
	v_xor3_b32 v0, v39, v4, v8
	s_delay_alu instid0(VALU_DEP_2) | instskip(NEXT) | instid1(VALU_DEP_2)
	v_xor3_b32 v2, v32, v6, v2
	v_mad_u64_u32 v[6:7], null, 0xcd9e8d57, v0, 0
	s_delay_alu instid0(VALU_DEP_2) | instskip(NEXT) | instid1(VALU_DEP_2)
	v_mad_u64_u32 v[8:9], null, 0xd2511f53, v2, 0
	v_xor3_b32 v0, v36, v7, v5
	s_delay_alu instid0(VALU_DEP_2) | instskip(NEXT) | instid1(VALU_DEP_2)
	v_xor3_b32 v2, v40, v9, v3
	v_mad_u64_u32 v[9:10], null, 0xd2511f53, v0, 0
	v_add_nc_u32_e32 v30, 0x96a522ad, v14
	s_delay_alu instid0(VALU_DEP_3) | instskip(NEXT) | instid1(VALU_DEP_3)
	v_mad_u64_u32 v[3:4], null, 0xcd9e8d57, v2, 0
	v_mov_b32_e32 v5, v9
	s_delay_alu instid0(VALU_DEP_2) | instskip(NEXT) | instid1(VALU_DEP_4)
	v_xor3_b32 v2, v4, v6, v28
	v_xor3_b32 v4, v10, v8, v30
	s_branch .LBB35_9
.LBB35_7:                               ;   in Loop: Header=BB35_9 Depth=1
	s_or_b32 exec_lo, exec_lo, s24
	s_delay_alu instid0(VALU_DEP_1) | instskip(SKIP_1) | instid1(VALU_DEP_1)
	v_add_co_u32 v3, vcc_lo, v0, s20
	v_add_co_ci_u32_e32 v4, vcc_lo, s21, v1, vcc_lo
	v_xor_b32_e32 v0, v3, v4
	v_cls_i32_e32 v5, v4
	s_delay_alu instid0(VALU_DEP_2) | instskip(NEXT) | instid1(VALU_DEP_2)
	v_ashrrev_i32_e32 v0, 31, v0
	v_add_nc_u32_e32 v5, -1, v5
	s_delay_alu instid0(VALU_DEP_2) | instskip(NEXT) | instid1(VALU_DEP_1)
	v_add_nc_u32_e32 v0, 32, v0
	v_min_u32_e32 v0, v5, v0
	s_delay_alu instid0(VALU_DEP_1) | instskip(SKIP_1) | instid1(VALU_DEP_2)
	v_lshlrev_b64 v[3:4], v0, v[3:4]
	v_sub_nc_u32_e32 v0, 32, v0
	v_min_u32_e32 v3, 1, v3
	s_delay_alu instid0(VALU_DEP_1) | instskip(NEXT) | instid1(VALU_DEP_1)
	v_or_b32_e32 v3, v4, v3
	v_cvt_f32_i32_e32 v3, v3
	s_delay_alu instid0(VALU_DEP_1) | instskip(NEXT) | instid1(VALU_DEP_1)
	v_ldexp_f32 v0, v3, v0
	v_cvt_f16_f32_e32 v0, v0
	global_store_b16 v2, v0, s[12:13]
.LBB35_8:                               ;   in Loop: Header=BB35_9 Depth=1
	s_or_b32 exec_lo, exec_lo, s39
	v_add_co_u32 v15, vcc_lo, v15, s29
	v_add_co_ci_u32_e32 v16, vcc_lo, 0, v16, vcc_lo
	v_mov_b32_e32 v9, v17
	v_dual_mov_b32 v2, v6 :: v_dual_mov_b32 v3, v7
	s_delay_alu instid0(VALU_DEP_3) | instskip(NEXT) | instid1(VALU_DEP_3)
	v_cmp_le_i64_e32 vcc_lo, s[2:3], v[15:16]
	v_dual_mov_b32 v4, v8 :: v_dual_mov_b32 v5, v9
	s_waitcnt_vscnt null, 0x0
	s_barrier
	buffer_gl0_inv
	s_or_b32 s30, vcc_lo, s30
	s_delay_alu instid0(SALU_CYCLE_1)
	s_and_not1_b32 exec_lo, exec_lo, s30
	s_cbranch_execz .LBB35_86
.LBB35_9:                               ; =>This Loop Header: Depth=1
                                        ;     Child Loop BB35_24 Depth 2
                                        ;     Child Loop BB35_29 Depth 2
	;; [unrolled: 1-line block ×8, first 2 shown]
	v_add_co_u32 v19, vcc_lo, v19, 1
	s_delay_alu instid0(VALU_DEP_1) | instskip(SKIP_1) | instid1(VALU_DEP_3)
	v_cndmask_b32_e64 v0, 0, 1, vcc_lo
	v_add_co_ci_u32_e32 v20, vcc_lo, 0, v20, vcc_lo
	v_mad_u64_u32 v[6:7], null, 0xd2511f53, v19, 0
	s_mov_b32 s24, exec_lo
	s_delay_alu instid0(VALU_DEP_2) | instskip(SKIP_1) | instid1(VALU_DEP_1)
	v_cmp_eq_u32_e32 vcc_lo, 0, v20
	v_cndmask_b32_e32 v0, 0, v0, vcc_lo
	v_add_nc_u32_e32 v38, v0, v38
	s_delay_alu instid0(VALU_DEP_1) | instskip(SKIP_2) | instid1(VALU_DEP_1)
	v_cmp_eq_u32_e32 vcc_lo, 0, v38
	v_mad_u64_u32 v[8:9], null, 0xcd9e8d57, v38, 0
	v_cndmask_b32_e32 v0, 0, v0, vcc_lo
	v_add_nc_u32_e32 v41, v0, v41
	v_xor_b32_e32 v0, v7, v14
	s_delay_alu instid0(VALU_DEP_4) | instskip(NEXT) | instid1(VALU_DEP_2)
	v_xor3_b32 v7, v9, v13, v20
	v_xor_b32_e32 v0, v41, v0
	s_delay_alu instid0(VALU_DEP_2) | instskip(NEXT) | instid1(VALU_DEP_2)
	v_mad_u64_u32 v[9:10], null, 0xd2511f53, v7, 0
	v_mad_u64_u32 v[11:12], null, 0xcd9e8d57, v0, 0
	s_delay_alu instid0(VALU_DEP_2) | instskip(NEXT) | instid1(VALU_DEP_2)
	v_xor3_b32 v0, v21, v10, v6
	v_xor3_b32 v8, v22, v12, v8
	s_delay_alu instid0(VALU_DEP_2) | instskip(NEXT) | instid1(VALU_DEP_2)
	v_mad_u64_u32 v[6:7], null, 0xcd9e8d57, v0, 0
	v_mad_u64_u32 v[17:18], null, 0xd2511f53, v8, 0
	s_delay_alu instid0(VALU_DEP_2) | instskip(NEXT) | instid1(VALU_DEP_2)
	v_xor3_b32 v0, v23, v7, v11
	v_xor3_b32 v11, v24, v18, v9
	;; [unrolled: 6-line block ×9, first 2 shown]
	s_delay_alu instid0(VALU_DEP_2)
	v_mov_b32_e32 v8, v12
	v_cmpx_lt_i32_e32 1, v27
	s_xor_b32 s24, exec_lo, s24
	s_cbranch_execnz .LBB35_12
; %bb.10:                               ;   in Loop: Header=BB35_9 Depth=1
	s_and_not1_saveexec_b32 s24, s24
	s_cbranch_execnz .LBB35_17
.LBB35_11:                              ;   in Loop: Header=BB35_9 Depth=1
	s_or_b32 exec_lo, exec_lo, s24
	s_delay_alu instid0(SALU_CYCLE_1)
	s_mov_b32 s39, exec_lo
	v_cmpx_gt_i64_e64 s[16:17], v[15:16]
	s_cbranch_execnz .LBB35_20
	s_branch .LBB35_36
.LBB35_12:                              ;   in Loop: Header=BB35_9 Depth=1
	s_mov_b32 s25, exec_lo
	v_cmpx_lt_i32_e32 2, v27
	s_xor_b32 s25, exec_lo, s25
; %bb.13:                               ;   in Loop: Header=BB35_9 Depth=1
	v_dual_mov_b32 v9, v5 :: v_dual_mov_b32 v10, v6
	v_mov_b32_e32 v11, v7
	s_delay_alu instid0(VALU_DEP_2) | instskip(NEXT) | instid1(VALU_DEP_2)
	v_dual_mov_b32 v2, v9 :: v_dual_mov_b32 v3, v10
	v_dual_mov_b32 v4, v11 :: v_dual_mov_b32 v5, v12
; %bb.14:                               ;   in Loop: Header=BB35_9 Depth=1
	s_and_not1_saveexec_b32 s25, s25
; %bb.15:                               ;   in Loop: Header=BB35_9 Depth=1
	s_delay_alu instid0(VALU_DEP_1)
	v_dual_mov_b32 v2, v4 :: v_dual_mov_b32 v3, v5
	v_dual_mov_b32 v4, v6 :: v_dual_mov_b32 v5, v7
; %bb.16:                               ;   in Loop: Header=BB35_9 Depth=1
	s_or_b32 exec_lo, exec_lo, s25
	s_and_not1_saveexec_b32 s24, s24
	s_cbranch_execz .LBB35_11
.LBB35_17:                              ;   in Loop: Header=BB35_9 Depth=1
	s_mov_b32 s25, exec_lo
	v_cmpx_eq_u32_e32 1, v27
; %bb.18:                               ;   in Loop: Header=BB35_9 Depth=1
	v_dual_mov_b32 v2, v3 :: v_dual_mov_b32 v3, v4
	v_dual_mov_b32 v4, v5 :: v_dual_mov_b32 v5, v6
; %bb.19:                               ;   in Loop: Header=BB35_9 Depth=1
	s_or_b32 exec_lo, exec_lo, s25
	s_delay_alu instid0(SALU_CYCLE_1) | instskip(NEXT) | instid1(SALU_CYCLE_1)
	s_or_b32 exec_lo, exec_lo, s24
	s_mov_b32 s39, exec_lo
	v_cmpx_gt_i64_e64 s[16:17], v[15:16]
	s_cbranch_execz .LBB35_36
.LBB35_20:                              ;   in Loop: Header=BB35_9 Depth=1
	s_and_not1_b32 vcc_lo, exec_lo, s11
	s_cbranch_vccnz .LBB35_26
; %bb.21:                               ;   in Loop: Header=BB35_9 Depth=1
	v_mov_b32_e32 v9, 0
	s_and_not1_b32 vcc_lo, exec_lo, s31
	s_cbranch_vccnz .LBB35_30
; %bb.22:                               ;   in Loop: Header=BB35_9 Depth=1
	s_and_not1_b32 vcc_lo, exec_lo, s35
	s_mov_b32 s24, 0
	s_cbranch_vccnz .LBB35_27
; %bb.23:                               ;   in Loop: Header=BB35_9 Depth=1
	v_dual_mov_b32 v9, 0 :: v_dual_mov_b32 v0, v15
	s_mov_b32 s40, 0
	s_mov_b64 s[24:25], s[18:19]
	s_mov_b64 s[26:27], s[0:1]
.LBB35_24:                              ;   Parent Loop BB35_9 Depth=1
                                        ; =>  This Inner Loop Header: Depth=2
	s_clause 0x1
	s_load_b256 s[44:51], s[24:25], 0x4
	s_load_b128 s[52:55], s[24:25], 0x24
	s_load_b128 s[56:59], s[26:27], 0x0
	s_add_u32 s24, s24, 48
	s_addc_u32 s25, s25, 0
	s_add_i32 s40, s40, 4
	s_add_u32 s26, s26, 16
	s_addc_u32 s27, s27, 0
	s_cmp_lg_u32 s36, s40
	s_waitcnt lgkmcnt(0)
	v_mul_hi_u32 v10, s45, v0
	s_delay_alu instid0(VALU_DEP_1) | instskip(NEXT) | instid1(VALU_DEP_1)
	v_add_nc_u32_e32 v10, v0, v10
	v_lshrrev_b32_e32 v10, s46, v10
	s_delay_alu instid0(VALU_DEP_1) | instskip(SKIP_1) | instid1(VALU_DEP_2)
	v_mul_hi_u32 v11, s48, v10
	v_mul_lo_u32 v42, v10, s44
	v_add_nc_u32_e32 v11, v10, v11
	s_delay_alu instid0(VALU_DEP_2) | instskip(NEXT) | instid1(VALU_DEP_2)
	v_sub_nc_u32_e32 v42, v0, v42
	v_lshrrev_b32_e32 v11, s49, v11
	s_delay_alu instid0(VALU_DEP_2) | instskip(NEXT) | instid1(VALU_DEP_2)
	v_mul_lo_u32 v42, v42, s56
	v_mul_hi_u32 v12, s51, v11
	v_mul_lo_u32 v43, v11, s47
	s_delay_alu instid0(VALU_DEP_2) | instskip(NEXT) | instid1(VALU_DEP_2)
	v_add_nc_u32_e32 v12, v11, v12
	v_sub_nc_u32_e32 v10, v10, v43
	s_delay_alu instid0(VALU_DEP_2) | instskip(NEXT) | instid1(VALU_DEP_2)
	v_lshrrev_b32_e32 v12, s52, v12
	v_mul_lo_u32 v10, v10, s57
	s_delay_alu instid0(VALU_DEP_2) | instskip(NEXT) | instid1(VALU_DEP_2)
	v_mul_hi_u32 v18, s54, v12
	v_add3_u32 v9, v42, v9, v10
	s_delay_alu instid0(VALU_DEP_2) | instskip(NEXT) | instid1(VALU_DEP_1)
	v_add_nc_u32_e32 v18, v12, v18
	v_lshrrev_b32_e32 v0, s55, v18
	v_mul_lo_u32 v18, v12, s50
	s_delay_alu instid0(VALU_DEP_2) | instskip(NEXT) | instid1(VALU_DEP_2)
	v_mul_lo_u32 v44, v0, s53
	v_sub_nc_u32_e32 v11, v11, v18
	s_delay_alu instid0(VALU_DEP_2) | instskip(NEXT) | instid1(VALU_DEP_2)
	v_sub_nc_u32_e32 v12, v12, v44
	v_mul_lo_u32 v11, v11, s58
	s_delay_alu instid0(VALU_DEP_2) | instskip(NEXT) | instid1(VALU_DEP_1)
	v_mul_lo_u32 v12, v12, s59
	v_add3_u32 v9, v11, v9, v12
	s_cbranch_scc1 .LBB35_24
; %bb.25:                               ;   in Loop: Header=BB35_9 Depth=1
	s_mov_b32 s24, s36
	s_and_not1_b32 vcc_lo, exec_lo, s38
	s_cbranch_vccz .LBB35_28
	s_branch .LBB35_30
.LBB35_26:                              ;   in Loop: Header=BB35_9 Depth=1
                                        ; implicit-def: $vgpr9
	s_branch .LBB35_31
.LBB35_27:                              ;   in Loop: Header=BB35_9 Depth=1
	v_mov_b32_e32 v0, v15
	s_and_not1_b32 vcc_lo, exec_lo, s38
	s_cbranch_vccnz .LBB35_30
.LBB35_28:                              ;   in Loop: Header=BB35_9 Depth=1
	s_lshl_b32 s25, s24, 2
	s_mul_i32 s26, s24, 12
	s_add_u32 s24, s0, s25
	s_addc_u32 s25, s1, 0
	s_add_u32 s26, s18, s26
	s_addc_u32 s27, s19, 0
	s_mov_b32 s40, s34
	.p2align	6
.LBB35_29:                              ;   Parent Loop BB35_9 Depth=1
                                        ; =>  This Inner Loop Header: Depth=2
	s_clause 0x1
	s_load_b64 s[42:43], s[26:27], 0x4
	s_load_b32 s41, s[26:27], 0xc
	s_add_u32 s26, s26, 12
	s_addc_u32 s27, s27, 0
	s_waitcnt lgkmcnt(0)
	v_mul_hi_u32 v10, s43, v0
	s_load_b32 s43, s[24:25], 0x0
	s_add_u32 s24, s24, 4
	s_addc_u32 s25, s25, 0
	s_add_i32 s40, s40, -1
	s_delay_alu instid0(SALU_CYCLE_1) | instskip(NEXT) | instid1(VALU_DEP_1)
	s_cmp_lg_u32 s40, 0
	v_add_nc_u32_e32 v10, v0, v10
	s_delay_alu instid0(VALU_DEP_1) | instskip(NEXT) | instid1(VALU_DEP_1)
	v_lshrrev_b32_e32 v12, s41, v10
	v_mul_lo_u32 v10, v12, s42
	s_delay_alu instid0(VALU_DEP_1) | instskip(SKIP_1) | instid1(VALU_DEP_1)
	v_sub_nc_u32_e32 v0, v0, v10
	s_waitcnt lgkmcnt(0)
	v_mad_u64_u32 v[10:11], null, v0, s43, v[9:10]
	s_delay_alu instid0(VALU_DEP_1)
	v_dual_mov_b32 v0, v12 :: v_dual_mov_b32 v9, v10
	s_cbranch_scc1 .LBB35_29
.LBB35_30:                              ;   in Loop: Header=BB35_9 Depth=1
	s_cbranch_execnz .LBB35_33
.LBB35_31:                              ;   in Loop: Header=BB35_9 Depth=1
	v_mul_hi_u32 v0, v15, s6
	s_and_not1_b32 vcc_lo, exec_lo, s4
	s_delay_alu instid0(VALU_DEP_1) | instskip(NEXT) | instid1(VALU_DEP_1)
	v_add_nc_u32_e32 v0, v0, v15
	v_lshrrev_b32_e32 v0, s7, v0
	s_delay_alu instid0(VALU_DEP_1) | instskip(NEXT) | instid1(VALU_DEP_1)
	v_mul_lo_u32 v9, v0, s5
	v_sub_nc_u32_e32 v9, v15, v9
	s_delay_alu instid0(VALU_DEP_1)
	v_mul_lo_u32 v9, v9, s22
	s_cbranch_vccnz .LBB35_33
; %bb.32:                               ;   in Loop: Header=BB35_9 Depth=1
	v_mul_hi_u32 v10, s9, v0
	s_delay_alu instid0(VALU_DEP_1) | instskip(NEXT) | instid1(VALU_DEP_1)
	v_add_nc_u32_e32 v10, v0, v10
	v_lshrrev_b32_e32 v10, s10, v10
	s_delay_alu instid0(VALU_DEP_1) | instskip(NEXT) | instid1(VALU_DEP_1)
	v_mul_lo_u32 v10, v10, s8
	v_sub_nc_u32_e32 v0, v0, v10
	s_delay_alu instid0(VALU_DEP_1) | instskip(NEXT) | instid1(VALU_DEP_1)
	v_mad_u64_u32 v[10:11], null, v0, s23, v[9:10]
	v_mov_b32_e32 v9, v10
.LBB35_33:                              ;   in Loop: Header=BB35_9 Depth=1
	v_mov_b32_e32 v0, v2
	s_mov_b32 s24, exec_lo
	s_delay_alu instid0(VALU_DEP_1)
	v_cmpx_le_u64_e64 s[14:15], v[0:1]
	s_cbranch_execz .LBB35_35
; %bb.34:                               ;   in Loop: Header=BB35_9 Depth=1
	v_cvt_f32_u32_e32 v2, s14
	s_sub_i32 s25, 0, s14
	s_delay_alu instid0(VALU_DEP_1) | instskip(SKIP_2) | instid1(VALU_DEP_1)
	v_rcp_iflag_f32_e32 v2, v2
	s_waitcnt_depctr 0xfff
	v_mul_f32_e32 v2, 0x4f7ffffe, v2
	v_cvt_u32_f32_e32 v2, v2
	s_delay_alu instid0(VALU_DEP_1) | instskip(NEXT) | instid1(VALU_DEP_1)
	v_mul_lo_u32 v10, s25, v2
	v_mul_hi_u32 v10, v2, v10
	s_delay_alu instid0(VALU_DEP_1) | instskip(NEXT) | instid1(VALU_DEP_1)
	v_add_nc_u32_e32 v2, v2, v10
	v_mul_hi_u32 v2, v0, v2
	s_delay_alu instid0(VALU_DEP_1) | instskip(NEXT) | instid1(VALU_DEP_1)
	v_mul_lo_u32 v2, v2, s14
	v_sub_nc_u32_e32 v0, v0, v2
	s_delay_alu instid0(VALU_DEP_1) | instskip(SKIP_1) | instid1(VALU_DEP_2)
	v_subrev_nc_u32_e32 v2, s14, v0
	v_cmp_le_u32_e32 vcc_lo, s14, v0
	v_cndmask_b32_e32 v0, v0, v2, vcc_lo
	s_delay_alu instid0(VALU_DEP_1) | instskip(SKIP_1) | instid1(VALU_DEP_2)
	v_subrev_nc_u32_e32 v2, s14, v0
	v_cmp_le_u32_e32 vcc_lo, s14, v0
	v_cndmask_b32_e32 v0, v0, v2, vcc_lo
.LBB35_35:                              ;   in Loop: Header=BB35_9 Depth=1
	s_or_b32 exec_lo, exec_lo, s24
	s_delay_alu instid0(VALU_DEP_1) | instskip(SKIP_1) | instid1(VALU_DEP_1)
	v_add_co_u32 v10, vcc_lo, v0, s20
	v_add_co_ci_u32_e32 v11, vcc_lo, s21, v1, vcc_lo
	v_xor_b32_e32 v0, v10, v11
	v_cls_i32_e32 v2, v11
	s_delay_alu instid0(VALU_DEP_2) | instskip(NEXT) | instid1(VALU_DEP_2)
	v_ashrrev_i32_e32 v0, 31, v0
	v_add_nc_u32_e32 v2, -1, v2
	s_delay_alu instid0(VALU_DEP_2) | instskip(NEXT) | instid1(VALU_DEP_1)
	v_add_nc_u32_e32 v0, 32, v0
	v_min_u32_e32 v0, v2, v0
	s_delay_alu instid0(VALU_DEP_1) | instskip(SKIP_1) | instid1(VALU_DEP_2)
	v_lshlrev_b64 v[10:11], v0, v[10:11]
	v_sub_nc_u32_e32 v0, 32, v0
	v_min_u32_e32 v2, 1, v10
	s_delay_alu instid0(VALU_DEP_1) | instskip(NEXT) | instid1(VALU_DEP_1)
	v_or_b32_e32 v2, v11, v2
	v_cvt_f32_i32_e32 v2, v2
	s_delay_alu instid0(VALU_DEP_1) | instskip(NEXT) | instid1(VALU_DEP_1)
	v_ldexp_f32 v0, v2, v0
	v_cvt_f16_f32_e32 v0, v0
	global_store_b16 v9, v0, s[12:13]
.LBB35_36:                              ;   in Loop: Header=BB35_9 Depth=1
	s_or_b32 exec_lo, exec_lo, s39
	v_add_co_u32 v9, vcc_lo, v15, s28
	v_add_co_ci_u32_e32 v10, vcc_lo, 0, v16, vcc_lo
	s_mov_b32 s39, exec_lo
	s_delay_alu instid0(VALU_DEP_1)
	v_cmpx_gt_i64_e64 s[16:17], v[9:10]
	s_cbranch_execz .LBB35_53
; %bb.37:                               ;   in Loop: Header=BB35_9 Depth=1
	s_and_not1_b32 vcc_lo, exec_lo, s11
	s_cbranch_vccnz .LBB35_43
; %bb.38:                               ;   in Loop: Header=BB35_9 Depth=1
	v_mov_b32_e32 v2, 0
	s_and_not1_b32 vcc_lo, exec_lo, s31
	s_cbranch_vccnz .LBB35_47
; %bb.39:                               ;   in Loop: Header=BB35_9 Depth=1
	s_and_not1_b32 vcc_lo, exec_lo, s35
	s_mov_b32 s24, 0
	s_cbranch_vccnz .LBB35_44
; %bb.40:                               ;   in Loop: Header=BB35_9 Depth=1
	v_mov_b32_e32 v2, 0
	v_mov_b32_e32 v0, v9
	s_mov_b32 s40, 0
	s_mov_b64 s[24:25], s[18:19]
	s_mov_b64 s[26:27], s[0:1]
.LBB35_41:                              ;   Parent Loop BB35_9 Depth=1
                                        ; =>  This Inner Loop Header: Depth=2
	s_clause 0x1
	s_load_b256 s[44:51], s[24:25], 0x4
	s_load_b128 s[52:55], s[24:25], 0x24
	s_load_b128 s[56:59], s[26:27], 0x0
	s_add_u32 s24, s24, 48
	s_addc_u32 s25, s25, 0
	s_add_i32 s40, s40, 4
	s_add_u32 s26, s26, 16
	s_addc_u32 s27, s27, 0
	s_cmp_eq_u32 s36, s40
	s_waitcnt lgkmcnt(0)
	v_mul_hi_u32 v10, s45, v0
	s_delay_alu instid0(VALU_DEP_1) | instskip(NEXT) | instid1(VALU_DEP_1)
	v_add_nc_u32_e32 v10, v0, v10
	v_lshrrev_b32_e32 v10, s46, v10
	s_delay_alu instid0(VALU_DEP_1) | instskip(SKIP_1) | instid1(VALU_DEP_2)
	v_mul_hi_u32 v11, s48, v10
	v_mul_lo_u32 v42, v10, s44
	v_add_nc_u32_e32 v11, v10, v11
	s_delay_alu instid0(VALU_DEP_2) | instskip(NEXT) | instid1(VALU_DEP_2)
	v_sub_nc_u32_e32 v42, v0, v42
	v_lshrrev_b32_e32 v11, s49, v11
	s_delay_alu instid0(VALU_DEP_2) | instskip(NEXT) | instid1(VALU_DEP_2)
	v_mul_lo_u32 v42, v42, s56
	v_mul_hi_u32 v12, s51, v11
	v_mul_lo_u32 v43, v11, s47
	s_delay_alu instid0(VALU_DEP_2) | instskip(NEXT) | instid1(VALU_DEP_2)
	v_add_nc_u32_e32 v12, v11, v12
	v_sub_nc_u32_e32 v10, v10, v43
	s_delay_alu instid0(VALU_DEP_2) | instskip(NEXT) | instid1(VALU_DEP_2)
	v_lshrrev_b32_e32 v12, s52, v12
	v_mul_lo_u32 v10, v10, s57
	s_delay_alu instid0(VALU_DEP_2) | instskip(NEXT) | instid1(VALU_DEP_2)
	v_mul_hi_u32 v18, s54, v12
	v_add3_u32 v2, v42, v2, v10
	s_delay_alu instid0(VALU_DEP_2) | instskip(NEXT) | instid1(VALU_DEP_1)
	v_add_nc_u32_e32 v18, v12, v18
	v_lshrrev_b32_e32 v0, s55, v18
	v_mul_lo_u32 v18, v12, s50
	s_delay_alu instid0(VALU_DEP_2) | instskip(NEXT) | instid1(VALU_DEP_2)
	v_mul_lo_u32 v44, v0, s53
	v_sub_nc_u32_e32 v11, v11, v18
	s_delay_alu instid0(VALU_DEP_2) | instskip(NEXT) | instid1(VALU_DEP_2)
	v_sub_nc_u32_e32 v12, v12, v44
	v_mul_lo_u32 v11, v11, s58
	s_delay_alu instid0(VALU_DEP_2) | instskip(NEXT) | instid1(VALU_DEP_1)
	v_mul_lo_u32 v12, v12, s59
	v_add3_u32 v2, v11, v2, v12
	s_cbranch_scc0 .LBB35_41
; %bb.42:                               ;   in Loop: Header=BB35_9 Depth=1
	s_mov_b32 s24, s36
	s_and_not1_b32 vcc_lo, exec_lo, s38
	s_cbranch_vccz .LBB35_45
	s_branch .LBB35_47
.LBB35_43:                              ;   in Loop: Header=BB35_9 Depth=1
                                        ; implicit-def: $vgpr2
	s_branch .LBB35_48
.LBB35_44:                              ;   in Loop: Header=BB35_9 Depth=1
	v_mov_b32_e32 v0, v9
	s_and_not1_b32 vcc_lo, exec_lo, s38
	s_cbranch_vccnz .LBB35_47
.LBB35_45:                              ;   in Loop: Header=BB35_9 Depth=1
	s_lshl_b32 s25, s24, 2
	s_mul_i32 s26, s24, 12
	s_add_u32 s24, s0, s25
	s_addc_u32 s25, s1, 0
	s_add_u32 s26, s18, s26
	s_addc_u32 s27, s19, 0
	s_mov_b32 s40, s34
	.p2align	6
.LBB35_46:                              ;   Parent Loop BB35_9 Depth=1
                                        ; =>  This Inner Loop Header: Depth=2
	s_clause 0x1
	s_load_b64 s[42:43], s[26:27], 0x4
	s_load_b32 s41, s[26:27], 0xc
	s_add_u32 s26, s26, 12
	s_addc_u32 s27, s27, 0
	s_waitcnt lgkmcnt(0)
	v_mul_hi_u32 v10, s43, v0
	s_load_b32 s43, s[24:25], 0x0
	s_add_u32 s24, s24, 4
	s_addc_u32 s25, s25, 0
	s_add_i32 s40, s40, -1
	s_delay_alu instid0(SALU_CYCLE_1) | instskip(NEXT) | instid1(VALU_DEP_1)
	s_cmp_lg_u32 s40, 0
	v_add_nc_u32_e32 v10, v0, v10
	s_delay_alu instid0(VALU_DEP_1) | instskip(NEXT) | instid1(VALU_DEP_1)
	v_lshrrev_b32_e32 v12, s41, v10
	v_mul_lo_u32 v10, v12, s42
	s_delay_alu instid0(VALU_DEP_1) | instskip(SKIP_1) | instid1(VALU_DEP_1)
	v_sub_nc_u32_e32 v0, v0, v10
	s_waitcnt lgkmcnt(0)
	v_mad_u64_u32 v[10:11], null, v0, s43, v[2:3]
	v_mov_b32_e32 v0, v12
	s_delay_alu instid0(VALU_DEP_2)
	v_mov_b32_e32 v2, v10
	s_cbranch_scc1 .LBB35_46
.LBB35_47:                              ;   in Loop: Header=BB35_9 Depth=1
	s_cbranch_execnz .LBB35_50
.LBB35_48:                              ;   in Loop: Header=BB35_9 Depth=1
	v_mul_hi_u32 v0, v9, s6
	s_and_not1_b32 vcc_lo, exec_lo, s4
	s_delay_alu instid0(VALU_DEP_1) | instskip(NEXT) | instid1(VALU_DEP_1)
	v_add_nc_u32_e32 v0, v0, v9
	v_lshrrev_b32_e32 v0, s7, v0
	s_delay_alu instid0(VALU_DEP_1) | instskip(NEXT) | instid1(VALU_DEP_1)
	v_mul_lo_u32 v2, v0, s5
	v_sub_nc_u32_e32 v2, v9, v2
	s_delay_alu instid0(VALU_DEP_1)
	v_mul_lo_u32 v2, v2, s22
	s_cbranch_vccnz .LBB35_50
; %bb.49:                               ;   in Loop: Header=BB35_9 Depth=1
	v_mul_hi_u32 v9, s9, v0
	s_delay_alu instid0(VALU_DEP_1) | instskip(NEXT) | instid1(VALU_DEP_1)
	v_add_nc_u32_e32 v9, v0, v9
	v_lshrrev_b32_e32 v9, s10, v9
	s_delay_alu instid0(VALU_DEP_1) | instskip(NEXT) | instid1(VALU_DEP_1)
	v_mul_lo_u32 v9, v9, s8
	v_sub_nc_u32_e32 v0, v0, v9
	s_delay_alu instid0(VALU_DEP_1) | instskip(NEXT) | instid1(VALU_DEP_1)
	v_mad_u64_u32 v[9:10], null, v0, s23, v[2:3]
	v_mov_b32_e32 v2, v9
.LBB35_50:                              ;   in Loop: Header=BB35_9 Depth=1
	v_mov_b32_e32 v0, v3
	s_mov_b32 s24, exec_lo
	s_delay_alu instid0(VALU_DEP_1)
	v_cmpx_le_u64_e64 s[14:15], v[0:1]
	s_cbranch_execz .LBB35_52
; %bb.51:                               ;   in Loop: Header=BB35_9 Depth=1
	v_cvt_f32_u32_e32 v3, s14
	s_sub_i32 s25, 0, s14
	s_delay_alu instid0(VALU_DEP_1) | instskip(SKIP_2) | instid1(VALU_DEP_1)
	v_rcp_iflag_f32_e32 v3, v3
	s_waitcnt_depctr 0xfff
	v_mul_f32_e32 v3, 0x4f7ffffe, v3
	v_cvt_u32_f32_e32 v3, v3
	s_delay_alu instid0(VALU_DEP_1) | instskip(NEXT) | instid1(VALU_DEP_1)
	v_mul_lo_u32 v9, s25, v3
	v_mul_hi_u32 v9, v3, v9
	s_delay_alu instid0(VALU_DEP_1) | instskip(NEXT) | instid1(VALU_DEP_1)
	v_add_nc_u32_e32 v3, v3, v9
	v_mul_hi_u32 v3, v0, v3
	s_delay_alu instid0(VALU_DEP_1) | instskip(NEXT) | instid1(VALU_DEP_1)
	v_mul_lo_u32 v3, v3, s14
	v_sub_nc_u32_e32 v0, v0, v3
	s_delay_alu instid0(VALU_DEP_1) | instskip(SKIP_1) | instid1(VALU_DEP_2)
	v_subrev_nc_u32_e32 v3, s14, v0
	v_cmp_le_u32_e32 vcc_lo, s14, v0
	v_cndmask_b32_e32 v0, v0, v3, vcc_lo
	s_delay_alu instid0(VALU_DEP_1) | instskip(SKIP_1) | instid1(VALU_DEP_2)
	v_subrev_nc_u32_e32 v3, s14, v0
	v_cmp_le_u32_e32 vcc_lo, s14, v0
	v_cndmask_b32_e32 v0, v0, v3, vcc_lo
.LBB35_52:                              ;   in Loop: Header=BB35_9 Depth=1
	s_or_b32 exec_lo, exec_lo, s24
	s_delay_alu instid0(VALU_DEP_1) | instskip(SKIP_1) | instid1(VALU_DEP_1)
	v_add_co_u32 v9, vcc_lo, v0, s20
	v_add_co_ci_u32_e32 v10, vcc_lo, s21, v1, vcc_lo
	v_xor_b32_e32 v0, v9, v10
	v_cls_i32_e32 v3, v10
	s_delay_alu instid0(VALU_DEP_2) | instskip(NEXT) | instid1(VALU_DEP_2)
	v_ashrrev_i32_e32 v0, 31, v0
	v_add_nc_u32_e32 v3, -1, v3
	s_delay_alu instid0(VALU_DEP_2) | instskip(NEXT) | instid1(VALU_DEP_1)
	v_add_nc_u32_e32 v0, 32, v0
	v_min_u32_e32 v0, v3, v0
	s_delay_alu instid0(VALU_DEP_1) | instskip(SKIP_1) | instid1(VALU_DEP_2)
	v_lshlrev_b64 v[9:10], v0, v[9:10]
	v_sub_nc_u32_e32 v0, 32, v0
	v_min_u32_e32 v3, 1, v9
	s_delay_alu instid0(VALU_DEP_1) | instskip(NEXT) | instid1(VALU_DEP_1)
	v_or_b32_e32 v3, v10, v3
	v_cvt_f32_i32_e32 v3, v3
	s_delay_alu instid0(VALU_DEP_1) | instskip(NEXT) | instid1(VALU_DEP_1)
	v_ldexp_f32 v0, v3, v0
	v_cvt_f16_f32_e32 v0, v0
	global_store_b16 v2, v0, s[12:13]
.LBB35_53:                              ;   in Loop: Header=BB35_9 Depth=1
	s_or_b32 exec_lo, exec_lo, s39
	v_add_co_u32 v9, vcc_lo, v15, s33
	v_add_co_ci_u32_e32 v10, vcc_lo, 0, v16, vcc_lo
	s_mov_b32 s39, exec_lo
	s_delay_alu instid0(VALU_DEP_1)
	v_cmpx_gt_i64_e64 s[16:17], v[9:10]
	s_cbranch_execz .LBB35_70
; %bb.54:                               ;   in Loop: Header=BB35_9 Depth=1
	s_and_not1_b32 vcc_lo, exec_lo, s11
	s_cbranch_vccnz .LBB35_60
; %bb.55:                               ;   in Loop: Header=BB35_9 Depth=1
	v_mov_b32_e32 v2, 0
	s_and_not1_b32 vcc_lo, exec_lo, s31
	s_cbranch_vccnz .LBB35_64
; %bb.56:                               ;   in Loop: Header=BB35_9 Depth=1
	s_and_not1_b32 vcc_lo, exec_lo, s35
	s_mov_b32 s24, 0
	s_cbranch_vccnz .LBB35_61
; %bb.57:                               ;   in Loop: Header=BB35_9 Depth=1
	v_mov_b32_e32 v2, 0
	v_mov_b32_e32 v0, v9
	s_mov_b32 s40, 0
	s_mov_b64 s[24:25], s[18:19]
	s_mov_b64 s[26:27], s[0:1]
.LBB35_58:                              ;   Parent Loop BB35_9 Depth=1
                                        ; =>  This Inner Loop Header: Depth=2
	s_clause 0x1
	s_load_b256 s[44:51], s[24:25], 0x4
	s_load_b128 s[52:55], s[24:25], 0x24
	s_load_b128 s[56:59], s[26:27], 0x0
	s_add_u32 s24, s24, 48
	s_addc_u32 s25, s25, 0
	s_add_i32 s40, s40, 4
	s_add_u32 s26, s26, 16
	s_addc_u32 s27, s27, 0
	s_cmp_eq_u32 s36, s40
	s_waitcnt lgkmcnt(0)
	v_mul_hi_u32 v3, s45, v0
	s_delay_alu instid0(VALU_DEP_1) | instskip(NEXT) | instid1(VALU_DEP_1)
	v_add_nc_u32_e32 v3, v0, v3
	v_lshrrev_b32_e32 v3, s46, v3
	s_delay_alu instid0(VALU_DEP_1) | instskip(SKIP_1) | instid1(VALU_DEP_2)
	v_mul_hi_u32 v10, s48, v3
	v_mul_lo_u32 v18, v3, s44
	v_add_nc_u32_e32 v10, v3, v10
	s_delay_alu instid0(VALU_DEP_2) | instskip(NEXT) | instid1(VALU_DEP_2)
	v_sub_nc_u32_e32 v18, v0, v18
	v_lshrrev_b32_e32 v10, s49, v10
	s_delay_alu instid0(VALU_DEP_2) | instskip(NEXT) | instid1(VALU_DEP_2)
	v_mul_lo_u32 v18, v18, s56
	v_mul_hi_u32 v11, s51, v10
	v_mul_lo_u32 v42, v10, s47
	s_delay_alu instid0(VALU_DEP_2) | instskip(NEXT) | instid1(VALU_DEP_2)
	v_add_nc_u32_e32 v11, v10, v11
	v_sub_nc_u32_e32 v3, v3, v42
	s_delay_alu instid0(VALU_DEP_2) | instskip(NEXT) | instid1(VALU_DEP_2)
	v_lshrrev_b32_e32 v11, s52, v11
	v_mul_lo_u32 v3, v3, s57
	s_delay_alu instid0(VALU_DEP_2) | instskip(NEXT) | instid1(VALU_DEP_2)
	v_mul_hi_u32 v12, s54, v11
	v_add3_u32 v2, v18, v2, v3
	s_delay_alu instid0(VALU_DEP_2) | instskip(NEXT) | instid1(VALU_DEP_1)
	v_add_nc_u32_e32 v12, v11, v12
	v_lshrrev_b32_e32 v0, s55, v12
	v_mul_lo_u32 v12, v11, s50
	s_delay_alu instid0(VALU_DEP_2) | instskip(NEXT) | instid1(VALU_DEP_2)
	v_mul_lo_u32 v43, v0, s53
	v_sub_nc_u32_e32 v10, v10, v12
	s_delay_alu instid0(VALU_DEP_2) | instskip(NEXT) | instid1(VALU_DEP_2)
	v_sub_nc_u32_e32 v11, v11, v43
	v_mul_lo_u32 v10, v10, s58
	s_delay_alu instid0(VALU_DEP_2) | instskip(NEXT) | instid1(VALU_DEP_1)
	v_mul_lo_u32 v11, v11, s59
	v_add3_u32 v2, v10, v2, v11
	s_cbranch_scc0 .LBB35_58
; %bb.59:                               ;   in Loop: Header=BB35_9 Depth=1
	s_mov_b32 s24, s36
	s_and_not1_b32 vcc_lo, exec_lo, s38
	s_cbranch_vccz .LBB35_62
	s_branch .LBB35_64
.LBB35_60:                              ;   in Loop: Header=BB35_9 Depth=1
                                        ; implicit-def: $vgpr2
	s_branch .LBB35_65
.LBB35_61:                              ;   in Loop: Header=BB35_9 Depth=1
	v_mov_b32_e32 v0, v9
	s_and_not1_b32 vcc_lo, exec_lo, s38
	s_cbranch_vccnz .LBB35_64
.LBB35_62:                              ;   in Loop: Header=BB35_9 Depth=1
	s_lshl_b32 s25, s24, 2
	s_mul_i32 s26, s24, 12
	s_add_u32 s24, s0, s25
	s_addc_u32 s25, s1, 0
	s_add_u32 s26, s18, s26
	s_addc_u32 s27, s19, 0
	s_mov_b32 s40, s34
	.p2align	6
.LBB35_63:                              ;   Parent Loop BB35_9 Depth=1
                                        ; =>  This Inner Loop Header: Depth=2
	s_clause 0x1
	s_load_b64 s[42:43], s[26:27], 0x4
	s_load_b32 s41, s[26:27], 0xc
	s_add_u32 s26, s26, 12
	s_addc_u32 s27, s27, 0
	s_waitcnt lgkmcnt(0)
	v_mul_hi_u32 v3, s43, v0
	s_load_b32 s43, s[24:25], 0x0
	s_add_u32 s24, s24, 4
	s_addc_u32 s25, s25, 0
	s_add_i32 s40, s40, -1
	s_delay_alu instid0(SALU_CYCLE_1) | instskip(NEXT) | instid1(VALU_DEP_1)
	s_cmp_lg_u32 s40, 0
	v_add_nc_u32_e32 v3, v0, v3
	s_delay_alu instid0(VALU_DEP_1) | instskip(NEXT) | instid1(VALU_DEP_1)
	v_lshrrev_b32_e32 v3, s41, v3
	v_mul_lo_u32 v10, v3, s42
	s_delay_alu instid0(VALU_DEP_1) | instskip(SKIP_1) | instid1(VALU_DEP_1)
	v_sub_nc_u32_e32 v0, v0, v10
	s_waitcnt lgkmcnt(0)
	v_mad_u64_u32 v[10:11], null, v0, s43, v[2:3]
	v_mov_b32_e32 v0, v3
	s_delay_alu instid0(VALU_DEP_2)
	v_mov_b32_e32 v2, v10
	s_cbranch_scc1 .LBB35_63
.LBB35_64:                              ;   in Loop: Header=BB35_9 Depth=1
	s_cbranch_execnz .LBB35_67
.LBB35_65:                              ;   in Loop: Header=BB35_9 Depth=1
	v_mul_hi_u32 v0, v9, s6
	s_and_not1_b32 vcc_lo, exec_lo, s4
	s_delay_alu instid0(VALU_DEP_1) | instskip(NEXT) | instid1(VALU_DEP_1)
	v_add_nc_u32_e32 v0, v0, v9
	v_lshrrev_b32_e32 v0, s7, v0
	s_delay_alu instid0(VALU_DEP_1) | instskip(NEXT) | instid1(VALU_DEP_1)
	v_mul_lo_u32 v2, v0, s5
	v_sub_nc_u32_e32 v2, v9, v2
	s_delay_alu instid0(VALU_DEP_1)
	v_mul_lo_u32 v2, v2, s22
	s_cbranch_vccnz .LBB35_67
; %bb.66:                               ;   in Loop: Header=BB35_9 Depth=1
	v_mul_hi_u32 v3, s9, v0
	s_delay_alu instid0(VALU_DEP_1) | instskip(NEXT) | instid1(VALU_DEP_1)
	v_add_nc_u32_e32 v3, v0, v3
	v_lshrrev_b32_e32 v3, s10, v3
	s_delay_alu instid0(VALU_DEP_1) | instskip(NEXT) | instid1(VALU_DEP_1)
	v_mul_lo_u32 v3, v3, s8
	v_sub_nc_u32_e32 v0, v0, v3
	s_delay_alu instid0(VALU_DEP_1) | instskip(NEXT) | instid1(VALU_DEP_1)
	v_mad_u64_u32 v[9:10], null, v0, s23, v[2:3]
	v_mov_b32_e32 v2, v9
.LBB35_67:                              ;   in Loop: Header=BB35_9 Depth=1
	v_mov_b32_e32 v0, v4
	s_mov_b32 s24, exec_lo
	s_delay_alu instid0(VALU_DEP_1)
	v_cmpx_le_u64_e64 s[14:15], v[0:1]
	s_cbranch_execz .LBB35_69
; %bb.68:                               ;   in Loop: Header=BB35_9 Depth=1
	v_cvt_f32_u32_e32 v3, s14
	s_sub_i32 s25, 0, s14
	s_delay_alu instid0(VALU_DEP_1) | instskip(SKIP_2) | instid1(VALU_DEP_1)
	v_rcp_iflag_f32_e32 v3, v3
	s_waitcnt_depctr 0xfff
	v_mul_f32_e32 v3, 0x4f7ffffe, v3
	v_cvt_u32_f32_e32 v3, v3
	s_delay_alu instid0(VALU_DEP_1) | instskip(NEXT) | instid1(VALU_DEP_1)
	v_mul_lo_u32 v4, s25, v3
	v_mul_hi_u32 v4, v3, v4
	s_delay_alu instid0(VALU_DEP_1) | instskip(NEXT) | instid1(VALU_DEP_1)
	v_add_nc_u32_e32 v3, v3, v4
	v_mul_hi_u32 v3, v0, v3
	s_delay_alu instid0(VALU_DEP_1) | instskip(NEXT) | instid1(VALU_DEP_1)
	v_mul_lo_u32 v3, v3, s14
	v_sub_nc_u32_e32 v0, v0, v3
	s_delay_alu instid0(VALU_DEP_1) | instskip(SKIP_1) | instid1(VALU_DEP_2)
	v_subrev_nc_u32_e32 v3, s14, v0
	v_cmp_le_u32_e32 vcc_lo, s14, v0
	v_cndmask_b32_e32 v0, v0, v3, vcc_lo
	s_delay_alu instid0(VALU_DEP_1) | instskip(SKIP_1) | instid1(VALU_DEP_2)
	v_subrev_nc_u32_e32 v3, s14, v0
	v_cmp_le_u32_e32 vcc_lo, s14, v0
	v_cndmask_b32_e32 v0, v0, v3, vcc_lo
.LBB35_69:                              ;   in Loop: Header=BB35_9 Depth=1
	s_or_b32 exec_lo, exec_lo, s24
	s_delay_alu instid0(VALU_DEP_1) | instskip(SKIP_1) | instid1(VALU_DEP_1)
	v_add_co_u32 v3, vcc_lo, v0, s20
	v_add_co_ci_u32_e32 v4, vcc_lo, s21, v1, vcc_lo
	v_xor_b32_e32 v0, v3, v4
	v_cls_i32_e32 v9, v4
	s_delay_alu instid0(VALU_DEP_2) | instskip(NEXT) | instid1(VALU_DEP_2)
	v_ashrrev_i32_e32 v0, 31, v0
	v_add_nc_u32_e32 v9, -1, v9
	s_delay_alu instid0(VALU_DEP_2) | instskip(NEXT) | instid1(VALU_DEP_1)
	v_add_nc_u32_e32 v0, 32, v0
	v_min_u32_e32 v0, v9, v0
	s_delay_alu instid0(VALU_DEP_1) | instskip(SKIP_1) | instid1(VALU_DEP_2)
	v_lshlrev_b64 v[3:4], v0, v[3:4]
	v_sub_nc_u32_e32 v0, 32, v0
	v_min_u32_e32 v3, 1, v3
	s_delay_alu instid0(VALU_DEP_1) | instskip(NEXT) | instid1(VALU_DEP_1)
	v_or_b32_e32 v3, v4, v3
	v_cvt_f32_i32_e32 v3, v3
	s_delay_alu instid0(VALU_DEP_1) | instskip(NEXT) | instid1(VALU_DEP_1)
	v_ldexp_f32 v0, v3, v0
	v_cvt_f16_f32_e32 v0, v0
	global_store_b16 v2, v0, s[12:13]
.LBB35_70:                              ;   in Loop: Header=BB35_9 Depth=1
	s_or_b32 exec_lo, exec_lo, s39
	v_add_co_u32 v3, vcc_lo, v15, s37
	v_add_co_ci_u32_e32 v4, vcc_lo, 0, v16, vcc_lo
	s_mov_b32 s39, exec_lo
	s_delay_alu instid0(VALU_DEP_1)
	v_cmpx_gt_i64_e64 s[16:17], v[3:4]
	s_cbranch_execz .LBB35_8
; %bb.71:                               ;   in Loop: Header=BB35_9 Depth=1
	s_and_not1_b32 vcc_lo, exec_lo, s11
	s_cbranch_vccnz .LBB35_77
; %bb.72:                               ;   in Loop: Header=BB35_9 Depth=1
	v_mov_b32_e32 v2, 0
	s_and_not1_b32 vcc_lo, exec_lo, s31
	s_cbranch_vccnz .LBB35_81
; %bb.73:                               ;   in Loop: Header=BB35_9 Depth=1
	s_and_not1_b32 vcc_lo, exec_lo, s35
	s_mov_b32 s24, 0
	s_cbranch_vccnz .LBB35_78
; %bb.74:                               ;   in Loop: Header=BB35_9 Depth=1
	v_mov_b32_e32 v2, 0
	v_mov_b32_e32 v0, v3
	s_mov_b32 s40, 0
	s_mov_b64 s[24:25], s[18:19]
	s_mov_b64 s[26:27], s[0:1]
.LBB35_75:                              ;   Parent Loop BB35_9 Depth=1
                                        ; =>  This Inner Loop Header: Depth=2
	s_clause 0x1
	s_load_b256 s[44:51], s[24:25], 0x4
	s_load_b128 s[52:55], s[24:25], 0x24
	s_load_b128 s[56:59], s[26:27], 0x0
	s_add_u32 s24, s24, 48
	s_addc_u32 s25, s25, 0
	s_add_i32 s40, s40, 4
	s_add_u32 s26, s26, 16
	s_addc_u32 s27, s27, 0
	s_cmp_eq_u32 s36, s40
	s_waitcnt lgkmcnt(0)
	v_mul_hi_u32 v4, s45, v0
	s_delay_alu instid0(VALU_DEP_1) | instskip(NEXT) | instid1(VALU_DEP_1)
	v_add_nc_u32_e32 v4, v0, v4
	v_lshrrev_b32_e32 v4, s46, v4
	s_delay_alu instid0(VALU_DEP_1) | instskip(SKIP_1) | instid1(VALU_DEP_2)
	v_mul_hi_u32 v9, s48, v4
	v_mul_lo_u32 v12, v4, s44
	v_add_nc_u32_e32 v9, v4, v9
	s_delay_alu instid0(VALU_DEP_2) | instskip(NEXT) | instid1(VALU_DEP_2)
	v_sub_nc_u32_e32 v12, v0, v12
	v_lshrrev_b32_e32 v9, s49, v9
	s_delay_alu instid0(VALU_DEP_2) | instskip(NEXT) | instid1(VALU_DEP_2)
	v_mul_lo_u32 v12, v12, s56
	v_mul_hi_u32 v10, s51, v9
	v_mul_lo_u32 v18, v9, s47
	s_delay_alu instid0(VALU_DEP_2) | instskip(NEXT) | instid1(VALU_DEP_2)
	v_add_nc_u32_e32 v10, v9, v10
	v_sub_nc_u32_e32 v4, v4, v18
	s_delay_alu instid0(VALU_DEP_2) | instskip(NEXT) | instid1(VALU_DEP_2)
	v_lshrrev_b32_e32 v10, s52, v10
	v_mul_lo_u32 v4, v4, s57
	s_delay_alu instid0(VALU_DEP_2) | instskip(NEXT) | instid1(VALU_DEP_2)
	v_mul_hi_u32 v11, s54, v10
	v_add3_u32 v2, v12, v2, v4
	s_delay_alu instid0(VALU_DEP_2) | instskip(NEXT) | instid1(VALU_DEP_1)
	v_add_nc_u32_e32 v11, v10, v11
	v_lshrrev_b32_e32 v0, s55, v11
	v_mul_lo_u32 v11, v10, s50
	s_delay_alu instid0(VALU_DEP_2) | instskip(NEXT) | instid1(VALU_DEP_2)
	v_mul_lo_u32 v42, v0, s53
	v_sub_nc_u32_e32 v9, v9, v11
	s_delay_alu instid0(VALU_DEP_2) | instskip(NEXT) | instid1(VALU_DEP_2)
	v_sub_nc_u32_e32 v10, v10, v42
	v_mul_lo_u32 v9, v9, s58
	s_delay_alu instid0(VALU_DEP_2) | instskip(NEXT) | instid1(VALU_DEP_1)
	v_mul_lo_u32 v10, v10, s59
	v_add3_u32 v2, v9, v2, v10
	s_cbranch_scc0 .LBB35_75
; %bb.76:                               ;   in Loop: Header=BB35_9 Depth=1
	s_mov_b32 s24, s36
	s_and_not1_b32 vcc_lo, exec_lo, s38
	s_cbranch_vccz .LBB35_79
	s_branch .LBB35_81
.LBB35_77:                              ;   in Loop: Header=BB35_9 Depth=1
                                        ; implicit-def: $vgpr2
	s_branch .LBB35_82
.LBB35_78:                              ;   in Loop: Header=BB35_9 Depth=1
	v_mov_b32_e32 v0, v3
	s_and_not1_b32 vcc_lo, exec_lo, s38
	s_cbranch_vccnz .LBB35_81
.LBB35_79:                              ;   in Loop: Header=BB35_9 Depth=1
	s_lshl_b32 s25, s24, 2
	s_mul_i32 s26, s24, 12
	s_add_u32 s24, s0, s25
	s_addc_u32 s25, s1, 0
	s_add_u32 s26, s18, s26
	s_addc_u32 s27, s19, 0
	s_mov_b32 s40, s34
	.p2align	6
.LBB35_80:                              ;   Parent Loop BB35_9 Depth=1
                                        ; =>  This Inner Loop Header: Depth=2
	s_clause 0x1
	s_load_b64 s[42:43], s[26:27], 0x4
	s_load_b32 s41, s[26:27], 0xc
	s_add_u32 s26, s26, 12
	s_addc_u32 s27, s27, 0
	s_waitcnt lgkmcnt(0)
	v_mul_hi_u32 v4, s43, v0
	s_load_b32 s43, s[24:25], 0x0
	s_add_u32 s24, s24, 4
	s_addc_u32 s25, s25, 0
	s_add_i32 s40, s40, -1
	s_delay_alu instid0(SALU_CYCLE_1) | instskip(NEXT) | instid1(VALU_DEP_1)
	s_cmp_lg_u32 s40, 0
	v_add_nc_u32_e32 v4, v0, v4
	s_delay_alu instid0(VALU_DEP_1) | instskip(NEXT) | instid1(VALU_DEP_1)
	v_lshrrev_b32_e32 v4, s41, v4
	v_mul_lo_u32 v9, v4, s42
	s_delay_alu instid0(VALU_DEP_1) | instskip(SKIP_1) | instid1(VALU_DEP_1)
	v_sub_nc_u32_e32 v0, v0, v9
	s_waitcnt lgkmcnt(0)
	v_mad_u64_u32 v[9:10], null, v0, s43, v[2:3]
	v_mov_b32_e32 v0, v4
	s_delay_alu instid0(VALU_DEP_2)
	v_mov_b32_e32 v2, v9
	s_cbranch_scc1 .LBB35_80
.LBB35_81:                              ;   in Loop: Header=BB35_9 Depth=1
	s_cbranch_execnz .LBB35_84
.LBB35_82:                              ;   in Loop: Header=BB35_9 Depth=1
	v_mul_hi_u32 v0, v3, s6
	s_and_not1_b32 vcc_lo, exec_lo, s4
	s_delay_alu instid0(VALU_DEP_1) | instskip(NEXT) | instid1(VALU_DEP_1)
	v_add_nc_u32_e32 v0, v0, v3
	v_lshrrev_b32_e32 v0, s7, v0
	s_delay_alu instid0(VALU_DEP_1) | instskip(NEXT) | instid1(VALU_DEP_1)
	v_mul_lo_u32 v2, v0, s5
	v_sub_nc_u32_e32 v2, v3, v2
	s_delay_alu instid0(VALU_DEP_1)
	v_mul_lo_u32 v2, v2, s22
	s_cbranch_vccnz .LBB35_84
; %bb.83:                               ;   in Loop: Header=BB35_9 Depth=1
	v_mul_hi_u32 v3, s9, v0
	s_delay_alu instid0(VALU_DEP_1) | instskip(NEXT) | instid1(VALU_DEP_1)
	v_add_nc_u32_e32 v3, v0, v3
	v_lshrrev_b32_e32 v3, s10, v3
	s_delay_alu instid0(VALU_DEP_1) | instskip(NEXT) | instid1(VALU_DEP_1)
	v_mul_lo_u32 v3, v3, s8
	v_sub_nc_u32_e32 v0, v0, v3
	s_delay_alu instid0(VALU_DEP_1) | instskip(NEXT) | instid1(VALU_DEP_1)
	v_mad_u64_u32 v[3:4], null, v0, s23, v[2:3]
	v_mov_b32_e32 v2, v3
.LBB35_84:                              ;   in Loop: Header=BB35_9 Depth=1
	v_mov_b32_e32 v0, v5
	s_mov_b32 s24, exec_lo
	s_delay_alu instid0(VALU_DEP_1)
	v_cmpx_le_u64_e64 s[14:15], v[0:1]
	s_cbranch_execz .LBB35_7
; %bb.85:                               ;   in Loop: Header=BB35_9 Depth=1
	v_cvt_f32_u32_e32 v3, s14
	s_sub_i32 s25, 0, s14
	s_delay_alu instid0(VALU_DEP_1) | instskip(SKIP_2) | instid1(VALU_DEP_1)
	v_rcp_iflag_f32_e32 v3, v3
	s_waitcnt_depctr 0xfff
	v_mul_f32_e32 v3, 0x4f7ffffe, v3
	v_cvt_u32_f32_e32 v3, v3
	s_delay_alu instid0(VALU_DEP_1) | instskip(NEXT) | instid1(VALU_DEP_1)
	v_mul_lo_u32 v4, s25, v3
	v_mul_hi_u32 v4, v3, v4
	s_delay_alu instid0(VALU_DEP_1) | instskip(NEXT) | instid1(VALU_DEP_1)
	v_add_nc_u32_e32 v3, v3, v4
	v_mul_hi_u32 v3, v0, v3
	s_delay_alu instid0(VALU_DEP_1) | instskip(NEXT) | instid1(VALU_DEP_1)
	v_mul_lo_u32 v3, v3, s14
	v_sub_nc_u32_e32 v0, v0, v3
	s_delay_alu instid0(VALU_DEP_1) | instskip(SKIP_1) | instid1(VALU_DEP_2)
	v_subrev_nc_u32_e32 v3, s14, v0
	v_cmp_le_u32_e32 vcc_lo, s14, v0
	v_cndmask_b32_e32 v0, v0, v3, vcc_lo
	s_delay_alu instid0(VALU_DEP_1) | instskip(SKIP_1) | instid1(VALU_DEP_2)
	v_subrev_nc_u32_e32 v3, s14, v0
	v_cmp_le_u32_e32 vcc_lo, s14, v0
	v_cndmask_b32_e32 v0, v0, v3, vcc_lo
	s_branch .LBB35_7
.LBB35_86:
	s_endpgm
.LBB35_87:
                                        ; implicit-def: $sgpr2_sgpr3
	s_branch .LBB35_4
	.section	.rodata,"a",@progbits
	.p2align	6, 0x0
	.amdhsa_kernel _ZN2at6native12_GLOBAL__N_143distribution_elementwise_grid_stride_kernelIjLi4EZZZNS0_9templates4cuda21random_from_to_kernelIPNS_17CUDAGeneratorImplEEEvRNS_18TensorIteratorBaseEmlT_ENKUlvE_clEvENKUlvE7_clEvEUlP25hiprandStatePhilox4_32_10E0_ZNS1_27distribution_nullary_kernelIN3c104HalfEj15HIP_vector_typeIjLj4EES7_SF_ZZZNS5_IS7_EEvS9_mlSA_ENKSB_clEvENKSC_clEvEUljE_EEvS9_T2_RKT3_T4_EUlijE0_EEvlNS_15PhiloxCudaStateET1_SM_
		.amdhsa_group_segment_fixed_size 0
		.amdhsa_private_segment_fixed_size 0
		.amdhsa_kernarg_size 592
		.amdhsa_user_sgpr_count 15
		.amdhsa_user_sgpr_dispatch_ptr 0
		.amdhsa_user_sgpr_queue_ptr 0
		.amdhsa_user_sgpr_kernarg_segment_ptr 1
		.amdhsa_user_sgpr_dispatch_id 0
		.amdhsa_user_sgpr_private_segment_size 0
		.amdhsa_wavefront_size32 1
		.amdhsa_uses_dynamic_stack 0
		.amdhsa_enable_private_segment 0
		.amdhsa_system_sgpr_workgroup_id_x 1
		.amdhsa_system_sgpr_workgroup_id_y 0
		.amdhsa_system_sgpr_workgroup_id_z 0
		.amdhsa_system_sgpr_workgroup_info 0
		.amdhsa_system_vgpr_workitem_id 0
		.amdhsa_next_free_vgpr 45
		.amdhsa_next_free_sgpr 60
		.amdhsa_reserve_vcc 1
		.amdhsa_float_round_mode_32 0
		.amdhsa_float_round_mode_16_64 0
		.amdhsa_float_denorm_mode_32 3
		.amdhsa_float_denorm_mode_16_64 3
		.amdhsa_dx10_clamp 1
		.amdhsa_ieee_mode 1
		.amdhsa_fp16_overflow 0
		.amdhsa_workgroup_processor_mode 1
		.amdhsa_memory_ordered 1
		.amdhsa_forward_progress 0
		.amdhsa_shared_vgpr_count 0
		.amdhsa_exception_fp_ieee_invalid_op 0
		.amdhsa_exception_fp_denorm_src 0
		.amdhsa_exception_fp_ieee_div_zero 0
		.amdhsa_exception_fp_ieee_overflow 0
		.amdhsa_exception_fp_ieee_underflow 0
		.amdhsa_exception_fp_ieee_inexact 0
		.amdhsa_exception_int_div_zero 0
	.end_amdhsa_kernel
	.section	.text._ZN2at6native12_GLOBAL__N_143distribution_elementwise_grid_stride_kernelIjLi4EZZZNS0_9templates4cuda21random_from_to_kernelIPNS_17CUDAGeneratorImplEEEvRNS_18TensorIteratorBaseEmlT_ENKUlvE_clEvENKUlvE7_clEvEUlP25hiprandStatePhilox4_32_10E0_ZNS1_27distribution_nullary_kernelIN3c104HalfEj15HIP_vector_typeIjLj4EES7_SF_ZZZNS5_IS7_EEvS9_mlSA_ENKSB_clEvENKSC_clEvEUljE_EEvS9_T2_RKT3_T4_EUlijE0_EEvlNS_15PhiloxCudaStateET1_SM_,"axG",@progbits,_ZN2at6native12_GLOBAL__N_143distribution_elementwise_grid_stride_kernelIjLi4EZZZNS0_9templates4cuda21random_from_to_kernelIPNS_17CUDAGeneratorImplEEEvRNS_18TensorIteratorBaseEmlT_ENKUlvE_clEvENKUlvE7_clEvEUlP25hiprandStatePhilox4_32_10E0_ZNS1_27distribution_nullary_kernelIN3c104HalfEj15HIP_vector_typeIjLj4EES7_SF_ZZZNS5_IS7_EEvS9_mlSA_ENKSB_clEvENKSC_clEvEUljE_EEvS9_T2_RKT3_T4_EUlijE0_EEvlNS_15PhiloxCudaStateET1_SM_,comdat
.Lfunc_end35:
	.size	_ZN2at6native12_GLOBAL__N_143distribution_elementwise_grid_stride_kernelIjLi4EZZZNS0_9templates4cuda21random_from_to_kernelIPNS_17CUDAGeneratorImplEEEvRNS_18TensorIteratorBaseEmlT_ENKUlvE_clEvENKUlvE7_clEvEUlP25hiprandStatePhilox4_32_10E0_ZNS1_27distribution_nullary_kernelIN3c104HalfEj15HIP_vector_typeIjLj4EES7_SF_ZZZNS5_IS7_EEvS9_mlSA_ENKSB_clEvENKSC_clEvEUljE_EEvS9_T2_RKT3_T4_EUlijE0_EEvlNS_15PhiloxCudaStateET1_SM_, .Lfunc_end35-_ZN2at6native12_GLOBAL__N_143distribution_elementwise_grid_stride_kernelIjLi4EZZZNS0_9templates4cuda21random_from_to_kernelIPNS_17CUDAGeneratorImplEEEvRNS_18TensorIteratorBaseEmlT_ENKUlvE_clEvENKUlvE7_clEvEUlP25hiprandStatePhilox4_32_10E0_ZNS1_27distribution_nullary_kernelIN3c104HalfEj15HIP_vector_typeIjLj4EES7_SF_ZZZNS5_IS7_EEvS9_mlSA_ENKSB_clEvENKSC_clEvEUljE_EEvS9_T2_RKT3_T4_EUlijE0_EEvlNS_15PhiloxCudaStateET1_SM_
                                        ; -- End function
	.section	.AMDGPU.csdata,"",@progbits
; Kernel info:
; codeLenInByte = 6100
; NumSgprs: 62
; NumVgprs: 45
; ScratchSize: 0
; MemoryBound: 0
; FloatMode: 240
; IeeeMode: 1
; LDSByteSize: 0 bytes/workgroup (compile time only)
; SGPRBlocks: 7
; VGPRBlocks: 5
; NumSGPRsForWavesPerEU: 62
; NumVGPRsForWavesPerEU: 45
; Occupancy: 16
; WaveLimiterHint : 1
; COMPUTE_PGM_RSRC2:SCRATCH_EN: 0
; COMPUTE_PGM_RSRC2:USER_SGPR: 15
; COMPUTE_PGM_RSRC2:TRAP_HANDLER: 0
; COMPUTE_PGM_RSRC2:TGID_X_EN: 1
; COMPUTE_PGM_RSRC2:TGID_Y_EN: 0
; COMPUTE_PGM_RSRC2:TGID_Z_EN: 0
; COMPUTE_PGM_RSRC2:TIDIG_COMP_CNT: 0
	.section	.text._ZN2at6native12_GLOBAL__N_143distribution_elementwise_grid_stride_kernelImLi2EZZZNS0_9templates4cuda21random_from_to_kernelIPNS_17CUDAGeneratorImplEEEvRNS_18TensorIteratorBaseEmlT_ENKUlvE_clEvENKUlvE8_clEvEUlP25hiprandStatePhilox4_32_10E_ZNS1_27distribution_nullary_kernelIN3c108BFloat16Em15HIP_vector_typeIyLj2EES7_SF_ZZZNS5_IS7_EEvS9_mlSA_ENKSB_clEvENKSC_clEvEUlmE_EEvS9_T2_RKT3_T4_EUlimE_EEvlNS_15PhiloxCudaStateET1_SM_,"axG",@progbits,_ZN2at6native12_GLOBAL__N_143distribution_elementwise_grid_stride_kernelImLi2EZZZNS0_9templates4cuda21random_from_to_kernelIPNS_17CUDAGeneratorImplEEEvRNS_18TensorIteratorBaseEmlT_ENKUlvE_clEvENKUlvE8_clEvEUlP25hiprandStatePhilox4_32_10E_ZNS1_27distribution_nullary_kernelIN3c108BFloat16Em15HIP_vector_typeIyLj2EES7_SF_ZZZNS5_IS7_EEvS9_mlSA_ENKSB_clEvENKSC_clEvEUlmE_EEvS9_T2_RKT3_T4_EUlimE_EEvlNS_15PhiloxCudaStateET1_SM_,comdat
	.globl	_ZN2at6native12_GLOBAL__N_143distribution_elementwise_grid_stride_kernelImLi2EZZZNS0_9templates4cuda21random_from_to_kernelIPNS_17CUDAGeneratorImplEEEvRNS_18TensorIteratorBaseEmlT_ENKUlvE_clEvENKUlvE8_clEvEUlP25hiprandStatePhilox4_32_10E_ZNS1_27distribution_nullary_kernelIN3c108BFloat16Em15HIP_vector_typeIyLj2EES7_SF_ZZZNS5_IS7_EEvS9_mlSA_ENKSB_clEvENKSC_clEvEUlmE_EEvS9_T2_RKT3_T4_EUlimE_EEvlNS_15PhiloxCudaStateET1_SM_ ; -- Begin function _ZN2at6native12_GLOBAL__N_143distribution_elementwise_grid_stride_kernelImLi2EZZZNS0_9templates4cuda21random_from_to_kernelIPNS_17CUDAGeneratorImplEEEvRNS_18TensorIteratorBaseEmlT_ENKUlvE_clEvENKUlvE8_clEvEUlP25hiprandStatePhilox4_32_10E_ZNS1_27distribution_nullary_kernelIN3c108BFloat16Em15HIP_vector_typeIyLj2EES7_SF_ZZZNS5_IS7_EEvS9_mlSA_ENKSB_clEvENKSC_clEvEUlmE_EEvS9_T2_RKT3_T4_EUlimE_EEvlNS_15PhiloxCudaStateET1_SM_
	.p2align	8
	.type	_ZN2at6native12_GLOBAL__N_143distribution_elementwise_grid_stride_kernelImLi2EZZZNS0_9templates4cuda21random_from_to_kernelIPNS_17CUDAGeneratorImplEEEvRNS_18TensorIteratorBaseEmlT_ENKUlvE_clEvENKUlvE8_clEvEUlP25hiprandStatePhilox4_32_10E_ZNS1_27distribution_nullary_kernelIN3c108BFloat16Em15HIP_vector_typeIyLj2EES7_SF_ZZZNS5_IS7_EEvS9_mlSA_ENKSB_clEvENKSC_clEvEUlmE_EEvS9_T2_RKT3_T4_EUlimE_EEvlNS_15PhiloxCudaStateET1_SM_,@function
_ZN2at6native12_GLOBAL__N_143distribution_elementwise_grid_stride_kernelImLi2EZZZNS0_9templates4cuda21random_from_to_kernelIPNS_17CUDAGeneratorImplEEEvRNS_18TensorIteratorBaseEmlT_ENKUlvE_clEvENKUlvE8_clEvEUlP25hiprandStatePhilox4_32_10E_ZNS1_27distribution_nullary_kernelIN3c108BFloat16Em15HIP_vector_typeIyLj2EES7_SF_ZZZNS5_IS7_EEvS9_mlSA_ENKSB_clEvENKSC_clEvEUlmE_EEvS9_T2_RKT3_T4_EUlimE_EEvlNS_15PhiloxCudaStateET1_SM_: ; @_ZN2at6native12_GLOBAL__N_143distribution_elementwise_grid_stride_kernelImLi2EZZZNS0_9templates4cuda21random_from_to_kernelIPNS_17CUDAGeneratorImplEEEvRNS_18TensorIteratorBaseEmlT_ENKUlvE_clEvENKUlvE8_clEvEUlP25hiprandStatePhilox4_32_10E_ZNS1_27distribution_nullary_kernelIN3c108BFloat16Em15HIP_vector_typeIyLj2EES7_SF_ZZZNS5_IS7_EEvS9_mlSA_ENKSB_clEvENKSC_clEvEUlmE_EEvS9_T2_RKT3_T4_EUlimE_EEvlNS_15PhiloxCudaStateET1_SM_
; %bb.0:
	s_clause 0x2
	s_load_b64 s[8:9], s[0:1], 0x10
	s_load_b128 s[4:7], s[0:1], 0x0
	s_load_b32 s2, s[0:1], 0x20
	s_waitcnt lgkmcnt(0)
	v_dual_mov_b32 v2, s8 :: v_dual_mov_b32 v3, s9
	v_dual_mov_b32 v9, s7 :: v_dual_mov_b32 v8, s6
	s_bitcmp0_b32 s2, 0
	s_mov_b32 s2, 0
	s_cbranch_scc1 .LBB36_2
; %bb.1:
	v_dual_mov_b32 v1, s8 :: v_dual_mov_b32 v2, s9
	v_dual_mov_b32 v4, s6 :: v_dual_mov_b32 v5, s7
	s_load_b64 s[6:7], s[0:1], 0x18
	flat_load_b64 v[2:3], v[1:2]
	flat_load_b64 v[8:9], v[4:5]
	s_waitcnt vmcnt(1) lgkmcnt(0)
	v_add_co_u32 v2, vcc_lo, v2, s6
	v_add_co_ci_u32_e32 v3, vcc_lo, s7, v3, vcc_lo
.LBB36_2:
	s_clause 0x1
	s_load_b32 s3, s[0:1], 0x5c
	s_load_b32 s16, s[0:1], 0x50
	s_waitcnt lgkmcnt(0)
	s_and_b32 s14, s3, 0xffff
	s_add_u32 s6, s4, -1
	s_mul_i32 s12, s16, s14
	s_addc_u32 s3, s5, -1
	s_lshl_b32 s13, s12, 1
	s_cmp_lg_u64 s[2:3], 0
	s_cbranch_scc0 .LBB36_31
; %bb.3:
	v_cvt_f32_ubyte0_e32 v1, 0
	v_cvt_f32_u32_e32 v4, s13
	s_sub_u32 s8, 0, s13
	s_subb_u32 s9, 0, 0
	s_delay_alu instid0(VALU_DEP_1) | instskip(NEXT) | instid1(VALU_DEP_1)
	v_fmamk_f32 v1, v1, 0x4f800000, v4
	v_rcp_f32_e32 v1, v1
	s_waitcnt_depctr 0xfff
	v_mul_f32_e32 v1, 0x5f7ffffc, v1
	s_delay_alu instid0(VALU_DEP_1) | instskip(NEXT) | instid1(VALU_DEP_1)
	v_mul_f32_e32 v4, 0x2f800000, v1
	v_trunc_f32_e32 v4, v4
	s_delay_alu instid0(VALU_DEP_1) | instskip(SKIP_1) | instid1(VALU_DEP_2)
	v_fmamk_f32 v1, v4, 0xcf800000, v1
	v_cvt_u32_f32_e32 v4, v4
	v_cvt_u32_f32_e32 v1, v1
	s_delay_alu instid0(VALU_DEP_2) | instskip(NEXT) | instid1(VALU_DEP_2)
	v_readfirstlane_b32 s2, v4
	v_readfirstlane_b32 s7, v1
	s_delay_alu instid0(VALU_DEP_2) | instskip(NEXT) | instid1(VALU_DEP_1)
	s_mul_i32 s10, s8, s2
	s_mul_hi_u32 s17, s8, s7
	s_mul_i32 s11, s9, s7
	s_add_i32 s10, s17, s10
	s_mul_i32 s18, s8, s7
	s_add_i32 s10, s10, s11
	s_mul_hi_u32 s17, s7, s18
	s_mul_hi_u32 s19, s2, s18
	s_mul_i32 s11, s2, s18
	s_mul_hi_u32 s18, s7, s10
	s_mul_i32 s7, s7, s10
	s_mul_hi_u32 s20, s2, s10
	s_add_u32 s7, s17, s7
	s_addc_u32 s17, 0, s18
	s_add_u32 s7, s7, s11
	s_mul_i32 s10, s2, s10
	s_addc_u32 s7, s17, s19
	s_addc_u32 s11, s20, 0
	s_add_u32 s7, s7, s10
	s_addc_u32 s10, 0, s11
	v_add_co_u32 v1, s7, v1, s7
	s_delay_alu instid0(VALU_DEP_1) | instskip(SKIP_1) | instid1(VALU_DEP_1)
	s_cmp_lg_u32 s7, 0
	s_addc_u32 s2, s2, s10
	v_readfirstlane_b32 s7, v1
	s_mul_i32 s10, s8, s2
	s_delay_alu instid0(VALU_DEP_1)
	s_mul_hi_u32 s11, s8, s7
	s_mul_i32 s9, s9, s7
	s_add_i32 s10, s11, s10
	s_mul_i32 s8, s8, s7
	s_add_i32 s10, s10, s9
	s_mul_hi_u32 s11, s2, s8
	s_mul_i32 s17, s2, s8
	s_mul_hi_u32 s8, s7, s8
	s_mul_hi_u32 s18, s7, s10
	s_mul_i32 s7, s7, s10
	s_mul_hi_u32 s9, s2, s10
	s_add_u32 s7, s8, s7
	s_addc_u32 s8, 0, s18
	s_add_u32 s7, s7, s17
	s_mul_i32 s10, s2, s10
	s_addc_u32 s7, s8, s11
	s_addc_u32 s8, s9, 0
	s_add_u32 s7, s7, s10
	s_addc_u32 s8, 0, s8
	v_add_co_u32 v1, s7, v1, s7
	s_delay_alu instid0(VALU_DEP_1) | instskip(SKIP_2) | instid1(VALU_DEP_1)
	s_cmp_lg_u32 s7, 0
	s_addc_u32 s7, s2, s8
	s_ashr_i32 s8, s3, 31
	v_readfirstlane_b32 s10, v1
	s_add_u32 s2, s6, s8
	s_mov_b32 s9, s8
	s_addc_u32 s3, s3, s8
	s_delay_alu instid0(SALU_CYCLE_1) | instskip(NEXT) | instid1(SALU_CYCLE_1)
	s_xor_b64 s[2:3], s[2:3], s[8:9]
	s_mul_i32 s17, s2, s7
	s_mul_hi_u32 s18, s2, s10
	s_mul_hi_u32 s11, s2, s7
	;; [unrolled: 1-line block ×3, first 2 shown]
	s_mul_i32 s10, s3, s10
	s_add_u32 s17, s18, s17
	s_addc_u32 s11, 0, s11
	s_mul_hi_u32 s19, s3, s7
	s_add_u32 s10, s17, s10
	s_mul_i32 s7, s3, s7
	s_addc_u32 s10, s11, s20
	s_addc_u32 s11, s19, 0
	s_add_u32 s7, s10, s7
	s_addc_u32 s10, 0, s11
	s_mul_i32 s17, s13, s7
	s_add_u32 s11, s7, 1
	v_sub_co_u32 v1, s2, s2, s17
	s_mul_hi_u32 s17, s13, s7
	s_addc_u32 s18, s10, 0
	s_mul_i32 s19, s13, s10
	s_delay_alu instid0(VALU_DEP_1)
	v_sub_co_u32 v4, s20, v1, s13
	s_add_u32 s21, s7, 2
	s_addc_u32 s22, s10, 0
	s_add_i32 s17, s17, s19
	s_cmp_lg_u32 s2, 0
	v_readfirstlane_b32 s2, v4
	s_subb_u32 s3, s3, s17
	s_cmp_lg_u32 s20, 0
	s_subb_u32 s17, s3, 0
	s_delay_alu instid0(VALU_DEP_1) | instskip(SKIP_4) | instid1(SALU_CYCLE_1)
	s_cmp_ge_u32 s2, s13
	s_cselect_b32 s2, -1, 0
	s_cmp_eq_u32 s17, 0
	v_readfirstlane_b32 s17, v1
	s_cselect_b32 s2, s2, -1
	s_cmp_lg_u32 s2, 0
	s_cselect_b32 s2, s21, s11
	s_cselect_b32 s11, s22, s18
	s_cmp_ge_u32 s17, s13
	s_cselect_b32 s17, -1, 0
	s_cmp_eq_u32 s3, 0
	s_cselect_b32 s3, s17, -1
	s_delay_alu instid0(SALU_CYCLE_1) | instskip(SKIP_2) | instid1(SALU_CYCLE_1)
	s_cmp_lg_u32 s3, 0
	s_cselect_b32 s3, s11, s10
	s_cselect_b32 s2, s2, s7
	s_xor_b64 s[2:3], s[2:3], s[8:9]
	s_delay_alu instid0(SALU_CYCLE_1)
	s_sub_u32 s2, s2, s8
	s_subb_u32 s3, s3, s8
	s_cbranch_execnz .LBB36_5
.LBB36_4:
	v_cvt_f32_u32_e32 v1, s13
	s_sub_i32 s3, 0, s13
	s_delay_alu instid0(VALU_DEP_1) | instskip(SKIP_2) | instid1(VALU_DEP_1)
	v_rcp_iflag_f32_e32 v1, v1
	s_waitcnt_depctr 0xfff
	v_mul_f32_e32 v1, 0x4f7ffffe, v1
	v_cvt_u32_f32_e32 v1, v1
	s_delay_alu instid0(VALU_DEP_1) | instskip(NEXT) | instid1(VALU_DEP_1)
	v_readfirstlane_b32 s2, v1
	s_mul_i32 s3, s3, s2
	s_delay_alu instid0(SALU_CYCLE_1) | instskip(NEXT) | instid1(SALU_CYCLE_1)
	s_mul_hi_u32 s3, s2, s3
	s_add_i32 s2, s2, s3
	s_delay_alu instid0(SALU_CYCLE_1) | instskip(NEXT) | instid1(SALU_CYCLE_1)
	s_mul_hi_u32 s2, s6, s2
	s_mul_i32 s3, s2, s13
	s_delay_alu instid0(SALU_CYCLE_1)
	s_sub_i32 s3, s6, s3
	s_add_i32 s6, s2, 1
	s_sub_i32 s7, s3, s13
	s_cmp_ge_u32 s3, s13
	s_cselect_b32 s2, s6, s2
	s_cselect_b32 s3, s7, s3
	s_add_i32 s6, s2, 1
	s_cmp_ge_u32 s3, s13
	s_mov_b32 s3, 0
	s_cselect_b32 s2, s6, s2
.LBB36_5:
	v_mov_b32_e32 v10, 0
	s_add_u32 s2, s2, 1
	s_addc_u32 s3, s3, 0
	s_mul_hi_u32 s6, s16, s14
	s_mul_hi_u32 s7, s12, s2
	v_mov_b32_e32 v1, v10
	s_mul_i32 s3, s12, s3
	s_mul_i32 s6, s6, s2
	s_add_i32 s3, s7, s3
	s_mul_i32 s2, s12, s2
	v_mad_u64_u32 v[12:13], null, s14, s15, v[0:1]
	s_add_i32 s3, s3, s6
	s_mov_b32 s6, exec_lo
	s_lshl_b64 s[2:3], s[2:3], 1
	s_delay_alu instid0(VALU_DEP_1) | instid1(SALU_CYCLE_1)
	v_cmpx_gt_i64_e64 s[2:3], v[12:13]
	s_cbranch_execz .LBB36_30
; %bb.6:
	v_alignbit_b32 v17, v3, v2, 2
	v_mad_u64_u32 v[6:7], null, 0xcd9e8d57, v12, 0
	v_lshrrev_b32_e32 v18, 2, v3
	s_waitcnt vmcnt(0)
	v_mov_b32_e32 v11, v9
	v_mad_u64_u32 v[4:5], null, 0xd2511f53, v17, 0
	v_add_co_u32 v20, null, 0x9e3779b9, v8
	v_xor3_b32 v3, v8, v7, v18
	s_delay_alu instid0(VALU_DEP_4) | instskip(SKIP_2) | instid1(VALU_DEP_4)
	v_add_co_u32 v19, null, 0xbb67ae85, v11
	v_add_co_u32 v21, null, 0x3c6ef372, v8
	v_xor_b32_e32 v1, v5, v9
	v_mad_u64_u32 v[14:15], null, 0xd2511f53, v3, 0
	v_add_co_u32 v22, null, 0x76cf5d0a, v11
	s_delay_alu instid0(VALU_DEP_3) | instskip(SKIP_2) | instid1(VALU_DEP_3)
	v_xor_b32_e32 v1, v1, v13
	v_add_co_u32 v25, null, 0x78dde6e4, v8
	v_add_co_u32 v26, null, 0xed9eba14, v11
	v_mad_u64_u32 v[23:24], null, 0xcd9e8d57, v1, 0
	v_xor3_b32 v1, v19, v15, v4
	v_add_co_u32 v28, null, 0x1715609d, v8
	v_add_co_u32 v30, null, 0x646e171e, v11
	s_delay_alu instid0(VALU_DEP_3) | instskip(SKIP_3) | instid1(VALU_DEP_3)
	v_mad_u64_u32 v[3:4], null, 0xcd9e8d57, v1, 0
	v_xor3_b32 v7, v20, v24, v6
	v_add_co_u32 v24, null, 0xdaa66d2b, v8
	v_add_co_u32 v29, null, 0xb54cda56, v8
	v_mad_u64_u32 v[5:6], null, 0xd2511f53, v7, 0
	v_xor3_b32 v1, v21, v4, v23
	v_add_co_u32 v23, null, 0x32370b8f, v11
	v_add_co_u32 v32, null, 0x5384540f, v8
	s_clause 0x2
	s_load_b64 s[6:7], s[0:1], 0x30
	s_load_b32 s17, s[0:1], 0x38
	s_load_b128 s[8:11], s[0:1], 0x40
	v_xor3_b32 v4, v22, v6, v14
	v_mad_u64_u32 v[6:7], null, 0xd2511f53, v1, 0
	v_add_co_u32 v35, null, 0xf1bbcdc8, v8
	s_delay_alu instid0(VALU_DEP_3) | instskip(SKIP_2) | instid1(VALU_DEP_4)
	v_mad_u64_u32 v[14:15], null, 0xcd9e8d57, v4, 0
	v_mov_b32_e32 v41, v13
	s_mov_b32 s1, 0
	v_xor3_b32 v1, v23, v7, v5
	v_mov_b32_e32 v38, v12
	s_delay_alu instid0(VALU_DEP_4) | instskip(NEXT) | instid1(VALU_DEP_3)
	v_xor3_b32 v5, v24, v15, v3
	v_mad_u64_u32 v[3:4], null, 0xcd9e8d57, v1, 0
	s_delay_alu instid0(VALU_DEP_2) | instskip(SKIP_2) | instid1(VALU_DEP_2)
	v_mad_u64_u32 v[15:16], null, 0xd2511f53, v5, 0
	s_waitcnt lgkmcnt(0)
	s_mul_i32 s0, s16, s17
	v_xor3_b32 v1, v25, v4, v14
	s_mul_i32 s0, s0, s14
	s_delay_alu instid0(VALU_DEP_2) | instskip(NEXT) | instid1(VALU_DEP_2)
	v_xor3_b32 v14, v26, v16, v6
	v_mad_u64_u32 v[4:5], null, 0xd2511f53, v1, 0
	s_delay_alu instid0(VALU_DEP_2) | instskip(NEXT) | instid1(VALU_DEP_1)
	v_mad_u64_u32 v[6:7], null, 0xcd9e8d57, v14, 0
	v_xor3_b32 v3, v28, v7, v3
	s_delay_alu instid0(VALU_DEP_1) | instskip(NEXT) | instid1(VALU_DEP_1)
	v_mad_u64_u32 v[33:34], null, 0xd2511f53, v3, 0
	v_xor3_b32 v7, v30, v34, v4
	v_add_nc_u32_e32 v34, 0x8ff34781, v8
	v_add_co_u32 v27, null, 0xa9066899, v11
	v_add_co_u32 v31, null, 0x1fd5c5a3, v11
	;; [unrolled: 1-line block ×3, first 2 shown]
	s_delay_alu instid0(VALU_DEP_3) | instskip(NEXT) | instid1(VALU_DEP_1)
	v_xor3_b32 v1, v27, v5, v15
	v_mad_u64_u32 v[14:15], null, 0xcd9e8d57, v1, 0
	s_delay_alu instid0(VALU_DEP_1) | instskip(SKIP_1) | instid1(VALU_DEP_2)
	v_xor3_b32 v1, v29, v15, v6
	v_mad_u64_u32 v[5:6], null, 0xcd9e8d57, v7, 0
	v_mad_u64_u32 v[3:4], null, 0xd2511f53, v1, 0
	s_delay_alu instid0(VALU_DEP_2) | instskip(NEXT) | instid1(VALU_DEP_2)
	v_xor3_b32 v6, v32, v6, v14
	v_xor3_b32 v4, v31, v4, v33
	v_and_b32_e32 v33, 3, v2
	s_delay_alu instid0(VALU_DEP_3) | instskip(NEXT) | instid1(VALU_DEP_3)
	v_mad_u64_u32 v[14:15], null, 0xd2511f53, v6, 0
	v_mad_u64_u32 v[1:2], null, 0xcd9e8d57, v4, 0
	s_delay_alu instid0(VALU_DEP_1) | instskip(SKIP_1) | instid1(VALU_DEP_2)
	v_mad_u64_u32 v[6:7], null, s15, s14, v[0:1]
	s_add_i32 s15, s15, s16
	v_xor3_b32 v4, v35, v2, v5
	s_delay_alu instid0(VALU_DEP_4) | instskip(SKIP_2) | instid1(VALU_DEP_3)
	v_xor3_b32 v7, v36, v15, v3
	v_mad_u64_u32 v[2:3], null, s15, s14, v[0:1]
	s_lshl_b32 s14, s0, 1
	v_mad_u64_u32 v[15:16], null, 0xd2511f53, v4, 0
	s_delay_alu instid0(VALU_DEP_3)
	v_mad_u64_u32 v[4:5], null, 0xcd9e8d57, v7, 0
	v_add_nc_u32_e32 v37, 0x96a522ad, v9
	v_mul_lo_u32 v39, s17, v6
	v_mul_lo_u32 v40, s17, v2
	s_mov_b32 s15, 0
	v_mov_b32_e32 v6, v15
	v_xor3_b32 v3, v5, v1, v34
	v_xor3_b32 v5, v16, v14, v37
	s_branch .LBB36_9
.LBB36_7:                               ;   in Loop: Header=BB36_9 Depth=1
	s_or_b32 exec_lo, exec_lo, s0
	s_delay_alu instid0(VALU_DEP_1) | instskip(SKIP_1) | instid1(VALU_DEP_1)
	v_add_co_u32 v3, vcc_lo, v15, s10
	v_add_co_ci_u32_e32 v4, vcc_lo, s11, v16, vcc_lo
	v_xor_b32_e32 v5, v3, v4
	v_cls_i32_e32 v6, v4
	s_delay_alu instid0(VALU_DEP_2) | instskip(NEXT) | instid1(VALU_DEP_2)
	v_ashrrev_i32_e32 v5, 31, v5
	v_add_nc_u32_e32 v6, -1, v6
	s_delay_alu instid0(VALU_DEP_2) | instskip(NEXT) | instid1(VALU_DEP_1)
	v_add_nc_u32_e32 v5, 32, v5
	v_min_u32_e32 v5, v6, v5
	s_delay_alu instid0(VALU_DEP_1) | instskip(NEXT) | instid1(VALU_DEP_1)
	v_lshlrev_b64 v[3:4], v5, v[3:4]
	v_min_u32_e32 v3, 1, v3
	s_delay_alu instid0(VALU_DEP_1) | instskip(SKIP_2) | instid1(VALU_DEP_3)
	v_or_b32_e32 v3, v4, v3
	v_sub_nc_u32_e32 v4, 32, v5
	v_add_nc_u32_e32 v5, s15, v40
	v_cvt_f32_i32_e32 v3, v3
	s_delay_alu instid0(VALU_DEP_1) | instskip(NEXT) | instid1(VALU_DEP_3)
	v_ldexp_f32 v6, v3, v4
	v_ashrrev_i32_e32 v4, 31, v5
	v_add_co_u32 v3, vcc_lo, s6, v5
	s_delay_alu instid0(VALU_DEP_3) | instskip(NEXT) | instid1(VALU_DEP_3)
	v_bfe_u32 v7, v6, 16, 1
	v_add_co_ci_u32_e32 v4, vcc_lo, s7, v4, vcc_lo
	s_delay_alu instid0(VALU_DEP_2)
	v_add3_u32 v5, v6, v7, 0x7fff
	global_store_d16_hi_b16 v[3:4], v5, off
.LBB36_8:                               ;   in Loop: Header=BB36_9 Depth=1
	s_or_b32 exec_lo, exec_lo, s16
	v_add_co_u32 v12, vcc_lo, v12, s13
	v_add_co_ci_u32_e32 v13, vcc_lo, 0, v13, vcc_lo
	v_mov_b32_e32 v3, v14
	s_add_i32 s15, s15, s14
	s_waitcnt_vscnt null, 0x0
	s_delay_alu instid0(VALU_DEP_2)
	v_cmp_le_i64_e32 vcc_lo, s[2:3], v[12:13]
	s_barrier
	v_mov_b32_e32 v6, v3
	v_dual_mov_b32 v5, v2 :: v_dual_mov_b32 v4, v1
	v_mov_b32_e32 v3, v0
	s_or_b32 s1, vcc_lo, s1
	buffer_gl0_inv
	s_and_not1_b32 exec_lo, exec_lo, s1
	s_cbranch_execz .LBB36_30
.LBB36_9:                               ; =>This Inner Loop Header: Depth=1
	v_add_co_u32 v17, vcc_lo, v17, 1
	s_delay_alu instid0(VALU_DEP_1) | instskip(SKIP_2) | instid1(VALU_DEP_1)
	v_cndmask_b32_e64 v0, 0, 1, vcc_lo
	v_add_co_ci_u32_e32 v18, vcc_lo, 0, v18, vcc_lo
	s_mov_b32 s0, exec_lo
	v_cmp_eq_u32_e32 vcc_lo, 0, v18
	s_delay_alu instid0(VALU_DEP_3) | instskip(NEXT) | instid1(VALU_DEP_1)
	v_cndmask_b32_e32 v0, 0, v0, vcc_lo
	v_add_nc_u32_e32 v38, v0, v38
	s_delay_alu instid0(VALU_DEP_1) | instskip(SKIP_2) | instid1(VALU_DEP_2)
	v_cmp_eq_u32_e32 vcc_lo, 0, v38
	v_mad_u64_u32 v[14:15], null, 0xcd9e8d57, v38, 0
	v_cndmask_b32_e32 v0, 0, v0, vcc_lo
	v_xor3_b32 v7, v15, v8, v18
	s_delay_alu instid0(VALU_DEP_2) | instskip(SKIP_1) | instid1(VALU_DEP_1)
	v_add_nc_u32_e32 v41, v0, v41
	v_mad_u64_u32 v[0:1], null, 0xd2511f53, v17, 0
	v_xor_b32_e32 v1, v1, v9
	s_delay_alu instid0(VALU_DEP_1) | instskip(SKIP_1) | instid1(VALU_DEP_2)
	v_xor_b32_e32 v11, v41, v1
	v_mad_u64_u32 v[1:2], null, 0xd2511f53, v7, 0
	v_mad_u64_u32 v[15:16], null, 0xcd9e8d57, v11, 0
	s_delay_alu instid0(VALU_DEP_2) | instskip(NEXT) | instid1(VALU_DEP_2)
	v_xor3_b32 v0, v19, v2, v0
	v_xor3_b32 v2, v20, v16, v14
	s_delay_alu instid0(VALU_DEP_2) | instskip(NEXT) | instid1(VALU_DEP_2)
	v_mad_u64_u32 v[42:43], null, 0xcd9e8d57, v0, 0
	v_mad_u64_u32 v[44:45], null, 0xd2511f53, v2, 0
	s_delay_alu instid0(VALU_DEP_2) | instskip(NEXT) | instid1(VALU_DEP_2)
	v_xor3_b32 v2, v21, v43, v15
	v_xor3_b32 v7, v22, v45, v1
	s_delay_alu instid0(VALU_DEP_2) | instskip(NEXT) | instid1(VALU_DEP_2)
	;; [unrolled: 6-line block ×8, first 2 shown]
	v_mad_u64_u32 v[14:15], null, 0xd2511f53, v0, 0
	v_mad_u64_u32 v[1:2], null, 0xcd9e8d57, v7, 0
	s_delay_alu instid0(VALU_DEP_2) | instskip(NEXT) | instid1(VALU_DEP_2)
	v_xor3_b32 v7, v15, v44, v37
	v_xor3_b32 v0, v2, v42, v34
	s_delay_alu instid0(VALU_DEP_2)
	v_mov_b32_e32 v2, v7
	v_cmpx_lt_i32_e32 1, v33
	s_xor_b32 s0, exec_lo, s0
	s_cbranch_execnz .LBB36_12
; %bb.10:                               ;   in Loop: Header=BB36_9 Depth=1
	s_and_not1_saveexec_b32 s0, s0
	s_cbranch_execnz .LBB36_17
.LBB36_11:                              ;   in Loop: Header=BB36_9 Depth=1
	s_or_b32 exec_lo, exec_lo, s0
	s_delay_alu instid0(SALU_CYCLE_1)
	s_mov_b32 s16, exec_lo
	v_cmpx_gt_i64_e64 s[4:5], v[12:13]
	s_cbranch_execnz .LBB36_20
	s_branch .LBB36_25
.LBB36_12:                              ;   in Loop: Header=BB36_9 Depth=1
	s_mov_b32 s16, exec_lo
	v_cmpx_lt_i32_e32 2, v33
	s_xor_b32 s16, exec_lo, s16
; %bb.13:                               ;   in Loop: Header=BB36_9 Depth=1
	v_dual_mov_b32 v4, v6 :: v_dual_mov_b32 v5, v0
	v_mov_b32_e32 v6, v1
	s_delay_alu instid0(VALU_DEP_2) | instskip(NEXT) | instid1(VALU_DEP_3)
	v_mov_b32_e32 v3, v4
	v_mov_b32_e32 v4, v5
	s_delay_alu instid0(VALU_DEP_3)
	v_mov_b32_e32 v5, v6
	v_mov_b32_e32 v6, v7
; %bb.14:                               ;   in Loop: Header=BB36_9 Depth=1
	s_and_not1_saveexec_b32 s16, s16
; %bb.15:                               ;   in Loop: Header=BB36_9 Depth=1
	s_delay_alu instid0(VALU_DEP_1)
	v_dual_mov_b32 v3, v5 :: v_dual_mov_b32 v4, v6
	v_dual_mov_b32 v5, v0 :: v_dual_mov_b32 v6, v1
; %bb.16:                               ;   in Loop: Header=BB36_9 Depth=1
	s_or_b32 exec_lo, exec_lo, s16
	s_and_not1_saveexec_b32 s0, s0
	s_cbranch_execz .LBB36_11
.LBB36_17:                              ;   in Loop: Header=BB36_9 Depth=1
	s_mov_b32 s16, exec_lo
	v_cmpx_eq_u32_e32 1, v33
; %bb.18:                               ;   in Loop: Header=BB36_9 Depth=1
	v_dual_mov_b32 v3, v4 :: v_dual_mov_b32 v4, v5
	v_dual_mov_b32 v5, v6 :: v_dual_mov_b32 v6, v0
; %bb.19:                               ;   in Loop: Header=BB36_9 Depth=1
	s_or_b32 exec_lo, exec_lo, s16
	s_delay_alu instid0(SALU_CYCLE_1) | instskip(NEXT) | instid1(SALU_CYCLE_1)
	s_or_b32 exec_lo, exec_lo, s0
	s_mov_b32 s16, exec_lo
	v_cmpx_gt_i64_e64 s[4:5], v[12:13]
	s_cbranch_execz .LBB36_25
.LBB36_20:                              ;   in Loop: Header=BB36_9 Depth=1
	v_or_b32_e32 v11, s9, v3
                                        ; implicit-def: $vgpr15_vgpr16
	s_mov_b32 s0, exec_lo
	s_delay_alu instid0(VALU_DEP_1)
	v_cmpx_ne_u64_e32 0, v[10:11]
	s_xor_b32 s17, exec_lo, s0
	s_cbranch_execz .LBB36_22
; %bb.21:                               ;   in Loop: Header=BB36_9 Depth=1
	v_cvt_f32_u32_e32 v7, s8
	v_cvt_f32_u32_e32 v11, s9
	s_sub_u32 s0, 0, s8
	s_subb_u32 s18, 0, s9
	s_delay_alu instid0(VALU_DEP_1) | instskip(NEXT) | instid1(VALU_DEP_1)
	v_fmac_f32_e32 v7, 0x4f800000, v11
	v_rcp_f32_e32 v7, v7
	s_waitcnt_depctr 0xfff
	v_mul_f32_e32 v7, 0x5f7ffffc, v7
	s_delay_alu instid0(VALU_DEP_1) | instskip(NEXT) | instid1(VALU_DEP_1)
	v_mul_f32_e32 v11, 0x2f800000, v7
	v_trunc_f32_e32 v11, v11
	s_delay_alu instid0(VALU_DEP_1) | instskip(SKIP_1) | instid1(VALU_DEP_2)
	v_fmac_f32_e32 v7, 0xcf800000, v11
	v_cvt_u32_f32_e32 v11, v11
	v_cvt_u32_f32_e32 v7, v7
	s_delay_alu instid0(VALU_DEP_2) | instskip(NEXT) | instid1(VALU_DEP_2)
	v_mul_lo_u32 v15, s0, v11
	v_mul_hi_u32 v16, s0, v7
	v_mul_lo_u32 v42, s18, v7
	s_delay_alu instid0(VALU_DEP_2) | instskip(SKIP_1) | instid1(VALU_DEP_2)
	v_add_nc_u32_e32 v15, v16, v15
	v_mul_lo_u32 v16, s0, v7
	v_add_nc_u32_e32 v15, v15, v42
	s_delay_alu instid0(VALU_DEP_2) | instskip(NEXT) | instid1(VALU_DEP_2)
	v_mul_hi_u32 v42, v7, v16
	v_mul_lo_u32 v43, v7, v15
	v_mul_hi_u32 v44, v7, v15
	v_mul_hi_u32 v45, v11, v16
	v_mul_lo_u32 v16, v11, v16
	v_mul_hi_u32 v46, v11, v15
	v_mul_lo_u32 v15, v11, v15
	v_add_co_u32 v42, vcc_lo, v42, v43
	v_add_co_ci_u32_e32 v43, vcc_lo, 0, v44, vcc_lo
	s_delay_alu instid0(VALU_DEP_2) | instskip(NEXT) | instid1(VALU_DEP_2)
	v_add_co_u32 v16, vcc_lo, v42, v16
	v_add_co_ci_u32_e32 v16, vcc_lo, v43, v45, vcc_lo
	v_add_co_ci_u32_e32 v42, vcc_lo, 0, v46, vcc_lo
	s_delay_alu instid0(VALU_DEP_2) | instskip(NEXT) | instid1(VALU_DEP_2)
	v_add_co_u32 v15, vcc_lo, v16, v15
	v_add_co_ci_u32_e32 v16, vcc_lo, 0, v42, vcc_lo
	s_delay_alu instid0(VALU_DEP_2) | instskip(NEXT) | instid1(VALU_DEP_2)
	v_add_co_u32 v7, vcc_lo, v7, v15
	v_add_co_ci_u32_e32 v11, vcc_lo, v11, v16, vcc_lo
	s_delay_alu instid0(VALU_DEP_2) | instskip(SKIP_1) | instid1(VALU_DEP_3)
	v_mul_hi_u32 v15, s0, v7
	v_mul_lo_u32 v42, s18, v7
	v_mul_lo_u32 v16, s0, v11
	s_delay_alu instid0(VALU_DEP_1) | instskip(SKIP_1) | instid1(VALU_DEP_2)
	v_add_nc_u32_e32 v15, v15, v16
	v_mul_lo_u32 v16, s0, v7
	v_add_nc_u32_e32 v15, v15, v42
	s_delay_alu instid0(VALU_DEP_2) | instskip(NEXT) | instid1(VALU_DEP_2)
	v_mul_hi_u32 v42, v7, v16
	v_mul_lo_u32 v43, v7, v15
	v_mul_hi_u32 v44, v7, v15
	v_mul_hi_u32 v45, v11, v16
	v_mul_lo_u32 v16, v11, v16
	v_mul_hi_u32 v46, v11, v15
	v_mul_lo_u32 v15, v11, v15
	v_add_co_u32 v42, vcc_lo, v42, v43
	v_add_co_ci_u32_e32 v43, vcc_lo, 0, v44, vcc_lo
	s_delay_alu instid0(VALU_DEP_2) | instskip(NEXT) | instid1(VALU_DEP_2)
	v_add_co_u32 v16, vcc_lo, v42, v16
	v_add_co_ci_u32_e32 v16, vcc_lo, v43, v45, vcc_lo
	v_add_co_ci_u32_e32 v42, vcc_lo, 0, v46, vcc_lo
	s_delay_alu instid0(VALU_DEP_2) | instskip(NEXT) | instid1(VALU_DEP_2)
	v_add_co_u32 v15, vcc_lo, v16, v15
	v_add_co_ci_u32_e32 v16, vcc_lo, 0, v42, vcc_lo
	s_delay_alu instid0(VALU_DEP_2) | instskip(NEXT) | instid1(VALU_DEP_2)
	v_add_co_u32 v7, vcc_lo, v7, v15
	v_add_co_ci_u32_e32 v11, vcc_lo, v11, v16, vcc_lo
	s_delay_alu instid0(VALU_DEP_2) | instskip(SKIP_1) | instid1(VALU_DEP_3)
	v_mul_hi_u32 v46, v4, v7
	v_mad_u64_u32 v[42:43], null, v3, v7, 0
	v_mad_u64_u32 v[15:16], null, v4, v11, 0
	;; [unrolled: 1-line block ×3, first 2 shown]
	s_delay_alu instid0(VALU_DEP_2) | instskip(NEXT) | instid1(VALU_DEP_3)
	v_add_co_u32 v7, vcc_lo, v46, v15
	v_add_co_ci_u32_e32 v11, vcc_lo, 0, v16, vcc_lo
	s_delay_alu instid0(VALU_DEP_2) | instskip(NEXT) | instid1(VALU_DEP_2)
	v_add_co_u32 v7, vcc_lo, v7, v42
	v_add_co_ci_u32_e32 v7, vcc_lo, v11, v43, vcc_lo
	v_add_co_ci_u32_e32 v11, vcc_lo, 0, v45, vcc_lo
	s_delay_alu instid0(VALU_DEP_2) | instskip(NEXT) | instid1(VALU_DEP_2)
	v_add_co_u32 v7, vcc_lo, v7, v44
	v_add_co_ci_u32_e32 v11, vcc_lo, 0, v11, vcc_lo
	s_delay_alu instid0(VALU_DEP_2) | instskip(SKIP_1) | instid1(VALU_DEP_3)
	v_mul_lo_u32 v42, s9, v7
	v_mad_u64_u32 v[15:16], null, s8, v7, 0
	v_mul_lo_u32 v7, s8, v11
	s_delay_alu instid0(VALU_DEP_2) | instskip(NEXT) | instid1(VALU_DEP_2)
	v_sub_co_u32 v15, vcc_lo, v4, v15
	v_add3_u32 v7, v16, v7, v42
	s_delay_alu instid0(VALU_DEP_1) | instskip(NEXT) | instid1(VALU_DEP_1)
	v_sub_nc_u32_e32 v11, v3, v7
	v_subrev_co_ci_u32_e64 v11, s0, s9, v11, vcc_lo
	v_sub_co_ci_u32_e32 v3, vcc_lo, v3, v7, vcc_lo
	v_sub_co_u32 v7, vcc_lo, v15, s8
	s_delay_alu instid0(VALU_DEP_1) | instskip(SKIP_3) | instid1(VALU_DEP_3)
	v_subrev_co_ci_u32_e64 v16, s0, 0, v11, vcc_lo
	v_cmp_le_u32_e64 s0, s8, v15
	v_subrev_co_ci_u32_e32 v11, vcc_lo, s9, v11, vcc_lo
	v_cmp_le_u32_e32 vcc_lo, s9, v3
	v_cndmask_b32_e64 v42, 0, -1, s0
	v_cmp_le_u32_e64 s0, s8, v7
	v_cndmask_b32_e64 v45, 0, -1, vcc_lo
	v_cmp_eq_u32_e32 vcc_lo, s9, v16
	s_delay_alu instid0(VALU_DEP_3) | instskip(SKIP_1) | instid1(VALU_DEP_1)
	v_cndmask_b32_e64 v43, 0, -1, s0
	v_cmp_le_u32_e64 s0, s9, v16
	v_cndmask_b32_e64 v44, 0, -1, s0
	v_cmp_eq_u32_e64 s0, s9, v3
	s_delay_alu instid0(VALU_DEP_2) | instskip(SKIP_2) | instid1(VALU_DEP_3)
	v_cndmask_b32_e32 v43, v44, v43, vcc_lo
	v_sub_co_u32 v44, vcc_lo, v7, s8
	v_subrev_co_ci_u32_e32 v11, vcc_lo, 0, v11, vcc_lo
	v_cmp_ne_u32_e32 vcc_lo, 0, v43
	v_cndmask_b32_e64 v42, v45, v42, s0
	s_delay_alu instid0(VALU_DEP_3) | instskip(SKIP_1) | instid1(VALU_DEP_3)
	v_cndmask_b32_e32 v11, v16, v11, vcc_lo
	v_cndmask_b32_e32 v7, v7, v44, vcc_lo
	v_cmp_ne_u32_e32 vcc_lo, 0, v42
	s_delay_alu instid0(VALU_DEP_3) | instskip(NEXT) | instid1(VALU_DEP_3)
	v_cndmask_b32_e32 v16, v3, v11, vcc_lo
	v_cndmask_b32_e32 v15, v15, v7, vcc_lo
.LBB36_22:                              ;   in Loop: Header=BB36_9 Depth=1
	s_and_not1_saveexec_b32 s0, s17
	s_cbranch_execz .LBB36_24
; %bb.23:                               ;   in Loop: Header=BB36_9 Depth=1
	v_cvt_f32_u32_e32 v3, s8
	s_sub_i32 s17, 0, s8
	v_mov_b32_e32 v16, v10
	s_delay_alu instid0(VALU_DEP_2) | instskip(SKIP_2) | instid1(VALU_DEP_1)
	v_rcp_iflag_f32_e32 v3, v3
	s_waitcnt_depctr 0xfff
	v_mul_f32_e32 v3, 0x4f7ffffe, v3
	v_cvt_u32_f32_e32 v3, v3
	s_delay_alu instid0(VALU_DEP_1) | instskip(NEXT) | instid1(VALU_DEP_1)
	v_mul_lo_u32 v7, s17, v3
	v_mul_hi_u32 v7, v3, v7
	s_delay_alu instid0(VALU_DEP_1) | instskip(NEXT) | instid1(VALU_DEP_1)
	v_add_nc_u32_e32 v3, v3, v7
	v_mul_hi_u32 v3, v4, v3
	s_delay_alu instid0(VALU_DEP_1) | instskip(NEXT) | instid1(VALU_DEP_1)
	v_mul_lo_u32 v3, v3, s8
	v_sub_nc_u32_e32 v3, v4, v3
	s_delay_alu instid0(VALU_DEP_1) | instskip(SKIP_1) | instid1(VALU_DEP_2)
	v_subrev_nc_u32_e32 v4, s8, v3
	v_cmp_le_u32_e32 vcc_lo, s8, v3
	v_cndmask_b32_e32 v3, v3, v4, vcc_lo
	s_delay_alu instid0(VALU_DEP_1) | instskip(SKIP_1) | instid1(VALU_DEP_2)
	v_subrev_nc_u32_e32 v4, s8, v3
	v_cmp_le_u32_e32 vcc_lo, s8, v3
	v_cndmask_b32_e32 v15, v3, v4, vcc_lo
.LBB36_24:                              ;   in Loop: Header=BB36_9 Depth=1
	s_or_b32 exec_lo, exec_lo, s0
	s_delay_alu instid0(VALU_DEP_1) | instskip(SKIP_1) | instid1(VALU_DEP_1)
	v_add_co_u32 v3, vcc_lo, v15, s10
	v_add_co_ci_u32_e32 v4, vcc_lo, s11, v16, vcc_lo
	v_xor_b32_e32 v7, v3, v4
	v_cls_i32_e32 v11, v4
	s_delay_alu instid0(VALU_DEP_2) | instskip(NEXT) | instid1(VALU_DEP_2)
	v_ashrrev_i32_e32 v7, 31, v7
	v_add_nc_u32_e32 v11, -1, v11
	s_delay_alu instid0(VALU_DEP_2) | instskip(NEXT) | instid1(VALU_DEP_1)
	v_add_nc_u32_e32 v7, 32, v7
	v_min_u32_e32 v7, v11, v7
	s_delay_alu instid0(VALU_DEP_1) | instskip(NEXT) | instid1(VALU_DEP_1)
	v_lshlrev_b64 v[3:4], v7, v[3:4]
	v_min_u32_e32 v3, 1, v3
	s_delay_alu instid0(VALU_DEP_1) | instskip(SKIP_2) | instid1(VALU_DEP_3)
	v_or_b32_e32 v3, v4, v3
	v_sub_nc_u32_e32 v4, 32, v7
	v_add_nc_u32_e32 v7, s15, v39
	v_cvt_f32_i32_e32 v3, v3
	s_delay_alu instid0(VALU_DEP_1) | instskip(NEXT) | instid1(VALU_DEP_3)
	v_ldexp_f32 v11, v3, v4
	v_ashrrev_i32_e32 v4, 31, v7
	v_add_co_u32 v3, vcc_lo, s6, v7
	s_delay_alu instid0(VALU_DEP_3) | instskip(NEXT) | instid1(VALU_DEP_3)
	v_bfe_u32 v15, v11, 16, 1
	v_add_co_ci_u32_e32 v4, vcc_lo, s7, v4, vcc_lo
	s_delay_alu instid0(VALU_DEP_2)
	v_add3_u32 v7, v11, v15, 0x7fff
	global_store_d16_hi_b16 v[3:4], v7, off
.LBB36_25:                              ;   in Loop: Header=BB36_9 Depth=1
	s_or_b32 exec_lo, exec_lo, s16
	v_add_co_u32 v3, vcc_lo, s12, v12
	v_add_co_ci_u32_e32 v4, vcc_lo, 0, v13, vcc_lo
	s_mov_b32 s16, exec_lo
	s_delay_alu instid0(VALU_DEP_1)
	v_cmpx_gt_i64_e64 s[4:5], v[3:4]
	s_cbranch_execz .LBB36_8
; %bb.26:                               ;   in Loop: Header=BB36_9 Depth=1
	v_or_b32_e32 v11, s9, v5
                                        ; implicit-def: $vgpr15_vgpr16
	s_mov_b32 s0, exec_lo
	s_delay_alu instid0(VALU_DEP_1)
	v_cmpx_ne_u64_e32 0, v[10:11]
	s_xor_b32 s17, exec_lo, s0
	s_cbranch_execz .LBB36_28
; %bb.27:                               ;   in Loop: Header=BB36_9 Depth=1
	v_cvt_f32_u32_e32 v3, s8
	v_cvt_f32_u32_e32 v4, s9
	s_sub_u32 s0, 0, s8
	s_subb_u32 s18, 0, s9
	s_delay_alu instid0(VALU_DEP_1) | instskip(NEXT) | instid1(VALU_DEP_1)
	v_fmac_f32_e32 v3, 0x4f800000, v4
	v_rcp_f32_e32 v3, v3
	s_waitcnt_depctr 0xfff
	v_mul_f32_e32 v3, 0x5f7ffffc, v3
	s_delay_alu instid0(VALU_DEP_1) | instskip(NEXT) | instid1(VALU_DEP_1)
	v_mul_f32_e32 v4, 0x2f800000, v3
	v_trunc_f32_e32 v4, v4
	s_delay_alu instid0(VALU_DEP_1) | instskip(SKIP_1) | instid1(VALU_DEP_2)
	v_fmac_f32_e32 v3, 0xcf800000, v4
	v_cvt_u32_f32_e32 v4, v4
	v_cvt_u32_f32_e32 v3, v3
	s_delay_alu instid0(VALU_DEP_2) | instskip(NEXT) | instid1(VALU_DEP_2)
	v_mul_lo_u32 v7, s0, v4
	v_mul_hi_u32 v11, s0, v3
	v_mul_lo_u32 v15, s18, v3
	s_delay_alu instid0(VALU_DEP_2) | instskip(SKIP_1) | instid1(VALU_DEP_2)
	v_add_nc_u32_e32 v7, v11, v7
	v_mul_lo_u32 v11, s0, v3
	v_add_nc_u32_e32 v7, v7, v15
	s_delay_alu instid0(VALU_DEP_2) | instskip(NEXT) | instid1(VALU_DEP_2)
	v_mul_hi_u32 v15, v3, v11
	v_mul_lo_u32 v16, v3, v7
	v_mul_hi_u32 v42, v3, v7
	v_mul_hi_u32 v43, v4, v11
	v_mul_lo_u32 v11, v4, v11
	v_mul_hi_u32 v44, v4, v7
	v_mul_lo_u32 v7, v4, v7
	v_add_co_u32 v15, vcc_lo, v15, v16
	v_add_co_ci_u32_e32 v16, vcc_lo, 0, v42, vcc_lo
	s_delay_alu instid0(VALU_DEP_2) | instskip(NEXT) | instid1(VALU_DEP_2)
	v_add_co_u32 v11, vcc_lo, v15, v11
	v_add_co_ci_u32_e32 v11, vcc_lo, v16, v43, vcc_lo
	v_add_co_ci_u32_e32 v15, vcc_lo, 0, v44, vcc_lo
	s_delay_alu instid0(VALU_DEP_2) | instskip(NEXT) | instid1(VALU_DEP_2)
	v_add_co_u32 v7, vcc_lo, v11, v7
	v_add_co_ci_u32_e32 v11, vcc_lo, 0, v15, vcc_lo
	s_delay_alu instid0(VALU_DEP_2) | instskip(NEXT) | instid1(VALU_DEP_2)
	v_add_co_u32 v3, vcc_lo, v3, v7
	v_add_co_ci_u32_e32 v4, vcc_lo, v4, v11, vcc_lo
	s_delay_alu instid0(VALU_DEP_2) | instskip(SKIP_1) | instid1(VALU_DEP_3)
	v_mul_hi_u32 v7, s0, v3
	v_mul_lo_u32 v15, s18, v3
	v_mul_lo_u32 v11, s0, v4
	s_delay_alu instid0(VALU_DEP_1) | instskip(SKIP_1) | instid1(VALU_DEP_2)
	v_add_nc_u32_e32 v7, v7, v11
	v_mul_lo_u32 v11, s0, v3
	v_add_nc_u32_e32 v7, v7, v15
	s_delay_alu instid0(VALU_DEP_2) | instskip(NEXT) | instid1(VALU_DEP_2)
	v_mul_hi_u32 v15, v3, v11
	v_mul_lo_u32 v16, v3, v7
	v_mul_hi_u32 v42, v3, v7
	v_mul_hi_u32 v43, v4, v11
	v_mul_lo_u32 v11, v4, v11
	v_mul_hi_u32 v44, v4, v7
	v_mul_lo_u32 v7, v4, v7
	v_add_co_u32 v15, vcc_lo, v15, v16
	v_add_co_ci_u32_e32 v16, vcc_lo, 0, v42, vcc_lo
	s_delay_alu instid0(VALU_DEP_2) | instskip(NEXT) | instid1(VALU_DEP_2)
	v_add_co_u32 v11, vcc_lo, v15, v11
	v_add_co_ci_u32_e32 v11, vcc_lo, v16, v43, vcc_lo
	v_add_co_ci_u32_e32 v15, vcc_lo, 0, v44, vcc_lo
	s_delay_alu instid0(VALU_DEP_2) | instskip(NEXT) | instid1(VALU_DEP_2)
	v_add_co_u32 v7, vcc_lo, v11, v7
	v_add_co_ci_u32_e32 v11, vcc_lo, 0, v15, vcc_lo
	s_delay_alu instid0(VALU_DEP_2) | instskip(NEXT) | instid1(VALU_DEP_2)
	v_add_co_u32 v7, vcc_lo, v3, v7
	v_add_co_ci_u32_e32 v11, vcc_lo, v4, v11, vcc_lo
	s_delay_alu instid0(VALU_DEP_2) | instskip(SKIP_1) | instid1(VALU_DEP_3)
	v_mul_hi_u32 v44, v6, v7
	v_mad_u64_u32 v[15:16], null, v5, v7, 0
	v_mad_u64_u32 v[3:4], null, v6, v11, 0
	;; [unrolled: 1-line block ×3, first 2 shown]
	s_delay_alu instid0(VALU_DEP_2) | instskip(NEXT) | instid1(VALU_DEP_3)
	v_add_co_u32 v3, vcc_lo, v44, v3
	v_add_co_ci_u32_e32 v4, vcc_lo, 0, v4, vcc_lo
	s_delay_alu instid0(VALU_DEP_2) | instskip(NEXT) | instid1(VALU_DEP_2)
	v_add_co_u32 v3, vcc_lo, v3, v15
	v_add_co_ci_u32_e32 v3, vcc_lo, v4, v16, vcc_lo
	v_add_co_ci_u32_e32 v4, vcc_lo, 0, v43, vcc_lo
	s_delay_alu instid0(VALU_DEP_2) | instskip(NEXT) | instid1(VALU_DEP_2)
	v_add_co_u32 v7, vcc_lo, v3, v42
	v_add_co_ci_u32_e32 v11, vcc_lo, 0, v4, vcc_lo
	s_delay_alu instid0(VALU_DEP_2) | instskip(SKIP_1) | instid1(VALU_DEP_3)
	v_mul_lo_u32 v15, s9, v7
	v_mad_u64_u32 v[3:4], null, s8, v7, 0
	v_mul_lo_u32 v7, s8, v11
	s_delay_alu instid0(VALU_DEP_2) | instskip(NEXT) | instid1(VALU_DEP_2)
	v_sub_co_u32 v3, vcc_lo, v6, v3
	v_add3_u32 v4, v4, v7, v15
	s_delay_alu instid0(VALU_DEP_1) | instskip(NEXT) | instid1(VALU_DEP_1)
	v_sub_nc_u32_e32 v7, v5, v4
	v_subrev_co_ci_u32_e64 v6, s0, s9, v7, vcc_lo
	v_sub_co_ci_u32_e32 v4, vcc_lo, v5, v4, vcc_lo
	v_sub_co_u32 v5, vcc_lo, v3, s8
	s_delay_alu instid0(VALU_DEP_1) | instskip(SKIP_3) | instid1(VALU_DEP_3)
	v_subrev_co_ci_u32_e64 v7, s0, 0, v6, vcc_lo
	v_cmp_le_u32_e64 s0, s8, v3
	v_subrev_co_ci_u32_e32 v6, vcc_lo, s9, v6, vcc_lo
	v_cmp_le_u32_e32 vcc_lo, s9, v4
	v_cndmask_b32_e64 v11, 0, -1, s0
	v_cmp_le_u32_e64 s0, s8, v5
	v_cndmask_b32_e64 v42, 0, -1, vcc_lo
	v_cmp_eq_u32_e32 vcc_lo, s9, v7
	s_delay_alu instid0(VALU_DEP_3) | instskip(SKIP_1) | instid1(VALU_DEP_1)
	v_cndmask_b32_e64 v15, 0, -1, s0
	v_cmp_le_u32_e64 s0, s9, v7
	v_cndmask_b32_e64 v16, 0, -1, s0
	v_cmp_eq_u32_e64 s0, s9, v4
	s_delay_alu instid0(VALU_DEP_2) | instskip(SKIP_2) | instid1(VALU_DEP_3)
	v_cndmask_b32_e32 v15, v16, v15, vcc_lo
	v_sub_co_u32 v16, vcc_lo, v5, s8
	v_subrev_co_ci_u32_e32 v6, vcc_lo, 0, v6, vcc_lo
	v_cmp_ne_u32_e32 vcc_lo, 0, v15
	v_cndmask_b32_e64 v11, v42, v11, s0
	s_delay_alu instid0(VALU_DEP_3) | instskip(NEXT) | instid1(VALU_DEP_2)
	v_dual_cndmask_b32 v5, v5, v16 :: v_dual_cndmask_b32 v6, v7, v6
	v_cmp_ne_u32_e32 vcc_lo, 0, v11
	s_delay_alu instid0(VALU_DEP_2)
	v_dual_cndmask_b32 v16, v4, v6 :: v_dual_cndmask_b32 v15, v3, v5
                                        ; implicit-def: $vgpr3_vgpr4_vgpr5_vgpr6
.LBB36_28:                              ;   in Loop: Header=BB36_9 Depth=1
	s_and_not1_saveexec_b32 s0, s17
	s_cbranch_execz .LBB36_7
; %bb.29:                               ;   in Loop: Header=BB36_9 Depth=1
	v_cvt_f32_u32_e32 v3, s8
	s_sub_i32 s17, 0, s8
	v_mov_b32_e32 v16, v10
	s_delay_alu instid0(VALU_DEP_2) | instskip(SKIP_2) | instid1(VALU_DEP_1)
	v_rcp_iflag_f32_e32 v3, v3
	s_waitcnt_depctr 0xfff
	v_mul_f32_e32 v3, 0x4f7ffffe, v3
	v_cvt_u32_f32_e32 v3, v3
	s_delay_alu instid0(VALU_DEP_1) | instskip(NEXT) | instid1(VALU_DEP_1)
	v_mul_lo_u32 v4, s17, v3
	v_mul_hi_u32 v4, v3, v4
	s_delay_alu instid0(VALU_DEP_1) | instskip(NEXT) | instid1(VALU_DEP_1)
	v_add_nc_u32_e32 v3, v3, v4
	v_mul_hi_u32 v3, v6, v3
	s_delay_alu instid0(VALU_DEP_1) | instskip(NEXT) | instid1(VALU_DEP_1)
	v_mul_lo_u32 v3, v3, s8
	v_sub_nc_u32_e32 v3, v6, v3
	s_delay_alu instid0(VALU_DEP_1) | instskip(SKIP_1) | instid1(VALU_DEP_2)
	v_subrev_nc_u32_e32 v4, s8, v3
	v_cmp_le_u32_e32 vcc_lo, s8, v3
	v_cndmask_b32_e32 v3, v3, v4, vcc_lo
	s_delay_alu instid0(VALU_DEP_1) | instskip(SKIP_1) | instid1(VALU_DEP_2)
	v_subrev_nc_u32_e32 v4, s8, v3
	v_cmp_le_u32_e32 vcc_lo, s8, v3
	v_cndmask_b32_e32 v15, v3, v4, vcc_lo
	s_branch .LBB36_7
.LBB36_30:
	s_endpgm
.LBB36_31:
                                        ; implicit-def: $sgpr2_sgpr3
	s_branch .LBB36_4
	.section	.rodata,"a",@progbits
	.p2align	6, 0x0
	.amdhsa_kernel _ZN2at6native12_GLOBAL__N_143distribution_elementwise_grid_stride_kernelImLi2EZZZNS0_9templates4cuda21random_from_to_kernelIPNS_17CUDAGeneratorImplEEEvRNS_18TensorIteratorBaseEmlT_ENKUlvE_clEvENKUlvE8_clEvEUlP25hiprandStatePhilox4_32_10E_ZNS1_27distribution_nullary_kernelIN3c108BFloat16Em15HIP_vector_typeIyLj2EES7_SF_ZZZNS5_IS7_EEvS9_mlSA_ENKSB_clEvENKSC_clEvEUlmE_EEvS9_T2_RKT3_T4_EUlimE_EEvlNS_15PhiloxCudaStateET1_SM_
		.amdhsa_group_segment_fixed_size 0
		.amdhsa_private_segment_fixed_size 0
		.amdhsa_kernarg_size 336
		.amdhsa_user_sgpr_count 15
		.amdhsa_user_sgpr_dispatch_ptr 0
		.amdhsa_user_sgpr_queue_ptr 0
		.amdhsa_user_sgpr_kernarg_segment_ptr 1
		.amdhsa_user_sgpr_dispatch_id 0
		.amdhsa_user_sgpr_private_segment_size 0
		.amdhsa_wavefront_size32 1
		.amdhsa_uses_dynamic_stack 0
		.amdhsa_enable_private_segment 0
		.amdhsa_system_sgpr_workgroup_id_x 1
		.amdhsa_system_sgpr_workgroup_id_y 0
		.amdhsa_system_sgpr_workgroup_id_z 0
		.amdhsa_system_sgpr_workgroup_info 0
		.amdhsa_system_vgpr_workitem_id 0
		.amdhsa_next_free_vgpr 47
		.amdhsa_next_free_sgpr 23
		.amdhsa_reserve_vcc 1
		.amdhsa_float_round_mode_32 0
		.amdhsa_float_round_mode_16_64 0
		.amdhsa_float_denorm_mode_32 3
		.amdhsa_float_denorm_mode_16_64 3
		.amdhsa_dx10_clamp 1
		.amdhsa_ieee_mode 1
		.amdhsa_fp16_overflow 0
		.amdhsa_workgroup_processor_mode 1
		.amdhsa_memory_ordered 1
		.amdhsa_forward_progress 0
		.amdhsa_shared_vgpr_count 0
		.amdhsa_exception_fp_ieee_invalid_op 0
		.amdhsa_exception_fp_denorm_src 0
		.amdhsa_exception_fp_ieee_div_zero 0
		.amdhsa_exception_fp_ieee_overflow 0
		.amdhsa_exception_fp_ieee_underflow 0
		.amdhsa_exception_fp_ieee_inexact 0
		.amdhsa_exception_int_div_zero 0
	.end_amdhsa_kernel
	.section	.text._ZN2at6native12_GLOBAL__N_143distribution_elementwise_grid_stride_kernelImLi2EZZZNS0_9templates4cuda21random_from_to_kernelIPNS_17CUDAGeneratorImplEEEvRNS_18TensorIteratorBaseEmlT_ENKUlvE_clEvENKUlvE8_clEvEUlP25hiprandStatePhilox4_32_10E_ZNS1_27distribution_nullary_kernelIN3c108BFloat16Em15HIP_vector_typeIyLj2EES7_SF_ZZZNS5_IS7_EEvS9_mlSA_ENKSB_clEvENKSC_clEvEUlmE_EEvS9_T2_RKT3_T4_EUlimE_EEvlNS_15PhiloxCudaStateET1_SM_,"axG",@progbits,_ZN2at6native12_GLOBAL__N_143distribution_elementwise_grid_stride_kernelImLi2EZZZNS0_9templates4cuda21random_from_to_kernelIPNS_17CUDAGeneratorImplEEEvRNS_18TensorIteratorBaseEmlT_ENKUlvE_clEvENKUlvE8_clEvEUlP25hiprandStatePhilox4_32_10E_ZNS1_27distribution_nullary_kernelIN3c108BFloat16Em15HIP_vector_typeIyLj2EES7_SF_ZZZNS5_IS7_EEvS9_mlSA_ENKSB_clEvENKSC_clEvEUlmE_EEvS9_T2_RKT3_T4_EUlimE_EEvlNS_15PhiloxCudaStateET1_SM_,comdat
.Lfunc_end36:
	.size	_ZN2at6native12_GLOBAL__N_143distribution_elementwise_grid_stride_kernelImLi2EZZZNS0_9templates4cuda21random_from_to_kernelIPNS_17CUDAGeneratorImplEEEvRNS_18TensorIteratorBaseEmlT_ENKUlvE_clEvENKUlvE8_clEvEUlP25hiprandStatePhilox4_32_10E_ZNS1_27distribution_nullary_kernelIN3c108BFloat16Em15HIP_vector_typeIyLj2EES7_SF_ZZZNS5_IS7_EEvS9_mlSA_ENKSB_clEvENKSC_clEvEUlmE_EEvS9_T2_RKT3_T4_EUlimE_EEvlNS_15PhiloxCudaStateET1_SM_, .Lfunc_end36-_ZN2at6native12_GLOBAL__N_143distribution_elementwise_grid_stride_kernelImLi2EZZZNS0_9templates4cuda21random_from_to_kernelIPNS_17CUDAGeneratorImplEEEvRNS_18TensorIteratorBaseEmlT_ENKUlvE_clEvENKUlvE8_clEvEUlP25hiprandStatePhilox4_32_10E_ZNS1_27distribution_nullary_kernelIN3c108BFloat16Em15HIP_vector_typeIyLj2EES7_SF_ZZZNS5_IS7_EEvS9_mlSA_ENKSB_clEvENKSC_clEvEUlmE_EEvS9_T2_RKT3_T4_EUlimE_EEvlNS_15PhiloxCudaStateET1_SM_
                                        ; -- End function
	.section	.AMDGPU.csdata,"",@progbits
; Kernel info:
; codeLenInByte = 4648
; NumSgprs: 25
; NumVgprs: 47
; ScratchSize: 0
; MemoryBound: 0
; FloatMode: 240
; IeeeMode: 1
; LDSByteSize: 0 bytes/workgroup (compile time only)
; SGPRBlocks: 3
; VGPRBlocks: 5
; NumSGPRsForWavesPerEU: 25
; NumVGPRsForWavesPerEU: 47
; Occupancy: 16
; WaveLimiterHint : 0
; COMPUTE_PGM_RSRC2:SCRATCH_EN: 0
; COMPUTE_PGM_RSRC2:USER_SGPR: 15
; COMPUTE_PGM_RSRC2:TRAP_HANDLER: 0
; COMPUTE_PGM_RSRC2:TGID_X_EN: 1
; COMPUTE_PGM_RSRC2:TGID_Y_EN: 0
; COMPUTE_PGM_RSRC2:TGID_Z_EN: 0
; COMPUTE_PGM_RSRC2:TIDIG_COMP_CNT: 0
	.section	.text._ZN2at6native12_GLOBAL__N_143distribution_elementwise_grid_stride_kernelImLi2EZZZNS0_9templates4cuda21random_from_to_kernelIPNS_17CUDAGeneratorImplEEEvRNS_18TensorIteratorBaseEmlT_ENKUlvE_clEvENKUlvE8_clEvEUlP25hiprandStatePhilox4_32_10E_ZNS1_27distribution_nullary_kernelIN3c108BFloat16Em15HIP_vector_typeIyLj2EES7_SF_ZZZNS5_IS7_EEvS9_mlSA_ENKSB_clEvENKSC_clEvEUlmE_EEvS9_T2_RKT3_T4_EUlimE0_EEvlNS_15PhiloxCudaStateET1_SM_,"axG",@progbits,_ZN2at6native12_GLOBAL__N_143distribution_elementwise_grid_stride_kernelImLi2EZZZNS0_9templates4cuda21random_from_to_kernelIPNS_17CUDAGeneratorImplEEEvRNS_18TensorIteratorBaseEmlT_ENKUlvE_clEvENKUlvE8_clEvEUlP25hiprandStatePhilox4_32_10E_ZNS1_27distribution_nullary_kernelIN3c108BFloat16Em15HIP_vector_typeIyLj2EES7_SF_ZZZNS5_IS7_EEvS9_mlSA_ENKSB_clEvENKSC_clEvEUlmE_EEvS9_T2_RKT3_T4_EUlimE0_EEvlNS_15PhiloxCudaStateET1_SM_,comdat
	.globl	_ZN2at6native12_GLOBAL__N_143distribution_elementwise_grid_stride_kernelImLi2EZZZNS0_9templates4cuda21random_from_to_kernelIPNS_17CUDAGeneratorImplEEEvRNS_18TensorIteratorBaseEmlT_ENKUlvE_clEvENKUlvE8_clEvEUlP25hiprandStatePhilox4_32_10E_ZNS1_27distribution_nullary_kernelIN3c108BFloat16Em15HIP_vector_typeIyLj2EES7_SF_ZZZNS5_IS7_EEvS9_mlSA_ENKSB_clEvENKSC_clEvEUlmE_EEvS9_T2_RKT3_T4_EUlimE0_EEvlNS_15PhiloxCudaStateET1_SM_ ; -- Begin function _ZN2at6native12_GLOBAL__N_143distribution_elementwise_grid_stride_kernelImLi2EZZZNS0_9templates4cuda21random_from_to_kernelIPNS_17CUDAGeneratorImplEEEvRNS_18TensorIteratorBaseEmlT_ENKUlvE_clEvENKUlvE8_clEvEUlP25hiprandStatePhilox4_32_10E_ZNS1_27distribution_nullary_kernelIN3c108BFloat16Em15HIP_vector_typeIyLj2EES7_SF_ZZZNS5_IS7_EEvS9_mlSA_ENKSB_clEvENKSC_clEvEUlmE_EEvS9_T2_RKT3_T4_EUlimE0_EEvlNS_15PhiloxCudaStateET1_SM_
	.p2align	8
	.type	_ZN2at6native12_GLOBAL__N_143distribution_elementwise_grid_stride_kernelImLi2EZZZNS0_9templates4cuda21random_from_to_kernelIPNS_17CUDAGeneratorImplEEEvRNS_18TensorIteratorBaseEmlT_ENKUlvE_clEvENKUlvE8_clEvEUlP25hiprandStatePhilox4_32_10E_ZNS1_27distribution_nullary_kernelIN3c108BFloat16Em15HIP_vector_typeIyLj2EES7_SF_ZZZNS5_IS7_EEvS9_mlSA_ENKSB_clEvENKSC_clEvEUlmE_EEvS9_T2_RKT3_T4_EUlimE0_EEvlNS_15PhiloxCudaStateET1_SM_,@function
_ZN2at6native12_GLOBAL__N_143distribution_elementwise_grid_stride_kernelImLi2EZZZNS0_9templates4cuda21random_from_to_kernelIPNS_17CUDAGeneratorImplEEEvRNS_18TensorIteratorBaseEmlT_ENKUlvE_clEvENKUlvE8_clEvEUlP25hiprandStatePhilox4_32_10E_ZNS1_27distribution_nullary_kernelIN3c108BFloat16Em15HIP_vector_typeIyLj2EES7_SF_ZZZNS5_IS7_EEvS9_mlSA_ENKSB_clEvENKSC_clEvEUlmE_EEvS9_T2_RKT3_T4_EUlimE0_EEvlNS_15PhiloxCudaStateET1_SM_: ; @_ZN2at6native12_GLOBAL__N_143distribution_elementwise_grid_stride_kernelImLi2EZZZNS0_9templates4cuda21random_from_to_kernelIPNS_17CUDAGeneratorImplEEEvRNS_18TensorIteratorBaseEmlT_ENKUlvE_clEvENKUlvE8_clEvEUlP25hiprandStatePhilox4_32_10E_ZNS1_27distribution_nullary_kernelIN3c108BFloat16Em15HIP_vector_typeIyLj2EES7_SF_ZZZNS5_IS7_EEvS9_mlSA_ENKSB_clEvENKSC_clEvEUlmE_EEvS9_T2_RKT3_T4_EUlimE0_EEvlNS_15PhiloxCudaStateET1_SM_
; %bb.0:
	s_clause 0x2
	s_load_b64 s[4:5], s[0:1], 0x10
	s_load_b128 s[16:19], s[0:1], 0x0
	s_load_b32 s2, s[0:1], 0x20
	s_waitcnt lgkmcnt(0)
	v_dual_mov_b32 v2, s4 :: v_dual_mov_b32 v3, s5
	v_dual_mov_b32 v11, s18 :: v_dual_mov_b32 v12, s19
	s_bitcmp0_b32 s2, 0
	s_mov_b32 s2, 0
	s_cbranch_scc1 .LBB37_2
; %bb.1:
	v_dual_mov_b32 v1, s4 :: v_dual_mov_b32 v2, s5
	v_dual_mov_b32 v4, s18 :: v_dual_mov_b32 v5, s19
	s_load_b64 s[4:5], s[0:1], 0x18
	flat_load_b64 v[2:3], v[1:2]
	flat_load_b64 v[11:12], v[4:5]
	s_waitcnt vmcnt(1) lgkmcnt(0)
	v_add_co_u32 v2, vcc_lo, v2, s4
	v_add_co_ci_u32_e32 v3, vcc_lo, s5, v3, vcc_lo
.LBB37_2:
	s_clause 0x1
	s_load_b32 s3, s[0:1], 0x15c
	s_load_b32 s5, s[0:1], 0x150
	s_waitcnt lgkmcnt(0)
	s_and_b32 s4, s3, 0xffff
	s_add_u32 s6, s16, -1
	s_mul_i32 s28, s5, s4
	s_addc_u32 s3, s17, -1
	s_lshl_b32 s29, s28, 1
	s_cmp_lg_u64 s[2:3], 0
	s_cbranch_scc0 .LBB37_57
; %bb.3:
	v_cvt_f32_ubyte0_e32 v1, 0
	v_cvt_f32_u32_e32 v4, s29
	s_sub_u32 s8, 0, s29
	s_subb_u32 s9, 0, 0
	s_delay_alu instid0(VALU_DEP_1) | instskip(NEXT) | instid1(VALU_DEP_1)
	v_fmamk_f32 v1, v1, 0x4f800000, v4
	v_rcp_f32_e32 v1, v1
	s_waitcnt_depctr 0xfff
	v_mul_f32_e32 v1, 0x5f7ffffc, v1
	s_delay_alu instid0(VALU_DEP_1) | instskip(NEXT) | instid1(VALU_DEP_1)
	v_mul_f32_e32 v4, 0x2f800000, v1
	v_trunc_f32_e32 v4, v4
	s_delay_alu instid0(VALU_DEP_1) | instskip(SKIP_1) | instid1(VALU_DEP_2)
	v_fmamk_f32 v1, v4, 0xcf800000, v1
	v_cvt_u32_f32_e32 v4, v4
	v_cvt_u32_f32_e32 v1, v1
	s_delay_alu instid0(VALU_DEP_2) | instskip(NEXT) | instid1(VALU_DEP_2)
	v_readfirstlane_b32 s2, v4
	v_readfirstlane_b32 s7, v1
	s_delay_alu instid0(VALU_DEP_2) | instskip(NEXT) | instid1(VALU_DEP_1)
	s_mul_i32 s10, s8, s2
	s_mul_hi_u32 s12, s8, s7
	s_mul_i32 s11, s9, s7
	s_add_i32 s10, s12, s10
	s_mul_i32 s13, s8, s7
	s_add_i32 s10, s10, s11
	s_mul_hi_u32 s12, s7, s13
	s_mul_hi_u32 s14, s2, s13
	s_mul_i32 s11, s2, s13
	s_mul_hi_u32 s13, s7, s10
	s_mul_i32 s7, s7, s10
	s_mul_hi_u32 s18, s2, s10
	s_add_u32 s7, s12, s7
	s_addc_u32 s12, 0, s13
	s_add_u32 s7, s7, s11
	s_mul_i32 s10, s2, s10
	s_addc_u32 s7, s12, s14
	s_addc_u32 s11, s18, 0
	s_add_u32 s7, s7, s10
	s_addc_u32 s10, 0, s11
	v_add_co_u32 v1, s7, v1, s7
	s_delay_alu instid0(VALU_DEP_1) | instskip(SKIP_1) | instid1(VALU_DEP_1)
	s_cmp_lg_u32 s7, 0
	s_addc_u32 s2, s2, s10
	v_readfirstlane_b32 s7, v1
	s_mul_i32 s10, s8, s2
	s_delay_alu instid0(VALU_DEP_1)
	s_mul_hi_u32 s11, s8, s7
	s_mul_i32 s9, s9, s7
	s_add_i32 s10, s11, s10
	s_mul_i32 s8, s8, s7
	s_add_i32 s10, s10, s9
	s_mul_hi_u32 s11, s2, s8
	s_mul_i32 s12, s2, s8
	s_mul_hi_u32 s8, s7, s8
	s_mul_hi_u32 s13, s7, s10
	s_mul_i32 s7, s7, s10
	s_mul_hi_u32 s9, s2, s10
	s_add_u32 s7, s8, s7
	s_addc_u32 s8, 0, s13
	s_add_u32 s7, s7, s12
	s_mul_i32 s10, s2, s10
	s_addc_u32 s7, s8, s11
	s_addc_u32 s8, s9, 0
	s_add_u32 s7, s7, s10
	s_addc_u32 s8, 0, s8
	v_add_co_u32 v1, s7, v1, s7
	s_delay_alu instid0(VALU_DEP_1) | instskip(SKIP_2) | instid1(VALU_DEP_1)
	s_cmp_lg_u32 s7, 0
	s_addc_u32 s7, s2, s8
	s_ashr_i32 s8, s3, 31
	v_readfirstlane_b32 s10, v1
	s_add_u32 s2, s6, s8
	s_mov_b32 s9, s8
	s_addc_u32 s3, s3, s8
	s_delay_alu instid0(SALU_CYCLE_1) | instskip(NEXT) | instid1(SALU_CYCLE_1)
	s_xor_b64 s[2:3], s[2:3], s[8:9]
	s_mul_i32 s12, s2, s7
	s_mul_hi_u32 s13, s2, s10
	s_mul_hi_u32 s11, s2, s7
	;; [unrolled: 1-line block ×3, first 2 shown]
	s_mul_i32 s10, s3, s10
	s_add_u32 s12, s13, s12
	s_addc_u32 s11, 0, s11
	s_mul_hi_u32 s14, s3, s7
	s_add_u32 s10, s12, s10
	s_mul_i32 s7, s3, s7
	s_addc_u32 s10, s11, s18
	s_addc_u32 s11, s14, 0
	s_add_u32 s7, s10, s7
	s_addc_u32 s10, 0, s11
	s_mul_i32 s12, s29, s7
	s_add_u32 s11, s7, 1
	v_sub_co_u32 v1, s2, s2, s12
	s_mul_hi_u32 s12, s29, s7
	s_addc_u32 s13, s10, 0
	s_mul_i32 s14, s29, s10
	s_delay_alu instid0(VALU_DEP_1)
	v_sub_co_u32 v4, s18, v1, s29
	s_add_u32 s19, s7, 2
	s_addc_u32 s20, s10, 0
	s_add_i32 s12, s12, s14
	s_cmp_lg_u32 s2, 0
	v_readfirstlane_b32 s2, v4
	s_subb_u32 s3, s3, s12
	s_cmp_lg_u32 s18, 0
	s_subb_u32 s12, s3, 0
	s_delay_alu instid0(VALU_DEP_1) | instskip(SKIP_4) | instid1(SALU_CYCLE_1)
	s_cmp_ge_u32 s2, s29
	s_cselect_b32 s2, -1, 0
	s_cmp_eq_u32 s12, 0
	v_readfirstlane_b32 s12, v1
	s_cselect_b32 s2, s2, -1
	s_cmp_lg_u32 s2, 0
	s_cselect_b32 s2, s19, s11
	s_cselect_b32 s11, s20, s13
	s_cmp_ge_u32 s12, s29
	s_cselect_b32 s12, -1, 0
	s_cmp_eq_u32 s3, 0
	s_cselect_b32 s3, s12, -1
	s_delay_alu instid0(SALU_CYCLE_1) | instskip(SKIP_2) | instid1(SALU_CYCLE_1)
	s_cmp_lg_u32 s3, 0
	s_cselect_b32 s3, s11, s10
	s_cselect_b32 s2, s2, s7
	s_xor_b64 s[2:3], s[2:3], s[8:9]
	s_delay_alu instid0(SALU_CYCLE_1)
	s_sub_u32 s2, s2, s8
	s_subb_u32 s3, s3, s8
	s_cbranch_execnz .LBB37_5
.LBB37_4:
	v_cvt_f32_u32_e32 v1, s29
	s_sub_i32 s3, 0, s29
	s_delay_alu instid0(VALU_DEP_1) | instskip(SKIP_2) | instid1(VALU_DEP_1)
	v_rcp_iflag_f32_e32 v1, v1
	s_waitcnt_depctr 0xfff
	v_mul_f32_e32 v1, 0x4f7ffffe, v1
	v_cvt_u32_f32_e32 v1, v1
	s_delay_alu instid0(VALU_DEP_1) | instskip(NEXT) | instid1(VALU_DEP_1)
	v_readfirstlane_b32 s2, v1
	s_mul_i32 s3, s3, s2
	s_delay_alu instid0(SALU_CYCLE_1) | instskip(NEXT) | instid1(SALU_CYCLE_1)
	s_mul_hi_u32 s3, s2, s3
	s_add_i32 s2, s2, s3
	s_delay_alu instid0(SALU_CYCLE_1) | instskip(NEXT) | instid1(SALU_CYCLE_1)
	s_mul_hi_u32 s2, s6, s2
	s_mul_i32 s3, s2, s29
	s_delay_alu instid0(SALU_CYCLE_1)
	s_sub_i32 s3, s6, s3
	s_add_i32 s6, s2, 1
	s_sub_i32 s7, s3, s29
	s_cmp_ge_u32 s3, s29
	s_cselect_b32 s2, s6, s2
	s_cselect_b32 s3, s7, s3
	s_add_i32 s6, s2, 1
	s_cmp_ge_u32 s3, s29
	s_mov_b32 s3, 0
	s_cselect_b32 s2, s6, s2
.LBB37_5:
	v_mov_b32_e32 v13, 0
	s_add_u32 s2, s2, 1
	s_addc_u32 s3, s3, 0
	s_mul_hi_u32 s5, s5, s4
	s_mul_hi_u32 s6, s28, s2
	v_mov_b32_e32 v1, v13
	s_mul_i32 s3, s28, s3
	s_mul_i32 s5, s5, s2
	s_add_i32 s3, s6, s3
	s_mul_i32 s2, s28, s2
	v_mad_u64_u32 v[15:16], null, s4, s15, v[0:1]
	s_add_i32 s3, s3, s5
	s_mov_b32 s4, exec_lo
	s_lshl_b64 s[2:3], s[2:3], 1
	s_delay_alu instid0(VALU_DEP_1) | instid1(SALU_CYCLE_1)
	v_cmpx_gt_i64_e64 s[2:3], v[15:16]
	s_cbranch_execz .LBB37_56
; %bb.6:
	v_alignbit_b32 v19, v3, v2, 2
	v_mad_u64_u32 v[4:5], null, 0xcd9e8d57, v15, 0
	v_lshrrev_b32_e32 v20, 2, v3
	s_waitcnt vmcnt(0)
	v_dual_mov_b32 v9, v12 :: v_dual_add_nc_u32 v30, 0x8ff34781, v11
	v_mad_u64_u32 v[0:1], null, 0xd2511f53, v19, 0
	v_add_co_u32 v22, null, 0x9e3779b9, v11
	v_xor3_b32 v3, v11, v5, v20
	s_delay_alu instid0(VALU_DEP_4) | instskip(SKIP_2) | instid1(VALU_DEP_4)
	v_add_co_u32 v21, null, 0xbb67ae85, v9
	v_add_co_u32 v23, null, 0x3c6ef372, v11
	v_xor_b32_e32 v1, v1, v12
	v_mad_u64_u32 v[5:6], null, 0xd2511f53, v3, 0
	v_add_co_u32 v24, null, 0x76cf5d0a, v9
	s_delay_alu instid0(VALU_DEP_3) | instskip(SKIP_2) | instid1(VALU_DEP_3)
	v_xor_b32_e32 v1, v1, v16
	v_add_co_u32 v25, null, 0x32370b8f, v9
	v_add_co_u32 v26, null, 0xdaa66d2b, v11
	v_mad_u64_u32 v[7:8], null, 0xcd9e8d57, v1, 0
	v_xor3_b32 v3, v21, v6, v0
	v_add_co_u32 v27, null, 0x78dde6e4, v11
	v_add_co_u32 v28, null, 0xed9eba14, v9
	s_delay_alu instid0(VALU_DEP_3) | instskip(SKIP_3) | instid1(VALU_DEP_3)
	v_mad_u64_u32 v[0:1], null, 0xcd9e8d57, v3, 0
	v_xor3_b32 v6, v22, v8, v4
	v_dual_mov_b32 v40, v15 :: v_dual_and_b32 v29, 3, v2
	v_add_co_u32 v31, null, 0xa9066899, v9
	v_mad_u64_u32 v[3:4], null, 0xd2511f53, v6, 0
	v_xor3_b32 v1, v23, v1, v7
	v_add_co_u32 v32, null, 0x1715609d, v11
	v_add_co_u32 v34, null, 0xb54cda56, v11
	v_add_co_u32 v36, null, 0x646e171e, v9
	v_xor3_b32 v8, v24, v4, v5
	v_mad_u64_u32 v[4:5], null, 0xd2511f53, v1, 0
	s_load_b256 s[4:11], s[0:1], 0x30
	v_add_co_u32 v33, null, 0x5384540f, v11
	s_delay_alu instid0(VALU_DEP_3) | instskip(SKIP_1) | instid1(VALU_DEP_4)
	v_mad_u64_u32 v[6:7], null, 0xcd9e8d57, v8, 0
	v_add_co_u32 v37, null, 0x1fd5c5a3, v9
	v_xor3_b32 v3, v25, v5, v3
	v_add_co_u32 v35, null, 0xf1bbcdc8, v11
	v_add_co_u32 v38, null, 0xdb3d7428, v9
	v_xor3_b32 v5, v26, v7, v0
	s_delay_alu instid0(VALU_DEP_4) | instskip(SKIP_2) | instid1(VALU_DEP_2)
	v_mad_u64_u32 v[0:1], null, 0xcd9e8d57, v3, 0
	s_add_u32 s18, s0, 48
	s_load_b64 s[20:21], s[0:1], 0x148
	v_mad_u64_u32 v[7:8], null, 0xd2511f53, v5, 0
	s_clause 0x1
	s_load_b64 s[22:23], s[0:1], 0xf4
	s_load_b128 s[12:15], s[0:1], 0x138
	s_addc_u32 s19, s1, 0
	v_xor3_b32 v3, v27, v1, v6
	s_waitcnt lgkmcnt(0)
	s_add_i32 s26, s4, -1
	v_add_nc_u32_e32 v39, 0x96a522ad, v12
	s_cmp_gt_u32 s26, 1
	v_xor3_b32 v5, v28, v8, v4
	v_mad_u64_u32 v[1:2], null, 0xd2511f53, v3, 0
	s_cselect_b32 s11, -1, 0
	s_cmp_lg_u32 s4, 0
	s_delay_alu instid0(VALU_DEP_2) | instskip(SKIP_2) | instid1(VALU_DEP_2)
	v_mad_u64_u32 v[3:4], null, 0xcd9e8d57, v5, 0
	s_cselect_b32 s31, -1, 0
	s_add_u32 s24, s0, 0xf4
	v_xor3_b32 v2, v31, v2, v7
	s_addc_u32 s25, s1, 0
	s_min_u32 s0, s26, 15
	s_cmp_gt_u32 s4, 1
	s_delay_alu instid0(VALU_DEP_2) | instskip(SKIP_3) | instid1(VALU_DEP_2)
	v_xor3_b32 v0, v32, v4, v0
	v_mad_u64_u32 v[4:5], null, 0xcd9e8d57, v2, 0
	s_cselect_b32 s4, -1, 0
	s_add_i32 s0, s0, 1
	v_mad_u64_u32 v[6:7], null, 0xd2511f53, v0, 0
	s_and_b32 s33, s0, 3
	s_cmp_lg_u32 s26, 2
	s_delay_alu instid0(VALU_DEP_2) | instskip(SKIP_3) | instid1(VALU_DEP_3)
	v_xor3_b32 v2, v34, v5, v3
	s_cselect_b32 s34, -1, 0
	s_and_b32 s35, s0, 28
	v_mov_b32_e32 v41, v16
	v_xor3_b32 v5, v36, v7, v1
	v_mad_u64_u32 v[0:1], null, 0xd2511f53, v2, 0
	s_cmp_lg_u32 s33, 0
	s_mov_b32 s30, 0
	s_delay_alu instid0(VALU_DEP_2) | instskip(SKIP_1) | instid1(VALU_DEP_2)
	v_mad_u64_u32 v[2:3], null, 0xcd9e8d57, v5, 0
	s_cselect_b32 s36, -1, 0
	v_xor3_b32 v1, v37, v1, v6
	s_delay_alu instid0(VALU_DEP_2) | instskip(NEXT) | instid1(VALU_DEP_2)
	v_xor3_b32 v3, v33, v3, v4
	v_mad_u64_u32 v[4:5], null, 0xcd9e8d57, v1, 0
	s_delay_alu instid0(VALU_DEP_2) | instskip(NEXT) | instid1(VALU_DEP_2)
	v_mad_u64_u32 v[6:7], null, 0xd2511f53, v3, 0
	v_xor3_b32 v1, v35, v5, v2
	s_delay_alu instid0(VALU_DEP_2) | instskip(NEXT) | instid1(VALU_DEP_2)
	v_xor3_b32 v0, v38, v7, v0
	v_mad_u64_u32 v[7:8], null, 0xd2511f53, v1, 0
	s_delay_alu instid0(VALU_DEP_2) | instskip(NEXT) | instid1(VALU_DEP_2)
	v_mad_u64_u32 v[1:2], null, 0xcd9e8d57, v0, 0
	v_mov_b32_e32 v3, v7
	s_delay_alu instid0(VALU_DEP_2) | instskip(NEXT) | instid1(VALU_DEP_4)
	v_xor3_b32 v0, v2, v4, v30
	v_xor3_b32 v2, v8, v6, v39
	s_branch .LBB37_9
.LBB37_7:                               ;   in Loop: Header=BB37_9 Depth=1
	s_or_b32 exec_lo, exec_lo, s0
	s_delay_alu instid0(VALU_DEP_1) | instskip(SKIP_1) | instid1(VALU_DEP_1)
	v_add_co_u32 v0, vcc_lo, v8, s20
	v_add_co_ci_u32_e32 v1, vcc_lo, s21, v9, vcc_lo
	v_xor_b32_e32 v2, v0, v1
	v_cls_i32_e32 v3, v1
	s_delay_alu instid0(VALU_DEP_2) | instskip(NEXT) | instid1(VALU_DEP_2)
	v_ashrrev_i32_e32 v2, 31, v2
	v_add_nc_u32_e32 v3, -1, v3
	s_delay_alu instid0(VALU_DEP_2) | instskip(NEXT) | instid1(VALU_DEP_1)
	v_add_nc_u32_e32 v2, 32, v2
	v_min_u32_e32 v2, v3, v2
	s_delay_alu instid0(VALU_DEP_1) | instskip(NEXT) | instid1(VALU_DEP_1)
	v_lshlrev_b64 v[0:1], v2, v[0:1]
	v_min_u32_e32 v0, 1, v0
	s_delay_alu instid0(VALU_DEP_1) | instskip(SKIP_1) | instid1(VALU_DEP_2)
	v_or_b32_e32 v0, v1, v0
	v_sub_nc_u32_e32 v1, 32, v2
	v_cvt_f32_i32_e32 v0, v0
	s_delay_alu instid0(VALU_DEP_1) | instskip(NEXT) | instid1(VALU_DEP_1)
	v_ldexp_f32 v0, v0, v1
	v_bfe_u32 v1, v0, 16, 1
	s_delay_alu instid0(VALU_DEP_1)
	v_add3_u32 v0, v0, v1, 0x7fff
	global_store_d16_hi_b16 v7, v0, s[12:13]
.LBB37_8:                               ;   in Loop: Header=BB37_9 Depth=1
	s_or_b32 exec_lo, exec_lo, s37
	v_add_co_u32 v15, vcc_lo, v15, s29
	v_add_co_ci_u32_e32 v16, vcc_lo, 0, v16, vcc_lo
	v_mov_b32_e32 v7, v17
	v_dual_mov_b32 v0, v4 :: v_dual_mov_b32 v1, v5
	s_delay_alu instid0(VALU_DEP_3) | instskip(NEXT) | instid1(VALU_DEP_3)
	v_cmp_le_i64_e32 vcc_lo, s[2:3], v[15:16]
	v_dual_mov_b32 v2, v6 :: v_dual_mov_b32 v3, v7
	s_waitcnt_vscnt null, 0x0
	s_barrier
	buffer_gl0_inv
	s_or_b32 s30, vcc_lo, s30
	s_delay_alu instid0(SALU_CYCLE_1)
	s_and_not1_b32 exec_lo, exec_lo, s30
	s_cbranch_execz .LBB37_56
.LBB37_9:                               ; =>This Loop Header: Depth=1
                                        ;     Child Loop BB37_24 Depth 2
                                        ;     Child Loop BB37_29 Depth 2
	;; [unrolled: 1-line block ×4, first 2 shown]
	v_add_co_u32 v19, vcc_lo, v19, 1
	s_delay_alu instid0(VALU_DEP_1) | instskip(SKIP_2) | instid1(VALU_DEP_1)
	v_cndmask_b32_e64 v4, 0, 1, vcc_lo
	v_add_co_ci_u32_e32 v20, vcc_lo, 0, v20, vcc_lo
	s_mov_b32 s0, exec_lo
	v_cmp_eq_u32_e32 vcc_lo, 0, v20
	s_delay_alu instid0(VALU_DEP_3) | instskip(NEXT) | instid1(VALU_DEP_1)
	v_cndmask_b32_e32 v4, 0, v4, vcc_lo
	v_add_nc_u32_e32 v40, v4, v40
	s_delay_alu instid0(VALU_DEP_1) | instskip(SKIP_2) | instid1(VALU_DEP_2)
	v_cmp_eq_u32_e32 vcc_lo, 0, v40
	v_mad_u64_u32 v[6:7], null, 0xcd9e8d57, v40, 0
	v_cndmask_b32_e32 v4, 0, v4, vcc_lo
	v_xor3_b32 v9, v7, v11, v20
	s_delay_alu instid0(VALU_DEP_2) | instskip(SKIP_1) | instid1(VALU_DEP_3)
	v_add_nc_u32_e32 v41, v4, v41
	v_mad_u64_u32 v[4:5], null, 0xd2511f53, v19, 0
	v_mad_u64_u32 v[7:8], null, 0xd2511f53, v9, 0
	s_delay_alu instid0(VALU_DEP_2) | instskip(NEXT) | instid1(VALU_DEP_2)
	v_xor_b32_e32 v5, v5, v12
	v_xor3_b32 v8, v21, v8, v4
	s_delay_alu instid0(VALU_DEP_2) | instskip(NEXT) | instid1(VALU_DEP_1)
	v_xor_b32_e32 v5, v41, v5
	v_mad_u64_u32 v[9:10], null, 0xcd9e8d57, v5, 0
	s_delay_alu instid0(VALU_DEP_3) | instskip(NEXT) | instid1(VALU_DEP_2)
	v_mad_u64_u32 v[4:5], null, 0xcd9e8d57, v8, 0
	v_xor3_b32 v6, v22, v10, v6
	s_delay_alu instid0(VALU_DEP_2) | instskip(NEXT) | instid1(VALU_DEP_2)
	v_xor3_b32 v8, v23, v5, v9
	v_mad_u64_u32 v[17:18], null, 0xd2511f53, v6, 0
	s_delay_alu instid0(VALU_DEP_2) | instskip(NEXT) | instid1(VALU_DEP_2)
	v_mad_u64_u32 v[5:6], null, 0xd2511f53, v8, 0
	v_xor3_b32 v9, v24, v18, v7
	s_delay_alu instid0(VALU_DEP_2) | instskip(NEXT) | instid1(VALU_DEP_2)
	v_xor3_b32 v6, v25, v6, v17
	v_mad_u64_u32 v[7:8], null, 0xcd9e8d57, v9, 0
	s_delay_alu instid0(VALU_DEP_1) | instskip(NEXT) | instid1(VALU_DEP_3)
	v_xor3_b32 v4, v26, v8, v4
	v_mad_u64_u32 v[8:9], null, 0xcd9e8d57, v6, 0
	s_delay_alu instid0(VALU_DEP_2) | instskip(NEXT) | instid1(VALU_DEP_2)
	v_mad_u64_u32 v[17:18], null, 0xd2511f53, v4, 0
	v_xor3_b32 v6, v27, v9, v7
	s_delay_alu instid0(VALU_DEP_2) | instskip(NEXT) | instid1(VALU_DEP_2)
	v_xor3_b32 v9, v28, v18, v5
	v_mad_u64_u32 v[4:5], null, 0xd2511f53, v6, 0
	s_delay_alu instid0(VALU_DEP_2) | instskip(NEXT) | instid1(VALU_DEP_2)
	v_mad_u64_u32 v[6:7], null, 0xcd9e8d57, v9, 0
	v_xor3_b32 v5, v31, v5, v17
	s_delay_alu instid0(VALU_DEP_2) | instskip(NEXT) | instid1(VALU_DEP_2)
	;; [unrolled: 6-line block ×6, first 2 shown]
	v_xor3_b32 v4, v6, v7, v30
	v_mov_b32_e32 v6, v10
	v_cmpx_lt_i32_e32 1, v29
	s_xor_b32 s0, exec_lo, s0
	s_cbranch_execnz .LBB37_12
; %bb.10:                               ;   in Loop: Header=BB37_9 Depth=1
	s_and_not1_saveexec_b32 s0, s0
	s_cbranch_execnz .LBB37_17
.LBB37_11:                              ;   in Loop: Header=BB37_9 Depth=1
	s_or_b32 exec_lo, exec_lo, s0
	s_delay_alu instid0(SALU_CYCLE_1)
	s_mov_b32 s37, exec_lo
	v_cmpx_gt_i64_e64 s[16:17], v[15:16]
	s_cbranch_execnz .LBB37_20
	s_branch .LBB37_38
.LBB37_12:                              ;   in Loop: Header=BB37_9 Depth=1
	s_mov_b32 s1, exec_lo
	v_cmpx_lt_i32_e32 2, v29
	s_xor_b32 s1, exec_lo, s1
; %bb.13:                               ;   in Loop: Header=BB37_9 Depth=1
	v_dual_mov_b32 v7, v3 :: v_dual_mov_b32 v8, v4
	v_mov_b32_e32 v9, v5
	s_delay_alu instid0(VALU_DEP_2) | instskip(NEXT) | instid1(VALU_DEP_2)
	v_dual_mov_b32 v0, v7 :: v_dual_mov_b32 v1, v8
	v_dual_mov_b32 v2, v9 :: v_dual_mov_b32 v3, v10
; %bb.14:                               ;   in Loop: Header=BB37_9 Depth=1
	s_and_not1_saveexec_b32 s1, s1
; %bb.15:                               ;   in Loop: Header=BB37_9 Depth=1
	s_delay_alu instid0(VALU_DEP_1)
	v_dual_mov_b32 v0, v2 :: v_dual_mov_b32 v1, v3
	v_dual_mov_b32 v2, v4 :: v_dual_mov_b32 v3, v5
; %bb.16:                               ;   in Loop: Header=BB37_9 Depth=1
	s_or_b32 exec_lo, exec_lo, s1
	s_and_not1_saveexec_b32 s0, s0
	s_cbranch_execz .LBB37_11
.LBB37_17:                              ;   in Loop: Header=BB37_9 Depth=1
	s_mov_b32 s1, exec_lo
	v_cmpx_eq_u32_e32 1, v29
; %bb.18:                               ;   in Loop: Header=BB37_9 Depth=1
	v_dual_mov_b32 v0, v1 :: v_dual_mov_b32 v1, v2
	v_dual_mov_b32 v2, v3 :: v_dual_mov_b32 v3, v4
; %bb.19:                               ;   in Loop: Header=BB37_9 Depth=1
	s_or_b32 exec_lo, exec_lo, s1
	s_delay_alu instid0(SALU_CYCLE_1) | instskip(NEXT) | instid1(SALU_CYCLE_1)
	s_or_b32 exec_lo, exec_lo, s0
	s_mov_b32 s37, exec_lo
	v_cmpx_gt_i64_e64 s[16:17], v[15:16]
	s_cbranch_execz .LBB37_38
.LBB37_20:                              ;   in Loop: Header=BB37_9 Depth=1
	s_and_not1_b32 vcc_lo, exec_lo, s11
	s_cbranch_vccnz .LBB37_26
; %bb.21:                               ;   in Loop: Header=BB37_9 Depth=1
	v_mov_b32_e32 v7, 0
	s_and_not1_b32 vcc_lo, exec_lo, s31
	s_cbranch_vccnz .LBB37_30
; %bb.22:                               ;   in Loop: Header=BB37_9 Depth=1
	s_and_not1_b32 vcc_lo, exec_lo, s34
	s_mov_b32 s0, 0
	s_cbranch_vccnz .LBB37_27
; %bb.23:                               ;   in Loop: Header=BB37_9 Depth=1
	v_dual_mov_b32 v7, 0 :: v_dual_mov_b32 v8, v15
	s_mov_b32 s38, 0
	s_mov_b64 s[0:1], s[18:19]
	s_mov_b64 s[26:27], s[24:25]
.LBB37_24:                              ;   Parent Loop BB37_9 Depth=1
                                        ; =>  This Inner Loop Header: Depth=2
	s_clause 0x1
	s_load_b256 s[40:47], s[0:1], 0x4
	s_load_b128 s[48:51], s[0:1], 0x24
	s_load_b128 s[52:55], s[26:27], 0x0
	s_add_u32 s0, s0, 48
	s_addc_u32 s1, s1, 0
	s_add_i32 s38, s38, 4
	s_add_u32 s26, s26, 16
	s_addc_u32 s27, s27, 0
	s_cmp_lg_u32 s35, s38
	s_waitcnt lgkmcnt(0)
	v_mul_hi_u32 v9, s41, v8
	s_delay_alu instid0(VALU_DEP_1) | instskip(NEXT) | instid1(VALU_DEP_1)
	v_add_nc_u32_e32 v9, v8, v9
	v_lshrrev_b32_e32 v9, s42, v9
	s_delay_alu instid0(VALU_DEP_1) | instskip(SKIP_1) | instid1(VALU_DEP_2)
	v_mul_hi_u32 v10, s44, v9
	v_mul_lo_u32 v42, v9, s40
	v_add_nc_u32_e32 v10, v9, v10
	s_delay_alu instid0(VALU_DEP_2) | instskip(NEXT) | instid1(VALU_DEP_2)
	v_sub_nc_u32_e32 v42, v8, v42
	v_lshrrev_b32_e32 v10, s45, v10
	s_delay_alu instid0(VALU_DEP_2) | instskip(NEXT) | instid1(VALU_DEP_2)
	v_mul_lo_u32 v42, v42, s52
	v_mul_hi_u32 v14, s47, v10
	v_mul_lo_u32 v43, v10, s43
	s_delay_alu instid0(VALU_DEP_2) | instskip(NEXT) | instid1(VALU_DEP_2)
	v_add_nc_u32_e32 v14, v10, v14
	v_sub_nc_u32_e32 v9, v9, v43
	s_delay_alu instid0(VALU_DEP_2) | instskip(NEXT) | instid1(VALU_DEP_2)
	v_lshrrev_b32_e32 v14, s48, v14
	v_mul_lo_u32 v9, v9, s53
	s_delay_alu instid0(VALU_DEP_2) | instskip(NEXT) | instid1(VALU_DEP_2)
	v_mul_hi_u32 v18, s50, v14
	v_add3_u32 v7, v42, v7, v9
	s_delay_alu instid0(VALU_DEP_2) | instskip(NEXT) | instid1(VALU_DEP_1)
	v_add_nc_u32_e32 v18, v14, v18
	v_lshrrev_b32_e32 v8, s51, v18
	v_mul_lo_u32 v18, v14, s46
	s_delay_alu instid0(VALU_DEP_2) | instskip(NEXT) | instid1(VALU_DEP_2)
	v_mul_lo_u32 v44, v8, s49
	v_sub_nc_u32_e32 v10, v10, v18
	s_delay_alu instid0(VALU_DEP_2) | instskip(NEXT) | instid1(VALU_DEP_2)
	v_sub_nc_u32_e32 v14, v14, v44
	v_mul_lo_u32 v10, v10, s54
	s_delay_alu instid0(VALU_DEP_2) | instskip(NEXT) | instid1(VALU_DEP_1)
	v_mul_lo_u32 v14, v14, s55
	v_add3_u32 v7, v10, v7, v14
	s_cbranch_scc1 .LBB37_24
; %bb.25:                               ;   in Loop: Header=BB37_9 Depth=1
	s_mov_b32 s0, s35
	s_and_not1_b32 vcc_lo, exec_lo, s36
	s_cbranch_vccz .LBB37_28
	s_branch .LBB37_30
.LBB37_26:                              ;   in Loop: Header=BB37_9 Depth=1
                                        ; implicit-def: $vgpr7
	s_branch .LBB37_31
.LBB37_27:                              ;   in Loop: Header=BB37_9 Depth=1
	v_mov_b32_e32 v8, v15
	s_and_not1_b32 vcc_lo, exec_lo, s36
	s_cbranch_vccnz .LBB37_30
.LBB37_28:                              ;   in Loop: Header=BB37_9 Depth=1
	s_lshl_b32 s1, s0, 2
	s_mul_i32 s26, s0, 12
	s_add_u32 s0, s24, s1
	s_addc_u32 s1, s25, 0
	s_add_u32 s26, s18, s26
	s_addc_u32 s27, s19, 0
	s_mov_b32 s38, s33
	.p2align	6
.LBB37_29:                              ;   Parent Loop BB37_9 Depth=1
                                        ; =>  This Inner Loop Header: Depth=2
	s_clause 0x1
	s_load_b64 s[40:41], s[26:27], 0x4
	s_load_b32 s39, s[26:27], 0xc
	s_add_u32 s26, s26, 12
	s_addc_u32 s27, s27, 0
	s_waitcnt lgkmcnt(0)
	v_mul_hi_u32 v9, s41, v8
	s_load_b32 s41, s[0:1], 0x0
	s_add_u32 s0, s0, 4
	s_addc_u32 s1, s1, 0
	s_add_i32 s38, s38, -1
	s_delay_alu instid0(SALU_CYCLE_1) | instskip(NEXT) | instid1(VALU_DEP_1)
	s_cmp_lg_u32 s38, 0
	v_add_nc_u32_e32 v9, v8, v9
	s_delay_alu instid0(VALU_DEP_1) | instskip(NEXT) | instid1(VALU_DEP_1)
	v_lshrrev_b32_e32 v14, s39, v9
	v_mul_lo_u32 v9, v14, s40
	s_delay_alu instid0(VALU_DEP_1) | instskip(SKIP_1) | instid1(VALU_DEP_1)
	v_sub_nc_u32_e32 v8, v8, v9
	s_waitcnt lgkmcnt(0)
	v_mad_u64_u32 v[9:10], null, v8, s41, v[7:8]
	s_delay_alu instid0(VALU_DEP_1)
	v_dual_mov_b32 v8, v14 :: v_dual_mov_b32 v7, v9
	s_cbranch_scc1 .LBB37_29
.LBB37_30:                              ;   in Loop: Header=BB37_9 Depth=1
	s_cbranch_execnz .LBB37_33
.LBB37_31:                              ;   in Loop: Header=BB37_9 Depth=1
	v_mul_hi_u32 v7, v15, s6
	s_and_not1_b32 vcc_lo, exec_lo, s4
	s_delay_alu instid0(VALU_DEP_1) | instskip(NEXT) | instid1(VALU_DEP_1)
	v_add_nc_u32_e32 v7, v7, v15
	v_lshrrev_b32_e32 v8, s7, v7
	s_delay_alu instid0(VALU_DEP_1) | instskip(NEXT) | instid1(VALU_DEP_1)
	v_mul_lo_u32 v7, v8, s5
	v_sub_nc_u32_e32 v7, v15, v7
	s_delay_alu instid0(VALU_DEP_1)
	v_mul_lo_u32 v7, v7, s22
	s_cbranch_vccnz .LBB37_33
; %bb.32:                               ;   in Loop: Header=BB37_9 Depth=1
	v_mul_hi_u32 v9, s9, v8
	s_delay_alu instid0(VALU_DEP_1) | instskip(NEXT) | instid1(VALU_DEP_1)
	v_add_nc_u32_e32 v9, v8, v9
	v_lshrrev_b32_e32 v9, s10, v9
	s_delay_alu instid0(VALU_DEP_1) | instskip(NEXT) | instid1(VALU_DEP_1)
	v_mul_lo_u32 v9, v9, s8
	v_sub_nc_u32_e32 v10, v8, v9
	s_delay_alu instid0(VALU_DEP_1) | instskip(NEXT) | instid1(VALU_DEP_1)
	v_mad_u64_u32 v[8:9], null, v10, s23, v[7:8]
	v_mov_b32_e32 v7, v8
.LBB37_33:                              ;   in Loop: Header=BB37_9 Depth=1
	v_or_b32_e32 v14, s15, v0
                                        ; implicit-def: $vgpr8_vgpr9
	s_mov_b32 s0, exec_lo
	s_delay_alu instid0(VALU_DEP_1)
	v_cmpx_ne_u64_e32 0, v[13:14]
	s_xor_b32 s1, exec_lo, s0
	s_cbranch_execz .LBB37_35
; %bb.34:                               ;   in Loop: Header=BB37_9 Depth=1
	v_cvt_f32_u32_e32 v8, s14
	v_cvt_f32_u32_e32 v9, s15
	s_sub_u32 s0, 0, s14
	s_subb_u32 s26, 0, s15
	s_delay_alu instid0(VALU_DEP_1) | instskip(NEXT) | instid1(VALU_DEP_1)
	v_fmac_f32_e32 v8, 0x4f800000, v9
	v_rcp_f32_e32 v8, v8
	s_waitcnt_depctr 0xfff
	v_mul_f32_e32 v8, 0x5f7ffffc, v8
	s_delay_alu instid0(VALU_DEP_1) | instskip(NEXT) | instid1(VALU_DEP_1)
	v_mul_f32_e32 v9, 0x2f800000, v8
	v_trunc_f32_e32 v9, v9
	s_delay_alu instid0(VALU_DEP_1) | instskip(SKIP_1) | instid1(VALU_DEP_2)
	v_fmac_f32_e32 v8, 0xcf800000, v9
	v_cvt_u32_f32_e32 v9, v9
	v_cvt_u32_f32_e32 v8, v8
	s_delay_alu instid0(VALU_DEP_2) | instskip(NEXT) | instid1(VALU_DEP_2)
	v_mul_lo_u32 v10, s0, v9
	v_mul_hi_u32 v14, s0, v8
	v_mul_lo_u32 v18, s26, v8
	s_delay_alu instid0(VALU_DEP_2) | instskip(SKIP_1) | instid1(VALU_DEP_2)
	v_add_nc_u32_e32 v10, v14, v10
	v_mul_lo_u32 v14, s0, v8
	v_add_nc_u32_e32 v10, v10, v18
	s_delay_alu instid0(VALU_DEP_2) | instskip(NEXT) | instid1(VALU_DEP_2)
	v_mul_hi_u32 v18, v8, v14
	v_mul_lo_u32 v42, v8, v10
	v_mul_hi_u32 v43, v8, v10
	v_mul_hi_u32 v44, v9, v14
	v_mul_lo_u32 v14, v9, v14
	v_mul_hi_u32 v45, v9, v10
	v_mul_lo_u32 v10, v9, v10
	v_add_co_u32 v18, vcc_lo, v18, v42
	v_add_co_ci_u32_e32 v42, vcc_lo, 0, v43, vcc_lo
	s_delay_alu instid0(VALU_DEP_2) | instskip(NEXT) | instid1(VALU_DEP_2)
	v_add_co_u32 v14, vcc_lo, v18, v14
	v_add_co_ci_u32_e32 v14, vcc_lo, v42, v44, vcc_lo
	v_add_co_ci_u32_e32 v18, vcc_lo, 0, v45, vcc_lo
	s_delay_alu instid0(VALU_DEP_2) | instskip(NEXT) | instid1(VALU_DEP_2)
	v_add_co_u32 v10, vcc_lo, v14, v10
	v_add_co_ci_u32_e32 v14, vcc_lo, 0, v18, vcc_lo
	s_delay_alu instid0(VALU_DEP_2) | instskip(NEXT) | instid1(VALU_DEP_2)
	v_add_co_u32 v8, vcc_lo, v8, v10
	v_add_co_ci_u32_e32 v9, vcc_lo, v9, v14, vcc_lo
	s_delay_alu instid0(VALU_DEP_2) | instskip(SKIP_1) | instid1(VALU_DEP_3)
	v_mul_hi_u32 v10, s0, v8
	v_mul_lo_u32 v18, s26, v8
	v_mul_lo_u32 v14, s0, v9
	s_delay_alu instid0(VALU_DEP_1) | instskip(SKIP_1) | instid1(VALU_DEP_2)
	v_add_nc_u32_e32 v10, v10, v14
	v_mul_lo_u32 v14, s0, v8
	v_add_nc_u32_e32 v10, v10, v18
	s_delay_alu instid0(VALU_DEP_2) | instskip(NEXT) | instid1(VALU_DEP_2)
	v_mul_hi_u32 v18, v8, v14
	v_mul_lo_u32 v42, v8, v10
	v_mul_hi_u32 v43, v8, v10
	v_mul_hi_u32 v44, v9, v14
	v_mul_lo_u32 v14, v9, v14
	v_mul_hi_u32 v45, v9, v10
	v_mul_lo_u32 v10, v9, v10
	v_add_co_u32 v18, vcc_lo, v18, v42
	v_add_co_ci_u32_e32 v42, vcc_lo, 0, v43, vcc_lo
	s_delay_alu instid0(VALU_DEP_2) | instskip(NEXT) | instid1(VALU_DEP_2)
	v_add_co_u32 v14, vcc_lo, v18, v14
	v_add_co_ci_u32_e32 v14, vcc_lo, v42, v44, vcc_lo
	v_add_co_ci_u32_e32 v18, vcc_lo, 0, v45, vcc_lo
	s_delay_alu instid0(VALU_DEP_2) | instskip(NEXT) | instid1(VALU_DEP_2)
	v_add_co_u32 v10, vcc_lo, v14, v10
	v_add_co_ci_u32_e32 v14, vcc_lo, 0, v18, vcc_lo
	s_delay_alu instid0(VALU_DEP_2) | instskip(NEXT) | instid1(VALU_DEP_2)
	v_add_co_u32 v10, vcc_lo, v8, v10
	v_add_co_ci_u32_e32 v14, vcc_lo, v9, v14, vcc_lo
	s_delay_alu instid0(VALU_DEP_2) | instskip(SKIP_1) | instid1(VALU_DEP_3)
	v_mul_hi_u32 v18, v1, v10
	v_mad_u64_u32 v[42:43], null, v0, v10, 0
	v_mad_u64_u32 v[8:9], null, v1, v14, 0
	v_mad_u64_u32 v[44:45], null, v0, v14, 0
	s_delay_alu instid0(VALU_DEP_2) | instskip(NEXT) | instid1(VALU_DEP_3)
	v_add_co_u32 v8, vcc_lo, v18, v8
	v_add_co_ci_u32_e32 v9, vcc_lo, 0, v9, vcc_lo
	s_delay_alu instid0(VALU_DEP_2) | instskip(NEXT) | instid1(VALU_DEP_2)
	v_add_co_u32 v8, vcc_lo, v8, v42
	v_add_co_ci_u32_e32 v8, vcc_lo, v9, v43, vcc_lo
	v_add_co_ci_u32_e32 v9, vcc_lo, 0, v45, vcc_lo
	s_delay_alu instid0(VALU_DEP_2) | instskip(NEXT) | instid1(VALU_DEP_2)
	v_add_co_u32 v10, vcc_lo, v8, v44
	v_add_co_ci_u32_e32 v14, vcc_lo, 0, v9, vcc_lo
	s_delay_alu instid0(VALU_DEP_2) | instskip(SKIP_1) | instid1(VALU_DEP_3)
	v_mul_lo_u32 v18, s15, v10
	v_mad_u64_u32 v[8:9], null, s14, v10, 0
	v_mul_lo_u32 v10, s14, v14
	s_delay_alu instid0(VALU_DEP_2) | instskip(NEXT) | instid1(VALU_DEP_2)
	v_sub_co_u32 v8, vcc_lo, v1, v8
	v_add3_u32 v9, v9, v10, v18
	s_delay_alu instid0(VALU_DEP_1) | instskip(NEXT) | instid1(VALU_DEP_1)
	v_sub_nc_u32_e32 v10, v0, v9
	v_subrev_co_ci_u32_e64 v10, s0, s15, v10, vcc_lo
	v_sub_co_ci_u32_e32 v0, vcc_lo, v0, v9, vcc_lo
	v_sub_co_u32 v9, vcc_lo, v8, s14
	s_delay_alu instid0(VALU_DEP_1) | instskip(SKIP_3) | instid1(VALU_DEP_3)
	v_subrev_co_ci_u32_e64 v14, s0, 0, v10, vcc_lo
	v_cmp_le_u32_e64 s0, s14, v8
	v_subrev_co_ci_u32_e32 v10, vcc_lo, s15, v10, vcc_lo
	v_cmp_le_u32_e32 vcc_lo, s15, v0
	v_cndmask_b32_e64 v18, 0, -1, s0
	v_cmp_le_u32_e64 s0, s14, v9
	v_cndmask_b32_e64 v44, 0, -1, vcc_lo
	v_cmp_eq_u32_e32 vcc_lo, s15, v14
	s_delay_alu instid0(VALU_DEP_3) | instskip(SKIP_1) | instid1(VALU_DEP_1)
	v_cndmask_b32_e64 v42, 0, -1, s0
	v_cmp_le_u32_e64 s0, s15, v14
	v_cndmask_b32_e64 v43, 0, -1, s0
	v_cmp_eq_u32_e64 s0, s15, v0
	s_delay_alu instid0(VALU_DEP_2) | instskip(SKIP_2) | instid1(VALU_DEP_3)
	v_cndmask_b32_e32 v42, v43, v42, vcc_lo
	v_sub_co_u32 v43, vcc_lo, v9, s14
	v_subrev_co_ci_u32_e32 v10, vcc_lo, 0, v10, vcc_lo
	v_cmp_ne_u32_e32 vcc_lo, 0, v42
	v_cndmask_b32_e64 v18, v44, v18, s0
	s_delay_alu instid0(VALU_DEP_3) | instskip(SKIP_1) | instid1(VALU_DEP_3)
	v_cndmask_b32_e32 v10, v14, v10, vcc_lo
	v_cndmask_b32_e32 v14, v9, v43, vcc_lo
	v_cmp_ne_u32_e32 vcc_lo, 0, v18
	s_delay_alu instid0(VALU_DEP_3) | instskip(NEXT) | instid1(VALU_DEP_3)
	v_cndmask_b32_e32 v9, v0, v10, vcc_lo
	v_cndmask_b32_e32 v8, v8, v14, vcc_lo
.LBB37_35:                              ;   in Loop: Header=BB37_9 Depth=1
	s_and_not1_saveexec_b32 s0, s1
	s_cbranch_execz .LBB37_37
; %bb.36:                               ;   in Loop: Header=BB37_9 Depth=1
	v_cvt_f32_u32_e32 v0, s14
	s_sub_i32 s1, 0, s14
	v_mov_b32_e32 v9, v13
	s_delay_alu instid0(VALU_DEP_2) | instskip(SKIP_2) | instid1(VALU_DEP_1)
	v_rcp_iflag_f32_e32 v0, v0
	s_waitcnt_depctr 0xfff
	v_mul_f32_e32 v0, 0x4f7ffffe, v0
	v_cvt_u32_f32_e32 v0, v0
	s_delay_alu instid0(VALU_DEP_1) | instskip(NEXT) | instid1(VALU_DEP_1)
	v_mul_lo_u32 v8, s1, v0
	v_mul_hi_u32 v8, v0, v8
	s_delay_alu instid0(VALU_DEP_1) | instskip(NEXT) | instid1(VALU_DEP_1)
	v_add_nc_u32_e32 v0, v0, v8
	v_mul_hi_u32 v0, v1, v0
	s_delay_alu instid0(VALU_DEP_1) | instskip(NEXT) | instid1(VALU_DEP_1)
	v_mul_lo_u32 v0, v0, s14
	v_sub_nc_u32_e32 v0, v1, v0
	s_delay_alu instid0(VALU_DEP_1) | instskip(SKIP_1) | instid1(VALU_DEP_2)
	v_subrev_nc_u32_e32 v1, s14, v0
	v_cmp_le_u32_e32 vcc_lo, s14, v0
	v_cndmask_b32_e32 v0, v0, v1, vcc_lo
	s_delay_alu instid0(VALU_DEP_1) | instskip(SKIP_1) | instid1(VALU_DEP_2)
	v_subrev_nc_u32_e32 v1, s14, v0
	v_cmp_le_u32_e32 vcc_lo, s14, v0
	v_cndmask_b32_e32 v8, v0, v1, vcc_lo
.LBB37_37:                              ;   in Loop: Header=BB37_9 Depth=1
	s_or_b32 exec_lo, exec_lo, s0
	s_delay_alu instid0(VALU_DEP_1) | instskip(SKIP_1) | instid1(VALU_DEP_1)
	v_add_co_u32 v0, vcc_lo, v8, s20
	v_add_co_ci_u32_e32 v1, vcc_lo, s21, v9, vcc_lo
	v_xor_b32_e32 v8, v0, v1
	v_cls_i32_e32 v9, v1
	s_delay_alu instid0(VALU_DEP_2) | instskip(NEXT) | instid1(VALU_DEP_2)
	v_ashrrev_i32_e32 v8, 31, v8
	v_add_nc_u32_e32 v9, -1, v9
	s_delay_alu instid0(VALU_DEP_2) | instskip(NEXT) | instid1(VALU_DEP_1)
	v_add_nc_u32_e32 v8, 32, v8
	v_min_u32_e32 v8, v9, v8
	s_delay_alu instid0(VALU_DEP_1) | instskip(NEXT) | instid1(VALU_DEP_1)
	v_lshlrev_b64 v[0:1], v8, v[0:1]
	v_min_u32_e32 v0, 1, v0
	s_delay_alu instid0(VALU_DEP_1) | instskip(SKIP_1) | instid1(VALU_DEP_2)
	v_or_b32_e32 v0, v1, v0
	v_sub_nc_u32_e32 v1, 32, v8
	v_cvt_f32_i32_e32 v0, v0
	s_delay_alu instid0(VALU_DEP_1) | instskip(NEXT) | instid1(VALU_DEP_1)
	v_ldexp_f32 v0, v0, v1
	v_bfe_u32 v1, v0, 16, 1
	s_delay_alu instid0(VALU_DEP_1)
	v_add3_u32 v0, v0, v1, 0x7fff
	global_store_d16_hi_b16 v7, v0, s[12:13]
.LBB37_38:                              ;   in Loop: Header=BB37_9 Depth=1
	s_or_b32 exec_lo, exec_lo, s37
	v_add_co_u32 v0, vcc_lo, v15, s28
	v_add_co_ci_u32_e32 v1, vcc_lo, 0, v16, vcc_lo
	s_mov_b32 s37, exec_lo
	s_delay_alu instid0(VALU_DEP_1)
	v_cmpx_gt_i64_e64 s[16:17], v[0:1]
	s_cbranch_execz .LBB37_8
; %bb.39:                               ;   in Loop: Header=BB37_9 Depth=1
	s_and_not1_b32 vcc_lo, exec_lo, s11
	s_cbranch_vccnz .LBB37_45
; %bb.40:                               ;   in Loop: Header=BB37_9 Depth=1
	v_mov_b32_e32 v7, 0
	s_and_not1_b32 vcc_lo, exec_lo, s31
	s_cbranch_vccnz .LBB37_49
; %bb.41:                               ;   in Loop: Header=BB37_9 Depth=1
	s_and_not1_b32 vcc_lo, exec_lo, s34
	s_mov_b32 s0, 0
	s_cbranch_vccnz .LBB37_46
; %bb.42:                               ;   in Loop: Header=BB37_9 Depth=1
	v_mov_b32_e32 v7, 0
	v_mov_b32_e32 v1, v0
	s_mov_b32 s38, 0
	s_mov_b64 s[0:1], s[18:19]
	s_mov_b64 s[26:27], s[24:25]
.LBB37_43:                              ;   Parent Loop BB37_9 Depth=1
                                        ; =>  This Inner Loop Header: Depth=2
	s_clause 0x1
	s_load_b256 s[40:47], s[0:1], 0x4
	s_load_b128 s[48:51], s[0:1], 0x24
	s_load_b128 s[52:55], s[26:27], 0x0
	s_add_u32 s0, s0, 48
	s_addc_u32 s1, s1, 0
	s_add_i32 s38, s38, 4
	s_add_u32 s26, s26, 16
	s_addc_u32 s27, s27, 0
	s_cmp_eq_u32 s35, s38
	s_waitcnt lgkmcnt(0)
	v_mul_hi_u32 v8, s41, v1
	s_delay_alu instid0(VALU_DEP_1) | instskip(NEXT) | instid1(VALU_DEP_1)
	v_add_nc_u32_e32 v8, v1, v8
	v_lshrrev_b32_e32 v8, s42, v8
	s_delay_alu instid0(VALU_DEP_1) | instskip(SKIP_1) | instid1(VALU_DEP_2)
	v_mul_hi_u32 v9, s44, v8
	v_mul_lo_u32 v18, v8, s40
	v_add_nc_u32_e32 v9, v8, v9
	s_delay_alu instid0(VALU_DEP_2) | instskip(NEXT) | instid1(VALU_DEP_2)
	v_sub_nc_u32_e32 v18, v1, v18
	v_lshrrev_b32_e32 v9, s45, v9
	s_delay_alu instid0(VALU_DEP_2) | instskip(NEXT) | instid1(VALU_DEP_2)
	v_mul_lo_u32 v18, v18, s52
	v_mul_hi_u32 v10, s47, v9
	v_mul_lo_u32 v42, v9, s43
	s_delay_alu instid0(VALU_DEP_2) | instskip(NEXT) | instid1(VALU_DEP_2)
	v_add_nc_u32_e32 v10, v9, v10
	v_sub_nc_u32_e32 v8, v8, v42
	s_delay_alu instid0(VALU_DEP_2) | instskip(NEXT) | instid1(VALU_DEP_2)
	v_lshrrev_b32_e32 v10, s48, v10
	v_mul_lo_u32 v8, v8, s53
	s_delay_alu instid0(VALU_DEP_2) | instskip(NEXT) | instid1(VALU_DEP_2)
	v_mul_hi_u32 v14, s50, v10
	v_add3_u32 v7, v18, v7, v8
	s_delay_alu instid0(VALU_DEP_2) | instskip(NEXT) | instid1(VALU_DEP_1)
	v_add_nc_u32_e32 v14, v10, v14
	v_lshrrev_b32_e32 v1, s51, v14
	v_mul_lo_u32 v14, v10, s46
	s_delay_alu instid0(VALU_DEP_2) | instskip(NEXT) | instid1(VALU_DEP_2)
	v_mul_lo_u32 v43, v1, s49
	v_sub_nc_u32_e32 v9, v9, v14
	s_delay_alu instid0(VALU_DEP_2) | instskip(NEXT) | instid1(VALU_DEP_2)
	v_sub_nc_u32_e32 v10, v10, v43
	v_mul_lo_u32 v9, v9, s54
	s_delay_alu instid0(VALU_DEP_2) | instskip(NEXT) | instid1(VALU_DEP_1)
	v_mul_lo_u32 v10, v10, s55
	v_add3_u32 v7, v9, v7, v10
	s_cbranch_scc0 .LBB37_43
; %bb.44:                               ;   in Loop: Header=BB37_9 Depth=1
	s_mov_b32 s0, s35
	s_and_not1_b32 vcc_lo, exec_lo, s36
	s_cbranch_vccz .LBB37_47
	s_branch .LBB37_49
.LBB37_45:                              ;   in Loop: Header=BB37_9 Depth=1
                                        ; implicit-def: $vgpr7
	s_branch .LBB37_50
.LBB37_46:                              ;   in Loop: Header=BB37_9 Depth=1
	v_mov_b32_e32 v1, v0
	s_and_not1_b32 vcc_lo, exec_lo, s36
	s_cbranch_vccnz .LBB37_49
.LBB37_47:                              ;   in Loop: Header=BB37_9 Depth=1
	s_lshl_b32 s1, s0, 2
	s_mul_i32 s26, s0, 12
	s_add_u32 s0, s24, s1
	s_addc_u32 s1, s25, 0
	s_add_u32 s26, s18, s26
	s_addc_u32 s27, s19, 0
	s_mov_b32 s38, s33
	.p2align	6
.LBB37_48:                              ;   Parent Loop BB37_9 Depth=1
                                        ; =>  This Inner Loop Header: Depth=2
	s_clause 0x1
	s_load_b64 s[40:41], s[26:27], 0x4
	s_load_b32 s39, s[26:27], 0xc
	s_add_u32 s26, s26, 12
	s_addc_u32 s27, s27, 0
	s_waitcnt lgkmcnt(0)
	v_mul_hi_u32 v8, s41, v1
	s_load_b32 s41, s[0:1], 0x0
	s_add_u32 s0, s0, 4
	s_addc_u32 s1, s1, 0
	s_add_i32 s38, s38, -1
	s_delay_alu instid0(SALU_CYCLE_1) | instskip(NEXT) | instid1(VALU_DEP_1)
	s_cmp_lg_u32 s38, 0
	v_add_nc_u32_e32 v8, v1, v8
	s_delay_alu instid0(VALU_DEP_1) | instskip(NEXT) | instid1(VALU_DEP_1)
	v_lshrrev_b32_e32 v10, s39, v8
	v_mul_lo_u32 v8, v10, s40
	s_delay_alu instid0(VALU_DEP_1) | instskip(SKIP_1) | instid1(VALU_DEP_1)
	v_sub_nc_u32_e32 v1, v1, v8
	s_waitcnt lgkmcnt(0)
	v_mad_u64_u32 v[8:9], null, v1, s41, v[7:8]
	v_mov_b32_e32 v1, v10
	s_delay_alu instid0(VALU_DEP_2)
	v_mov_b32_e32 v7, v8
	s_cbranch_scc1 .LBB37_48
.LBB37_49:                              ;   in Loop: Header=BB37_9 Depth=1
	s_cbranch_execnz .LBB37_52
.LBB37_50:                              ;   in Loop: Header=BB37_9 Depth=1
	v_mul_hi_u32 v1, v0, s6
	s_and_not1_b32 vcc_lo, exec_lo, s4
	s_delay_alu instid0(VALU_DEP_1) | instskip(NEXT) | instid1(VALU_DEP_1)
	v_add_nc_u32_e32 v1, v1, v0
	v_lshrrev_b32_e32 v1, s7, v1
	s_delay_alu instid0(VALU_DEP_1) | instskip(NEXT) | instid1(VALU_DEP_1)
	v_mul_lo_u32 v7, v1, s5
	v_sub_nc_u32_e32 v0, v0, v7
	s_delay_alu instid0(VALU_DEP_1)
	v_mul_lo_u32 v7, v0, s22
	s_cbranch_vccnz .LBB37_52
; %bb.51:                               ;   in Loop: Header=BB37_9 Depth=1
	v_mul_hi_u32 v0, s9, v1
	s_delay_alu instid0(VALU_DEP_1) | instskip(NEXT) | instid1(VALU_DEP_1)
	v_add_nc_u32_e32 v0, v1, v0
	v_lshrrev_b32_e32 v0, s10, v0
	s_delay_alu instid0(VALU_DEP_1) | instskip(NEXT) | instid1(VALU_DEP_1)
	v_mul_lo_u32 v0, v0, s8
	v_sub_nc_u32_e32 v8, v1, v0
	s_delay_alu instid0(VALU_DEP_1) | instskip(NEXT) | instid1(VALU_DEP_1)
	v_mad_u64_u32 v[0:1], null, v8, s23, v[7:8]
	v_mov_b32_e32 v7, v0
.LBB37_52:                              ;   in Loop: Header=BB37_9 Depth=1
	v_or_b32_e32 v14, s15, v2
                                        ; implicit-def: $vgpr8_vgpr9
	s_mov_b32 s0, exec_lo
	s_delay_alu instid0(VALU_DEP_1)
	v_cmpx_ne_u64_e32 0, v[13:14]
	s_xor_b32 s1, exec_lo, s0
	s_cbranch_execz .LBB37_54
; %bb.53:                               ;   in Loop: Header=BB37_9 Depth=1
	v_cvt_f32_u32_e32 v0, s14
	v_cvt_f32_u32_e32 v1, s15
	s_sub_u32 s0, 0, s14
	s_subb_u32 s26, 0, s15
	s_delay_alu instid0(VALU_DEP_1) | instskip(NEXT) | instid1(VALU_DEP_1)
	v_fmac_f32_e32 v0, 0x4f800000, v1
	v_rcp_f32_e32 v0, v0
	s_waitcnt_depctr 0xfff
	v_mul_f32_e32 v0, 0x5f7ffffc, v0
	s_delay_alu instid0(VALU_DEP_1) | instskip(NEXT) | instid1(VALU_DEP_1)
	v_mul_f32_e32 v1, 0x2f800000, v0
	v_trunc_f32_e32 v1, v1
	s_delay_alu instid0(VALU_DEP_1) | instskip(SKIP_1) | instid1(VALU_DEP_2)
	v_fmac_f32_e32 v0, 0xcf800000, v1
	v_cvt_u32_f32_e32 v1, v1
	v_cvt_u32_f32_e32 v0, v0
	s_delay_alu instid0(VALU_DEP_2) | instskip(NEXT) | instid1(VALU_DEP_2)
	v_mul_lo_u32 v8, s0, v1
	v_mul_hi_u32 v9, s0, v0
	v_mul_lo_u32 v10, s26, v0
	s_delay_alu instid0(VALU_DEP_2) | instskip(SKIP_1) | instid1(VALU_DEP_2)
	v_add_nc_u32_e32 v8, v9, v8
	v_mul_lo_u32 v9, s0, v0
	v_add_nc_u32_e32 v8, v8, v10
	s_delay_alu instid0(VALU_DEP_2) | instskip(NEXT) | instid1(VALU_DEP_2)
	v_mul_hi_u32 v10, v0, v9
	v_mul_lo_u32 v14, v0, v8
	v_mul_hi_u32 v18, v0, v8
	v_mul_hi_u32 v42, v1, v9
	v_mul_lo_u32 v9, v1, v9
	v_mul_hi_u32 v43, v1, v8
	v_mul_lo_u32 v8, v1, v8
	v_add_co_u32 v10, vcc_lo, v10, v14
	v_add_co_ci_u32_e32 v14, vcc_lo, 0, v18, vcc_lo
	s_delay_alu instid0(VALU_DEP_2) | instskip(NEXT) | instid1(VALU_DEP_2)
	v_add_co_u32 v9, vcc_lo, v10, v9
	v_add_co_ci_u32_e32 v9, vcc_lo, v14, v42, vcc_lo
	v_add_co_ci_u32_e32 v10, vcc_lo, 0, v43, vcc_lo
	s_delay_alu instid0(VALU_DEP_2) | instskip(NEXT) | instid1(VALU_DEP_2)
	v_add_co_u32 v8, vcc_lo, v9, v8
	v_add_co_ci_u32_e32 v9, vcc_lo, 0, v10, vcc_lo
	s_delay_alu instid0(VALU_DEP_2) | instskip(NEXT) | instid1(VALU_DEP_2)
	v_add_co_u32 v0, vcc_lo, v0, v8
	v_add_co_ci_u32_e32 v1, vcc_lo, v1, v9, vcc_lo
	s_delay_alu instid0(VALU_DEP_2) | instskip(SKIP_1) | instid1(VALU_DEP_3)
	v_mul_hi_u32 v8, s0, v0
	v_mul_lo_u32 v10, s26, v0
	v_mul_lo_u32 v9, s0, v1
	s_delay_alu instid0(VALU_DEP_1) | instskip(SKIP_1) | instid1(VALU_DEP_2)
	v_add_nc_u32_e32 v8, v8, v9
	v_mul_lo_u32 v9, s0, v0
	v_add_nc_u32_e32 v8, v8, v10
	s_delay_alu instid0(VALU_DEP_2) | instskip(NEXT) | instid1(VALU_DEP_2)
	v_mul_hi_u32 v10, v0, v9
	v_mul_lo_u32 v14, v0, v8
	v_mul_hi_u32 v18, v0, v8
	v_mul_hi_u32 v42, v1, v9
	v_mul_lo_u32 v9, v1, v9
	v_mul_hi_u32 v43, v1, v8
	v_mul_lo_u32 v8, v1, v8
	v_add_co_u32 v10, vcc_lo, v10, v14
	v_add_co_ci_u32_e32 v14, vcc_lo, 0, v18, vcc_lo
	s_delay_alu instid0(VALU_DEP_2) | instskip(NEXT) | instid1(VALU_DEP_2)
	v_add_co_u32 v9, vcc_lo, v10, v9
	v_add_co_ci_u32_e32 v9, vcc_lo, v14, v42, vcc_lo
	v_add_co_ci_u32_e32 v10, vcc_lo, 0, v43, vcc_lo
	s_delay_alu instid0(VALU_DEP_2) | instskip(NEXT) | instid1(VALU_DEP_2)
	v_add_co_u32 v8, vcc_lo, v9, v8
	v_add_co_ci_u32_e32 v9, vcc_lo, 0, v10, vcc_lo
	s_delay_alu instid0(VALU_DEP_2) | instskip(NEXT) | instid1(VALU_DEP_2)
	v_add_co_u32 v10, vcc_lo, v0, v8
	v_add_co_ci_u32_e32 v14, vcc_lo, v1, v9, vcc_lo
	s_delay_alu instid0(VALU_DEP_2) | instskip(SKIP_1) | instid1(VALU_DEP_3)
	v_mul_hi_u32 v18, v3, v10
	v_mad_u64_u32 v[8:9], null, v2, v10, 0
	v_mad_u64_u32 v[0:1], null, v3, v14, 0
	;; [unrolled: 1-line block ×3, first 2 shown]
	s_delay_alu instid0(VALU_DEP_2) | instskip(NEXT) | instid1(VALU_DEP_3)
	v_add_co_u32 v0, vcc_lo, v18, v0
	v_add_co_ci_u32_e32 v1, vcc_lo, 0, v1, vcc_lo
	s_delay_alu instid0(VALU_DEP_2) | instskip(NEXT) | instid1(VALU_DEP_2)
	v_add_co_u32 v0, vcc_lo, v0, v8
	v_add_co_ci_u32_e32 v0, vcc_lo, v1, v9, vcc_lo
	v_add_co_ci_u32_e32 v1, vcc_lo, 0, v43, vcc_lo
	s_delay_alu instid0(VALU_DEP_2) | instskip(NEXT) | instid1(VALU_DEP_2)
	v_add_co_u32 v8, vcc_lo, v0, v42
	v_add_co_ci_u32_e32 v9, vcc_lo, 0, v1, vcc_lo
	s_delay_alu instid0(VALU_DEP_2) | instskip(SKIP_1) | instid1(VALU_DEP_3)
	v_mul_lo_u32 v10, s15, v8
	v_mad_u64_u32 v[0:1], null, s14, v8, 0
	v_mul_lo_u32 v8, s14, v9
	s_delay_alu instid0(VALU_DEP_2) | instskip(NEXT) | instid1(VALU_DEP_2)
	v_sub_co_u32 v0, vcc_lo, v3, v0
	v_add3_u32 v1, v1, v8, v10
	s_delay_alu instid0(VALU_DEP_1) | instskip(NEXT) | instid1(VALU_DEP_1)
	v_sub_nc_u32_e32 v8, v2, v1
	v_subrev_co_ci_u32_e64 v3, s0, s15, v8, vcc_lo
	v_sub_co_ci_u32_e32 v1, vcc_lo, v2, v1, vcc_lo
	v_sub_co_u32 v2, vcc_lo, v0, s14
	s_delay_alu instid0(VALU_DEP_1) | instskip(SKIP_3) | instid1(VALU_DEP_3)
	v_subrev_co_ci_u32_e64 v8, s0, 0, v3, vcc_lo
	v_cmp_le_u32_e64 s0, s14, v0
	v_subrev_co_ci_u32_e32 v3, vcc_lo, s15, v3, vcc_lo
	v_cmp_le_u32_e32 vcc_lo, s15, v1
	v_cndmask_b32_e64 v9, 0, -1, s0
	v_cmp_le_u32_e64 s0, s14, v2
	v_cndmask_b32_e64 v18, 0, -1, vcc_lo
	v_cmp_eq_u32_e32 vcc_lo, s15, v8
	s_delay_alu instid0(VALU_DEP_3) | instskip(SKIP_1) | instid1(VALU_DEP_1)
	v_cndmask_b32_e64 v10, 0, -1, s0
	v_cmp_le_u32_e64 s0, s15, v8
	v_cndmask_b32_e64 v14, 0, -1, s0
	v_cmp_eq_u32_e64 s0, s15, v1
	s_delay_alu instid0(VALU_DEP_2) | instskip(SKIP_2) | instid1(VALU_DEP_3)
	v_cndmask_b32_e32 v10, v14, v10, vcc_lo
	v_sub_co_u32 v14, vcc_lo, v2, s14
	v_subrev_co_ci_u32_e32 v3, vcc_lo, 0, v3, vcc_lo
	v_cmp_ne_u32_e32 vcc_lo, 0, v10
	v_cndmask_b32_e64 v9, v18, v9, s0
	s_delay_alu instid0(VALU_DEP_3) | instskip(NEXT) | instid1(VALU_DEP_2)
	v_dual_cndmask_b32 v3, v8, v3 :: v_dual_cndmask_b32 v2, v2, v14
	v_cmp_ne_u32_e32 vcc_lo, 0, v9
	s_delay_alu instid0(VALU_DEP_2)
	v_dual_cndmask_b32 v9, v1, v3 :: v_dual_cndmask_b32 v8, v0, v2
                                        ; implicit-def: $vgpr0_vgpr1_vgpr2_vgpr3
.LBB37_54:                              ;   in Loop: Header=BB37_9 Depth=1
	s_and_not1_saveexec_b32 s0, s1
	s_cbranch_execz .LBB37_7
; %bb.55:                               ;   in Loop: Header=BB37_9 Depth=1
	v_cvt_f32_u32_e32 v0, s14
	s_sub_i32 s1, 0, s14
	v_mov_b32_e32 v9, v13
	s_delay_alu instid0(VALU_DEP_2) | instskip(SKIP_2) | instid1(VALU_DEP_1)
	v_rcp_iflag_f32_e32 v0, v0
	s_waitcnt_depctr 0xfff
	v_mul_f32_e32 v0, 0x4f7ffffe, v0
	v_cvt_u32_f32_e32 v0, v0
	s_delay_alu instid0(VALU_DEP_1) | instskip(NEXT) | instid1(VALU_DEP_1)
	v_mul_lo_u32 v1, s1, v0
	v_mul_hi_u32 v1, v0, v1
	s_delay_alu instid0(VALU_DEP_1) | instskip(NEXT) | instid1(VALU_DEP_1)
	v_add_nc_u32_e32 v0, v0, v1
	v_mul_hi_u32 v0, v3, v0
	s_delay_alu instid0(VALU_DEP_1) | instskip(NEXT) | instid1(VALU_DEP_1)
	v_mul_lo_u32 v0, v0, s14
	v_sub_nc_u32_e32 v0, v3, v0
	s_delay_alu instid0(VALU_DEP_1) | instskip(SKIP_1) | instid1(VALU_DEP_2)
	v_subrev_nc_u32_e32 v1, s14, v0
	v_cmp_le_u32_e32 vcc_lo, s14, v0
	v_cndmask_b32_e32 v0, v0, v1, vcc_lo
	s_delay_alu instid0(VALU_DEP_1) | instskip(SKIP_1) | instid1(VALU_DEP_2)
	v_subrev_nc_u32_e32 v1, s14, v0
	v_cmp_le_u32_e32 vcc_lo, s14, v0
	v_cndmask_b32_e32 v8, v0, v1, vcc_lo
	s_branch .LBB37_7
.LBB37_56:
	s_endpgm
.LBB37_57:
                                        ; implicit-def: $sgpr2_sgpr3
	s_branch .LBB37_4
	.section	.rodata,"a",@progbits
	.p2align	6, 0x0
	.amdhsa_kernel _ZN2at6native12_GLOBAL__N_143distribution_elementwise_grid_stride_kernelImLi2EZZZNS0_9templates4cuda21random_from_to_kernelIPNS_17CUDAGeneratorImplEEEvRNS_18TensorIteratorBaseEmlT_ENKUlvE_clEvENKUlvE8_clEvEUlP25hiprandStatePhilox4_32_10E_ZNS1_27distribution_nullary_kernelIN3c108BFloat16Em15HIP_vector_typeIyLj2EES7_SF_ZZZNS5_IS7_EEvS9_mlSA_ENKSB_clEvENKSC_clEvEUlmE_EEvS9_T2_RKT3_T4_EUlimE0_EEvlNS_15PhiloxCudaStateET1_SM_
		.amdhsa_group_segment_fixed_size 0
		.amdhsa_private_segment_fixed_size 0
		.amdhsa_kernarg_size 592
		.amdhsa_user_sgpr_count 15
		.amdhsa_user_sgpr_dispatch_ptr 0
		.amdhsa_user_sgpr_queue_ptr 0
		.amdhsa_user_sgpr_kernarg_segment_ptr 1
		.amdhsa_user_sgpr_dispatch_id 0
		.amdhsa_user_sgpr_private_segment_size 0
		.amdhsa_wavefront_size32 1
		.amdhsa_uses_dynamic_stack 0
		.amdhsa_enable_private_segment 0
		.amdhsa_system_sgpr_workgroup_id_x 1
		.amdhsa_system_sgpr_workgroup_id_y 0
		.amdhsa_system_sgpr_workgroup_id_z 0
		.amdhsa_system_sgpr_workgroup_info 0
		.amdhsa_system_vgpr_workitem_id 0
		.amdhsa_next_free_vgpr 46
		.amdhsa_next_free_sgpr 56
		.amdhsa_reserve_vcc 1
		.amdhsa_float_round_mode_32 0
		.amdhsa_float_round_mode_16_64 0
		.amdhsa_float_denorm_mode_32 3
		.amdhsa_float_denorm_mode_16_64 3
		.amdhsa_dx10_clamp 1
		.amdhsa_ieee_mode 1
		.amdhsa_fp16_overflow 0
		.amdhsa_workgroup_processor_mode 1
		.amdhsa_memory_ordered 1
		.amdhsa_forward_progress 0
		.amdhsa_shared_vgpr_count 0
		.amdhsa_exception_fp_ieee_invalid_op 0
		.amdhsa_exception_fp_denorm_src 0
		.amdhsa_exception_fp_ieee_div_zero 0
		.amdhsa_exception_fp_ieee_overflow 0
		.amdhsa_exception_fp_ieee_underflow 0
		.amdhsa_exception_fp_ieee_inexact 0
		.amdhsa_exception_int_div_zero 0
	.end_amdhsa_kernel
	.section	.text._ZN2at6native12_GLOBAL__N_143distribution_elementwise_grid_stride_kernelImLi2EZZZNS0_9templates4cuda21random_from_to_kernelIPNS_17CUDAGeneratorImplEEEvRNS_18TensorIteratorBaseEmlT_ENKUlvE_clEvENKUlvE8_clEvEUlP25hiprandStatePhilox4_32_10E_ZNS1_27distribution_nullary_kernelIN3c108BFloat16Em15HIP_vector_typeIyLj2EES7_SF_ZZZNS5_IS7_EEvS9_mlSA_ENKSB_clEvENKSC_clEvEUlmE_EEvS9_T2_RKT3_T4_EUlimE0_EEvlNS_15PhiloxCudaStateET1_SM_,"axG",@progbits,_ZN2at6native12_GLOBAL__N_143distribution_elementwise_grid_stride_kernelImLi2EZZZNS0_9templates4cuda21random_from_to_kernelIPNS_17CUDAGeneratorImplEEEvRNS_18TensorIteratorBaseEmlT_ENKUlvE_clEvENKUlvE8_clEvEUlP25hiprandStatePhilox4_32_10E_ZNS1_27distribution_nullary_kernelIN3c108BFloat16Em15HIP_vector_typeIyLj2EES7_SF_ZZZNS5_IS7_EEvS9_mlSA_ENKSB_clEvENKSC_clEvEUlmE_EEvS9_T2_RKT3_T4_EUlimE0_EEvlNS_15PhiloxCudaStateET1_SM_,comdat
.Lfunc_end37:
	.size	_ZN2at6native12_GLOBAL__N_143distribution_elementwise_grid_stride_kernelImLi2EZZZNS0_9templates4cuda21random_from_to_kernelIPNS_17CUDAGeneratorImplEEEvRNS_18TensorIteratorBaseEmlT_ENKUlvE_clEvENKUlvE8_clEvEUlP25hiprandStatePhilox4_32_10E_ZNS1_27distribution_nullary_kernelIN3c108BFloat16Em15HIP_vector_typeIyLj2EES7_SF_ZZZNS5_IS7_EEvS9_mlSA_ENKSB_clEvENKSC_clEvEUlmE_EEvS9_T2_RKT3_T4_EUlimE0_EEvlNS_15PhiloxCudaStateET1_SM_, .Lfunc_end37-_ZN2at6native12_GLOBAL__N_143distribution_elementwise_grid_stride_kernelImLi2EZZZNS0_9templates4cuda21random_from_to_kernelIPNS_17CUDAGeneratorImplEEEvRNS_18TensorIteratorBaseEmlT_ENKUlvE_clEvENKUlvE8_clEvEUlP25hiprandStatePhilox4_32_10E_ZNS1_27distribution_nullary_kernelIN3c108BFloat16Em15HIP_vector_typeIyLj2EES7_SF_ZZZNS5_IS7_EEvS9_mlSA_ENKSB_clEvENKSC_clEvEUlmE_EEvS9_T2_RKT3_T4_EUlimE0_EEvlNS_15PhiloxCudaStateET1_SM_
                                        ; -- End function
	.section	.AMDGPU.csdata,"",@progbits
; Kernel info:
; codeLenInByte = 5848
; NumSgprs: 58
; NumVgprs: 46
; ScratchSize: 0
; MemoryBound: 0
; FloatMode: 240
; IeeeMode: 1
; LDSByteSize: 0 bytes/workgroup (compile time only)
; SGPRBlocks: 7
; VGPRBlocks: 5
; NumSGPRsForWavesPerEU: 58
; NumVGPRsForWavesPerEU: 46
; Occupancy: 16
; WaveLimiterHint : 1
; COMPUTE_PGM_RSRC2:SCRATCH_EN: 0
; COMPUTE_PGM_RSRC2:USER_SGPR: 15
; COMPUTE_PGM_RSRC2:TRAP_HANDLER: 0
; COMPUTE_PGM_RSRC2:TGID_X_EN: 1
; COMPUTE_PGM_RSRC2:TGID_Y_EN: 0
; COMPUTE_PGM_RSRC2:TGID_Z_EN: 0
; COMPUTE_PGM_RSRC2:TIDIG_COMP_CNT: 0
	.section	.text._ZN2at6native12_GLOBAL__N_143distribution_elementwise_grid_stride_kernelIjLi4EZZZNS0_9templates4cuda21random_from_to_kernelIPNS_17CUDAGeneratorImplEEEvRNS_18TensorIteratorBaseEmlT_ENKUlvE_clEvENKUlvE8_clEvEUlP25hiprandStatePhilox4_32_10E0_ZNS1_27distribution_nullary_kernelIN3c108BFloat16Ej15HIP_vector_typeIjLj4EES7_SF_ZZZNS5_IS7_EEvS9_mlSA_ENKSB_clEvENKSC_clEvEUljE_EEvS9_T2_RKT3_T4_EUlijE_EEvlNS_15PhiloxCudaStateET1_SM_,"axG",@progbits,_ZN2at6native12_GLOBAL__N_143distribution_elementwise_grid_stride_kernelIjLi4EZZZNS0_9templates4cuda21random_from_to_kernelIPNS_17CUDAGeneratorImplEEEvRNS_18TensorIteratorBaseEmlT_ENKUlvE_clEvENKUlvE8_clEvEUlP25hiprandStatePhilox4_32_10E0_ZNS1_27distribution_nullary_kernelIN3c108BFloat16Ej15HIP_vector_typeIjLj4EES7_SF_ZZZNS5_IS7_EEvS9_mlSA_ENKSB_clEvENKSC_clEvEUljE_EEvS9_T2_RKT3_T4_EUlijE_EEvlNS_15PhiloxCudaStateET1_SM_,comdat
	.globl	_ZN2at6native12_GLOBAL__N_143distribution_elementwise_grid_stride_kernelIjLi4EZZZNS0_9templates4cuda21random_from_to_kernelIPNS_17CUDAGeneratorImplEEEvRNS_18TensorIteratorBaseEmlT_ENKUlvE_clEvENKUlvE8_clEvEUlP25hiprandStatePhilox4_32_10E0_ZNS1_27distribution_nullary_kernelIN3c108BFloat16Ej15HIP_vector_typeIjLj4EES7_SF_ZZZNS5_IS7_EEvS9_mlSA_ENKSB_clEvENKSC_clEvEUljE_EEvS9_T2_RKT3_T4_EUlijE_EEvlNS_15PhiloxCudaStateET1_SM_ ; -- Begin function _ZN2at6native12_GLOBAL__N_143distribution_elementwise_grid_stride_kernelIjLi4EZZZNS0_9templates4cuda21random_from_to_kernelIPNS_17CUDAGeneratorImplEEEvRNS_18TensorIteratorBaseEmlT_ENKUlvE_clEvENKUlvE8_clEvEUlP25hiprandStatePhilox4_32_10E0_ZNS1_27distribution_nullary_kernelIN3c108BFloat16Ej15HIP_vector_typeIjLj4EES7_SF_ZZZNS5_IS7_EEvS9_mlSA_ENKSB_clEvENKSC_clEvEUljE_EEvS9_T2_RKT3_T4_EUlijE_EEvlNS_15PhiloxCudaStateET1_SM_
	.p2align	8
	.type	_ZN2at6native12_GLOBAL__N_143distribution_elementwise_grid_stride_kernelIjLi4EZZZNS0_9templates4cuda21random_from_to_kernelIPNS_17CUDAGeneratorImplEEEvRNS_18TensorIteratorBaseEmlT_ENKUlvE_clEvENKUlvE8_clEvEUlP25hiprandStatePhilox4_32_10E0_ZNS1_27distribution_nullary_kernelIN3c108BFloat16Ej15HIP_vector_typeIjLj4EES7_SF_ZZZNS5_IS7_EEvS9_mlSA_ENKSB_clEvENKSC_clEvEUljE_EEvS9_T2_RKT3_T4_EUlijE_EEvlNS_15PhiloxCudaStateET1_SM_,@function
_ZN2at6native12_GLOBAL__N_143distribution_elementwise_grid_stride_kernelIjLi4EZZZNS0_9templates4cuda21random_from_to_kernelIPNS_17CUDAGeneratorImplEEEvRNS_18TensorIteratorBaseEmlT_ENKUlvE_clEvENKUlvE8_clEvEUlP25hiprandStatePhilox4_32_10E0_ZNS1_27distribution_nullary_kernelIN3c108BFloat16Ej15HIP_vector_typeIjLj4EES7_SF_ZZZNS5_IS7_EEvS9_mlSA_ENKSB_clEvENKSC_clEvEUljE_EEvS9_T2_RKT3_T4_EUlijE_EEvlNS_15PhiloxCudaStateET1_SM_: ; @_ZN2at6native12_GLOBAL__N_143distribution_elementwise_grid_stride_kernelIjLi4EZZZNS0_9templates4cuda21random_from_to_kernelIPNS_17CUDAGeneratorImplEEEvRNS_18TensorIteratorBaseEmlT_ENKUlvE_clEvENKUlvE8_clEvEUlP25hiprandStatePhilox4_32_10E0_ZNS1_27distribution_nullary_kernelIN3c108BFloat16Ej15HIP_vector_typeIjLj4EES7_SF_ZZZNS5_IS7_EEvS9_mlSA_ENKSB_clEvENKSC_clEvEUljE_EEvS9_T2_RKT3_T4_EUlijE_EEvlNS_15PhiloxCudaStateET1_SM_
; %bb.0:
	s_clause 0x2
	s_load_b64 s[8:9], s[0:1], 0x10
	s_load_b128 s[4:7], s[0:1], 0x0
	s_load_b32 s2, s[0:1], 0x20
	s_waitcnt lgkmcnt(0)
	v_dual_mov_b32 v2, s8 :: v_dual_mov_b32 v3, s9
	v_dual_mov_b32 v11, s7 :: v_dual_mov_b32 v10, s6
	s_bitcmp0_b32 s2, 0
	s_mov_b32 s2, 0
	s_cbranch_scc1 .LBB38_2
; %bb.1:
	v_dual_mov_b32 v1, s8 :: v_dual_mov_b32 v2, s9
	v_dual_mov_b32 v4, s6 :: v_dual_mov_b32 v5, s7
	s_load_b64 s[6:7], s[0:1], 0x18
	flat_load_b64 v[2:3], v[1:2]
	flat_load_b64 v[10:11], v[4:5]
	s_waitcnt vmcnt(1) lgkmcnt(0)
	v_add_co_u32 v2, vcc_lo, v2, s6
	v_add_co_ci_u32_e32 v3, vcc_lo, s7, v3, vcc_lo
.LBB38_2:
	s_clause 0x1
	s_load_b32 s3, s[0:1], 0x5c
	s_load_b32 s16, s[0:1], 0x50
	s_waitcnt lgkmcnt(0)
	s_and_b32 s14, s3, 0xffff
	s_add_u32 s6, s4, -1
	s_mul_i32 s10, s16, s14
	s_addc_u32 s3, s5, -1
	s_lshl_b32 s11, s10, 2
	s_cmp_lg_u64 s[2:3], 0
	s_cbranch_scc0 .LBB38_35
; %bb.3:
	v_cvt_f32_ubyte0_e32 v1, 0
	v_cvt_f32_u32_e32 v4, s11
	s_sub_u32 s8, 0, s11
	s_subb_u32 s9, 0, 0
	s_delay_alu instid0(VALU_DEP_1) | instskip(NEXT) | instid1(VALU_DEP_1)
	v_fmamk_f32 v1, v1, 0x4f800000, v4
	v_rcp_f32_e32 v1, v1
	s_waitcnt_depctr 0xfff
	v_mul_f32_e32 v1, 0x5f7ffffc, v1
	s_delay_alu instid0(VALU_DEP_1) | instskip(NEXT) | instid1(VALU_DEP_1)
	v_mul_f32_e32 v4, 0x2f800000, v1
	v_trunc_f32_e32 v4, v4
	s_delay_alu instid0(VALU_DEP_1) | instskip(SKIP_1) | instid1(VALU_DEP_2)
	v_fmamk_f32 v1, v4, 0xcf800000, v1
	v_cvt_u32_f32_e32 v4, v4
	v_cvt_u32_f32_e32 v1, v1
	s_delay_alu instid0(VALU_DEP_2) | instskip(NEXT) | instid1(VALU_DEP_2)
	v_readfirstlane_b32 s2, v4
	v_readfirstlane_b32 s7, v1
	s_delay_alu instid0(VALU_DEP_2) | instskip(NEXT) | instid1(VALU_DEP_1)
	s_mul_i32 s12, s8, s2
	s_mul_hi_u32 s17, s8, s7
	s_mul_i32 s13, s9, s7
	s_add_i32 s12, s17, s12
	s_mul_i32 s18, s8, s7
	s_add_i32 s12, s12, s13
	s_mul_hi_u32 s17, s7, s18
	s_mul_hi_u32 s19, s2, s18
	s_mul_i32 s13, s2, s18
	s_mul_hi_u32 s18, s7, s12
	s_mul_i32 s7, s7, s12
	s_mul_hi_u32 s20, s2, s12
	s_add_u32 s7, s17, s7
	s_addc_u32 s17, 0, s18
	s_add_u32 s7, s7, s13
	s_mul_i32 s12, s2, s12
	s_addc_u32 s7, s17, s19
	s_addc_u32 s13, s20, 0
	s_add_u32 s7, s7, s12
	s_addc_u32 s12, 0, s13
	v_add_co_u32 v1, s7, v1, s7
	s_delay_alu instid0(VALU_DEP_1) | instskip(SKIP_1) | instid1(VALU_DEP_1)
	s_cmp_lg_u32 s7, 0
	s_addc_u32 s2, s2, s12
	v_readfirstlane_b32 s7, v1
	s_mul_i32 s12, s8, s2
	s_delay_alu instid0(VALU_DEP_1)
	s_mul_hi_u32 s13, s8, s7
	s_mul_i32 s9, s9, s7
	s_add_i32 s12, s13, s12
	s_mul_i32 s8, s8, s7
	s_add_i32 s12, s12, s9
	s_mul_hi_u32 s13, s2, s8
	s_mul_i32 s17, s2, s8
	s_mul_hi_u32 s8, s7, s8
	s_mul_hi_u32 s18, s7, s12
	s_mul_i32 s7, s7, s12
	s_mul_hi_u32 s9, s2, s12
	s_add_u32 s7, s8, s7
	s_addc_u32 s8, 0, s18
	s_add_u32 s7, s7, s17
	s_mul_i32 s12, s2, s12
	s_addc_u32 s7, s8, s13
	s_addc_u32 s8, s9, 0
	s_add_u32 s7, s7, s12
	s_addc_u32 s8, 0, s8
	v_add_co_u32 v1, s7, v1, s7
	s_delay_alu instid0(VALU_DEP_1) | instskip(SKIP_2) | instid1(VALU_DEP_1)
	s_cmp_lg_u32 s7, 0
	s_addc_u32 s7, s2, s8
	s_ashr_i32 s8, s3, 31
	v_readfirstlane_b32 s12, v1
	s_add_u32 s2, s6, s8
	s_mov_b32 s9, s8
	s_addc_u32 s3, s3, s8
	s_delay_alu instid0(SALU_CYCLE_1) | instskip(NEXT) | instid1(SALU_CYCLE_1)
	s_xor_b64 s[2:3], s[2:3], s[8:9]
	s_mul_i32 s17, s2, s7
	s_mul_hi_u32 s18, s2, s12
	s_mul_hi_u32 s13, s2, s7
	;; [unrolled: 1-line block ×3, first 2 shown]
	s_mul_i32 s12, s3, s12
	s_add_u32 s17, s18, s17
	s_addc_u32 s13, 0, s13
	s_mul_hi_u32 s19, s3, s7
	s_add_u32 s12, s17, s12
	s_mul_i32 s7, s3, s7
	s_addc_u32 s12, s13, s20
	s_addc_u32 s13, s19, 0
	s_add_u32 s7, s12, s7
	s_addc_u32 s12, 0, s13
	s_mul_i32 s17, s11, s7
	s_add_u32 s13, s7, 1
	v_sub_co_u32 v1, s2, s2, s17
	s_mul_hi_u32 s17, s11, s7
	s_addc_u32 s18, s12, 0
	s_mul_i32 s19, s11, s12
	s_delay_alu instid0(VALU_DEP_1)
	v_sub_co_u32 v4, s20, v1, s11
	s_add_u32 s21, s7, 2
	s_addc_u32 s22, s12, 0
	s_add_i32 s17, s17, s19
	s_cmp_lg_u32 s2, 0
	v_readfirstlane_b32 s2, v4
	s_subb_u32 s3, s3, s17
	s_cmp_lg_u32 s20, 0
	s_subb_u32 s17, s3, 0
	s_delay_alu instid0(VALU_DEP_1) | instskip(SKIP_4) | instid1(SALU_CYCLE_1)
	s_cmp_ge_u32 s2, s11
	s_cselect_b32 s2, -1, 0
	s_cmp_eq_u32 s17, 0
	v_readfirstlane_b32 s17, v1
	s_cselect_b32 s2, s2, -1
	s_cmp_lg_u32 s2, 0
	s_cselect_b32 s2, s21, s13
	s_cselect_b32 s13, s22, s18
	s_cmp_ge_u32 s17, s11
	s_cselect_b32 s17, -1, 0
	s_cmp_eq_u32 s3, 0
	s_cselect_b32 s3, s17, -1
	s_delay_alu instid0(SALU_CYCLE_1) | instskip(SKIP_2) | instid1(SALU_CYCLE_1)
	s_cmp_lg_u32 s3, 0
	s_cselect_b32 s3, s13, s12
	s_cselect_b32 s2, s2, s7
	s_xor_b64 s[2:3], s[2:3], s[8:9]
	s_delay_alu instid0(SALU_CYCLE_1)
	s_sub_u32 s2, s2, s8
	s_subb_u32 s3, s3, s8
	s_cbranch_execnz .LBB38_5
.LBB38_4:
	v_cvt_f32_u32_e32 v1, s11
	s_sub_i32 s3, 0, s11
	s_delay_alu instid0(VALU_DEP_1) | instskip(SKIP_2) | instid1(VALU_DEP_1)
	v_rcp_iflag_f32_e32 v1, v1
	s_waitcnt_depctr 0xfff
	v_mul_f32_e32 v1, 0x4f7ffffe, v1
	v_cvt_u32_f32_e32 v1, v1
	s_delay_alu instid0(VALU_DEP_1) | instskip(NEXT) | instid1(VALU_DEP_1)
	v_readfirstlane_b32 s2, v1
	s_mul_i32 s3, s3, s2
	s_delay_alu instid0(SALU_CYCLE_1) | instskip(NEXT) | instid1(SALU_CYCLE_1)
	s_mul_hi_u32 s3, s2, s3
	s_add_i32 s2, s2, s3
	s_delay_alu instid0(SALU_CYCLE_1) | instskip(NEXT) | instid1(SALU_CYCLE_1)
	s_mul_hi_u32 s2, s6, s2
	s_mul_i32 s3, s2, s11
	s_delay_alu instid0(SALU_CYCLE_1)
	s_sub_i32 s3, s6, s3
	s_add_i32 s6, s2, 1
	s_sub_i32 s7, s3, s11
	s_cmp_ge_u32 s3, s11
	s_cselect_b32 s2, s6, s2
	s_cselect_b32 s3, s7, s3
	s_add_i32 s6, s2, 1
	s_cmp_ge_u32 s3, s11
	s_mov_b32 s3, 0
	s_cselect_b32 s2, s6, s2
.LBB38_5:
	v_mov_b32_e32 v1, 0
	s_add_u32 s2, s2, 1
	s_addc_u32 s3, s3, 0
	s_mul_hi_u32 s6, s10, s2
	s_mul_i32 s3, s10, s3
	v_mad_u64_u32 v[12:13], null, s14, s15, v[0:1]
	s_mul_hi_u32 s7, s16, s14
	s_add_i32 s3, s6, s3
	s_mul_i32 s7, s7, s2
	s_mul_i32 s2, s10, s2
	s_add_i32 s3, s3, s7
	s_delay_alu instid0(SALU_CYCLE_1)
	s_lshl_b64 s[6:7], s[2:3], 2
	s_mov_b32 s2, exec_lo
	v_cmpx_gt_i64_e64 s[6:7], v[12:13]
	s_cbranch_execz .LBB38_34
; %bb.6:
	v_alignbit_b32 v16, v3, v2, 2
	v_mad_u64_u32 v[6:7], null, 0xcd9e8d57, v12, 0
	v_lshrrev_b32_e32 v17, 2, v3
	s_waitcnt vmcnt(0)
	v_dual_mov_b32 v37, v11 :: v_dual_and_b32 v28, 3, v2
	v_mad_u64_u32 v[4:5], null, 0xd2511f53, v16, 0
	v_add_co_u32 v19, null, 0x9e3779b9, v10
	s_delay_alu instid0(VALU_DEP_3) | instskip(SKIP_1) | instid1(VALU_DEP_4)
	v_add_co_u32 v18, null, 0xbb67ae85, v37
	v_add_co_u32 v20, null, 0x3c6ef372, v10
	v_xor_b32_e32 v3, v5, v11
	v_xor3_b32 v5, v10, v7, v17
	v_add_co_u32 v21, null, 0x76cf5d0a, v37
	v_add_co_u32 v22, null, 0x32370b8f, v37
	s_delay_alu instid0(VALU_DEP_4) | instskip(NEXT) | instid1(VALU_DEP_4)
	v_xor_b32_e32 v3, v3, v13
	v_mad_u64_u32 v[7:8], null, 0xd2511f53, v5, 0
	v_add_co_u32 v23, null, 0xdaa66d2b, v10
	s_delay_alu instid0(VALU_DEP_3) | instskip(SKIP_1) | instid1(VALU_DEP_4)
	v_mad_u64_u32 v[14:15], null, 0xcd9e8d57, v3, 0
	v_add_co_u32 v24, null, 0x78dde6e4, v10
	v_xor3_b32 v5, v18, v8, v4
	v_add_co_u32 v25, null, 0xed9eba14, v37
	v_add_co_u32 v26, null, 0xa9066899, v37
	v_xor3_b32 v8, v19, v15, v6
	s_delay_alu instid0(VALU_DEP_4) | instskip(SKIP_1) | instid1(VALU_DEP_3)
	v_mad_u64_u32 v[3:4], null, 0xcd9e8d57, v5, 0
	v_add_co_u32 v27, null, 0x1715609d, v10
	v_mad_u64_u32 v[5:6], null, 0xd2511f53, v8, 0
	v_add_co_u32 v32, null, 0xb54cda56, v10
	s_delay_alu instid0(VALU_DEP_4) | instskip(SKIP_3) | instid1(VALU_DEP_4)
	v_xor3_b32 v4, v20, v4, v14
	v_add_co_u32 v33, null, 0x646e171e, v37
	v_add_co_u32 v31, null, 0x5384540f, v10
	v_xor3_b32 v14, v21, v6, v7
	v_mad_u64_u32 v[6:7], null, 0xd2511f53, v4, 0
	v_add_co_u32 v35, null, 0x1fd5c5a3, v37
	s_delay_alu instid0(VALU_DEP_3) | instskip(SKIP_4) | instid1(VALU_DEP_4)
	v_mad_u64_u32 v[8:9], null, 0xcd9e8d57, v14, 0
	s_clause 0x1
	s_load_b64 s[8:9], s[0:1], 0x30
	s_load_b32 s17, s[0:1], 0x38
	v_add_co_u32 v34, null, 0xf1bbcdc8, v10
	v_xor3_b32 v5, v22, v7, v5
	v_add_co_u32 v37, null, 0xdb3d7428, v37
	s_delay_alu instid0(VALU_DEP_4) | instskip(SKIP_1) | instid1(VALU_DEP_3)
	v_xor3_b32 v7, v23, v9, v3
	s_load_b128 s[0:3], s[0:1], 0x40
	v_mad_u64_u32 v[3:4], null, 0xcd9e8d57, v5, 0
	s_mul_i32 s18, s16, 3
	s_delay_alu instid0(VALU_DEP_2) | instskip(SKIP_3) | instid1(VALU_DEP_2)
	v_mad_u64_u32 v[14:15], null, 0xd2511f53, v7, 0
	s_lshl_b32 s19, s16, 1
	s_add_i32 s20, s15, s16
	s_add_i32 s18, s15, s18
	v_xor3_b32 v7, v24, v4, v8
	v_mad_u64_u32 v[41:42], null, s20, s14, v[0:1]
	s_delay_alu instid0(VALU_DEP_3) | instskip(SKIP_1) | instid1(VALU_DEP_4)
	v_xor3_b32 v8, v25, v15, v6
	v_mad_u64_u32 v[39:40], null, s18, s14, v[0:1]
	v_mad_u64_u32 v[4:5], null, 0xd2511f53, v7, 0
	s_delay_alu instid0(VALU_DEP_3)
	v_mad_u64_u32 v[6:7], null, 0xcd9e8d57, v8, 0
	v_dual_mov_b32 v36, v12 :: v_dual_add_nc_u32 v29, 0x8ff34781, v10
	v_add_nc_u32_e32 v30, 0x96a522ad, v11
	s_waitcnt lgkmcnt(0)
	v_mul_lo_u32 v39, s17, v39
	v_xor3_b32 v5, v26, v5, v14
	v_mul_lo_u32 v41, s17, v41
	v_xor3_b32 v9, v27, v7, v3
	s_mov_b32 s12, 0
	s_lshl_b32 s13, s10, 1
	v_mad_u64_u32 v[2:3], null, 0xcd9e8d57, v5, 0
	s_delay_alu instid0(VALU_DEP_2) | instskip(NEXT) | instid1(VALU_DEP_2)
	v_mad_u64_u32 v[7:8], null, 0xd2511f53, v9, 0
	v_xor3_b32 v6, v32, v3, v6
	s_delay_alu instid0(VALU_DEP_2) | instskip(SKIP_1) | instid1(VALU_DEP_3)
	v_xor3_b32 v14, v33, v8, v4
	v_mad_u64_u32 v[3:4], null, s15, s14, v[0:1]
	v_mad_u64_u32 v[4:5], null, 0xd2511f53, v6, 0
	s_delay_alu instid0(VALU_DEP_3) | instskip(SKIP_1) | instid1(VALU_DEP_3)
	v_mad_u64_u32 v[8:9], null, 0xcd9e8d57, v14, 0
	s_add_i32 s15, s15, s19
	v_mul_lo_u32 v38, s17, v3
	s_delay_alu instid0(VALU_DEP_3) | instskip(NEXT) | instid1(VALU_DEP_3)
	v_xor3_b32 v7, v35, v5, v7
	v_xor3_b32 v2, v31, v9, v2
	s_delay_alu instid0(VALU_DEP_2) | instskip(NEXT) | instid1(VALU_DEP_2)
	v_mad_u64_u32 v[5:6], null, 0xcd9e8d57, v7, 0
	v_mad_u64_u32 v[14:15], null, 0xd2511f53, v2, 0
	s_delay_alu instid0(VALU_DEP_2) | instskip(SKIP_1) | instid1(VALU_DEP_3)
	v_xor3_b32 v2, v34, v6, v8
	v_mad_u64_u32 v[8:9], null, s15, s14, v[0:1]
	v_xor3_b32 v4, v37, v15, v4
	s_mul_i32 s15, s16, s17
	s_delay_alu instid0(VALU_DEP_3) | instskip(SKIP_1) | instid1(VALU_DEP_2)
	v_mad_u64_u32 v[42:43], null, 0xd2511f53, v2, 0
	s_mul_i32 s15, s15, s14
	v_mad_u64_u32 v[6:7], null, 0xcd9e8d57, v4, 0
	s_delay_alu instid0(VALU_DEP_4) | instskip(SKIP_2) | instid1(VALU_DEP_3)
	v_mul_lo_u32 v40, s17, v8
	s_mul_i32 s14, s10, 3
	s_lshl_b32 s15, s15, 2
	v_mov_b32_e32 v8, v42
	v_mov_b32_e32 v42, v13
	s_mov_b32 s16, 0
	s_delay_alu instid0(VALU_DEP_4)
	v_xor3_b32 v5, v7, v5, v29
	v_xor3_b32 v7, v43, v14, v30
	s_branch .LBB38_9
.LBB38_7:                               ;   in Loop: Header=BB38_9 Depth=1
	s_or_b32 exec_lo, exec_lo, s18
	s_delay_alu instid0(VALU_DEP_1) | instskip(SKIP_1) | instid1(VALU_DEP_1)
	v_add_co_u32 v5, vcc_lo, v0, s2
	v_add_co_ci_u32_e32 v6, vcc_lo, s3, v1, vcc_lo
	v_xor_b32_e32 v0, v5, v6
	v_cls_i32_e32 v7, v6
	s_delay_alu instid0(VALU_DEP_2) | instskip(NEXT) | instid1(VALU_DEP_2)
	v_ashrrev_i32_e32 v0, 31, v0
	v_add_nc_u32_e32 v7, -1, v7
	s_delay_alu instid0(VALU_DEP_2) | instskip(NEXT) | instid1(VALU_DEP_1)
	v_add_nc_u32_e32 v0, 32, v0
	v_min_u32_e32 v0, v7, v0
	s_delay_alu instid0(VALU_DEP_1) | instskip(SKIP_1) | instid1(VALU_DEP_2)
	v_lshlrev_b64 v[5:6], v0, v[5:6]
	v_sub_nc_u32_e32 v0, 32, v0
	v_min_u32_e32 v5, 1, v5
	s_delay_alu instid0(VALU_DEP_1) | instskip(SKIP_1) | instid1(VALU_DEP_2)
	v_or_b32_e32 v5, v6, v5
	v_add_nc_u32_e32 v6, s16, v39
	v_cvt_f32_i32_e32 v5, v5
	s_delay_alu instid0(VALU_DEP_2) | instskip(NEXT) | instid1(VALU_DEP_2)
	v_ashrrev_i32_e32 v7, 31, v6
	v_ldexp_f32 v0, v5, v0
	v_add_co_u32 v5, vcc_lo, s8, v6
	s_delay_alu instid0(VALU_DEP_3) | instskip(NEXT) | instid1(VALU_DEP_3)
	v_add_co_ci_u32_e32 v6, vcc_lo, s9, v7, vcc_lo
	v_bfe_u32 v8, v0, 16, 1
	s_delay_alu instid0(VALU_DEP_1)
	v_add3_u32 v0, v0, v8, 0x7fff
	global_store_d16_hi_b16 v[5:6], v0, off
.LBB38_8:                               ;   in Loop: Header=BB38_9 Depth=1
	s_or_b32 exec_lo, exec_lo, s17
	v_add_co_u32 v12, vcc_lo, v12, s11
	v_add_co_ci_u32_e32 v13, vcc_lo, 0, v13, vcc_lo
	v_mov_b32_e32 v5, v14
	s_add_i32 s16, s16, s15
	s_waitcnt_vscnt null, 0x0
	s_delay_alu instid0(VALU_DEP_2)
	v_cmp_le_i64_e32 vcc_lo, s[6:7], v[12:13]
	s_barrier
	v_mov_b32_e32 v8, v5
	v_dual_mov_b32 v7, v4 :: v_dual_mov_b32 v6, v3
	v_mov_b32_e32 v5, v2
	s_or_b32 s12, vcc_lo, s12
	buffer_gl0_inv
	s_and_not1_b32 exec_lo, exec_lo, s12
	s_cbranch_execz .LBB38_34
.LBB38_9:                               ; =>This Inner Loop Header: Depth=1
	v_add_co_u32 v16, vcc_lo, v16, 1
	s_delay_alu instid0(VALU_DEP_1) | instskip(SKIP_1) | instid1(VALU_DEP_3)
	v_cndmask_b32_e64 v0, 0, 1, vcc_lo
	v_add_co_ci_u32_e32 v17, vcc_lo, 0, v17, vcc_lo
	v_mad_u64_u32 v[2:3], null, 0xd2511f53, v16, 0
	s_mov_b32 s17, exec_lo
	s_delay_alu instid0(VALU_DEP_2) | instskip(SKIP_1) | instid1(VALU_DEP_1)
	v_cmp_eq_u32_e32 vcc_lo, 0, v17
	v_cndmask_b32_e32 v0, 0, v0, vcc_lo
	v_add_nc_u32_e32 v36, v0, v36
	s_delay_alu instid0(VALU_DEP_1) | instskip(SKIP_2) | instid1(VALU_DEP_2)
	v_cmp_eq_u32_e32 vcc_lo, 0, v36
	v_mad_u64_u32 v[14:15], null, 0xcd9e8d57, v36, 0
	v_cndmask_b32_e32 v0, 0, v0, vcc_lo
	v_xor3_b32 v9, v15, v10, v17
	s_delay_alu instid0(VALU_DEP_2) | instskip(SKIP_1) | instid1(VALU_DEP_3)
	v_add_nc_u32_e32 v42, v0, v42
	v_xor_b32_e32 v0, v3, v11
	v_mad_u64_u32 v[3:4], null, 0xd2511f53, v9, 0
	s_delay_alu instid0(VALU_DEP_2) | instskip(NEXT) | instid1(VALU_DEP_1)
	v_xor_b32_e32 v0, v42, v0
	v_mad_u64_u32 v[43:44], null, 0xcd9e8d57, v0, 0
	s_delay_alu instid0(VALU_DEP_3) | instskip(NEXT) | instid1(VALU_DEP_2)
	v_xor3_b32 v0, v18, v4, v2
	v_xor3_b32 v2, v19, v44, v14
	s_delay_alu instid0(VALU_DEP_2) | instskip(NEXT) | instid1(VALU_DEP_2)
	v_mad_u64_u32 v[14:15], null, 0xcd9e8d57, v0, 0
	v_mad_u64_u32 v[44:45], null, 0xd2511f53, v2, 0
	s_delay_alu instid0(VALU_DEP_2) | instskip(NEXT) | instid1(VALU_DEP_2)
	v_xor3_b32 v0, v20, v15, v43
	v_xor3_b32 v4, v21, v45, v3
	s_delay_alu instid0(VALU_DEP_2) | instskip(NEXT) | instid1(VALU_DEP_2)
	v_mad_u64_u32 v[2:3], null, 0xd2511f53, v0, 0
	v_mad_u64_u32 v[45:46], null, 0xcd9e8d57, v4, 0
	s_delay_alu instid0(VALU_DEP_2) | instskip(NEXT) | instid1(VALU_DEP_2)
	;; [unrolled: 6-line block ×8, first 2 shown]
	v_xor3_b32 v9, v15, v46, v30
	v_xor3_b32 v2, v4, v44, v29
	s_delay_alu instid0(VALU_DEP_2)
	v_mov_b32_e32 v4, v9
	v_cmpx_lt_i32_e32 1, v28
	s_xor_b32 s17, exec_lo, s17
	s_cbranch_execnz .LBB38_12
; %bb.10:                               ;   in Loop: Header=BB38_9 Depth=1
	s_and_not1_saveexec_b32 s17, s17
	s_cbranch_execnz .LBB38_17
.LBB38_11:                              ;   in Loop: Header=BB38_9 Depth=1
	s_or_b32 exec_lo, exec_lo, s17
	s_delay_alu instid0(SALU_CYCLE_1)
	s_mov_b32 s17, exec_lo
	v_cmpx_gt_i64_e64 s[4:5], v[12:13]
	s_cbranch_execnz .LBB38_20
	s_branch .LBB38_23
.LBB38_12:                              ;   in Loop: Header=BB38_9 Depth=1
	s_mov_b32 s18, exec_lo
	v_cmpx_lt_i32_e32 2, v28
	s_xor_b32 s18, exec_lo, s18
; %bb.13:                               ;   in Loop: Header=BB38_9 Depth=1
	v_dual_mov_b32 v6, v8 :: v_dual_mov_b32 v7, v2
	v_mov_b32_e32 v8, v3
	s_delay_alu instid0(VALU_DEP_2) | instskip(NEXT) | instid1(VALU_DEP_3)
	v_mov_b32_e32 v5, v6
	v_mov_b32_e32 v6, v7
	s_delay_alu instid0(VALU_DEP_3)
	v_mov_b32_e32 v7, v8
	v_mov_b32_e32 v8, v9
; %bb.14:                               ;   in Loop: Header=BB38_9 Depth=1
	s_and_not1_saveexec_b32 s18, s18
; %bb.15:                               ;   in Loop: Header=BB38_9 Depth=1
	s_delay_alu instid0(VALU_DEP_1)
	v_dual_mov_b32 v5, v7 :: v_dual_mov_b32 v6, v8
	v_dual_mov_b32 v7, v2 :: v_dual_mov_b32 v8, v3
; %bb.16:                               ;   in Loop: Header=BB38_9 Depth=1
	s_or_b32 exec_lo, exec_lo, s18
	s_and_not1_saveexec_b32 s17, s17
	s_cbranch_execz .LBB38_11
.LBB38_17:                              ;   in Loop: Header=BB38_9 Depth=1
	s_mov_b32 s18, exec_lo
	v_cmpx_eq_u32_e32 1, v28
; %bb.18:                               ;   in Loop: Header=BB38_9 Depth=1
	v_dual_mov_b32 v5, v6 :: v_dual_mov_b32 v6, v7
	v_dual_mov_b32 v7, v8 :: v_dual_mov_b32 v8, v2
; %bb.19:                               ;   in Loop: Header=BB38_9 Depth=1
	s_or_b32 exec_lo, exec_lo, s18
	s_delay_alu instid0(SALU_CYCLE_1) | instskip(NEXT) | instid1(SALU_CYCLE_1)
	s_or_b32 exec_lo, exec_lo, s17
	s_mov_b32 s17, exec_lo
	v_cmpx_gt_i64_e64 s[4:5], v[12:13]
	s_cbranch_execz .LBB38_23
.LBB38_20:                              ;   in Loop: Header=BB38_9 Depth=1
	v_mov_b32_e32 v0, v5
	s_mov_b32 s18, exec_lo
	s_delay_alu instid0(VALU_DEP_1)
	v_cmpx_le_u64_e64 s[0:1], v[0:1]
	s_cbranch_execz .LBB38_22
; %bb.21:                               ;   in Loop: Header=BB38_9 Depth=1
	v_cvt_f32_u32_e32 v5, s0
	s_sub_i32 s19, 0, s0
	s_delay_alu instid0(VALU_DEP_1) | instskip(SKIP_2) | instid1(VALU_DEP_1)
	v_rcp_iflag_f32_e32 v5, v5
	s_waitcnt_depctr 0xfff
	v_mul_f32_e32 v5, 0x4f7ffffe, v5
	v_cvt_u32_f32_e32 v5, v5
	s_delay_alu instid0(VALU_DEP_1) | instskip(NEXT) | instid1(VALU_DEP_1)
	v_mul_lo_u32 v9, s19, v5
	v_mul_hi_u32 v9, v5, v9
	s_delay_alu instid0(VALU_DEP_1) | instskip(NEXT) | instid1(VALU_DEP_1)
	v_add_nc_u32_e32 v5, v5, v9
	v_mul_hi_u32 v5, v0, v5
	s_delay_alu instid0(VALU_DEP_1) | instskip(NEXT) | instid1(VALU_DEP_1)
	v_mul_lo_u32 v5, v5, s0
	v_sub_nc_u32_e32 v0, v0, v5
	s_delay_alu instid0(VALU_DEP_1) | instskip(SKIP_1) | instid1(VALU_DEP_2)
	v_subrev_nc_u32_e32 v5, s0, v0
	v_cmp_le_u32_e32 vcc_lo, s0, v0
	v_cndmask_b32_e32 v0, v0, v5, vcc_lo
	s_delay_alu instid0(VALU_DEP_1) | instskip(SKIP_1) | instid1(VALU_DEP_2)
	v_subrev_nc_u32_e32 v5, s0, v0
	v_cmp_le_u32_e32 vcc_lo, s0, v0
	v_cndmask_b32_e32 v0, v0, v5, vcc_lo
.LBB38_22:                              ;   in Loop: Header=BB38_9 Depth=1
	s_or_b32 exec_lo, exec_lo, s18
	s_delay_alu instid0(VALU_DEP_1) | instskip(SKIP_2) | instid1(VALU_DEP_2)
	v_add_co_u32 v43, vcc_lo, v0, s2
	v_add_co_ci_u32_e32 v44, vcc_lo, s3, v1, vcc_lo
	v_add_nc_u32_e32 v9, s16, v38
	v_xor_b32_e32 v0, v43, v44
	v_cls_i32_e32 v5, v44
	s_delay_alu instid0(VALU_DEP_2) | instskip(NEXT) | instid1(VALU_DEP_2)
	v_ashrrev_i32_e32 v0, 31, v0
	v_add_nc_u32_e32 v5, -1, v5
	s_delay_alu instid0(VALU_DEP_2) | instskip(NEXT) | instid1(VALU_DEP_1)
	v_add_nc_u32_e32 v0, 32, v0
	v_min_u32_e32 v0, v5, v0
	s_delay_alu instid0(VALU_DEP_1) | instskip(SKIP_1) | instid1(VALU_DEP_2)
	v_lshlrev_b64 v[43:44], v0, v[43:44]
	v_sub_nc_u32_e32 v0, 32, v0
	v_min_u32_e32 v5, 1, v43
	v_add_co_u32 v43, vcc_lo, s8, v9
	s_delay_alu instid0(VALU_DEP_2) | instskip(NEXT) | instid1(VALU_DEP_1)
	v_or_b32_e32 v5, v44, v5
	v_cvt_f32_i32_e32 v5, v5
	s_delay_alu instid0(VALU_DEP_1) | instskip(SKIP_1) | instid1(VALU_DEP_2)
	v_ldexp_f32 v0, v5, v0
	v_ashrrev_i32_e32 v5, 31, v9
	v_bfe_u32 v15, v0, 16, 1
	s_delay_alu instid0(VALU_DEP_2) | instskip(NEXT) | instid1(VALU_DEP_2)
	v_add_co_ci_u32_e32 v44, vcc_lo, s9, v5, vcc_lo
	v_add3_u32 v0, v0, v15, 0x7fff
	global_store_d16_hi_b16 v[43:44], v0, off
.LBB38_23:                              ;   in Loop: Header=BB38_9 Depth=1
	s_or_b32 exec_lo, exec_lo, s17
	v_add_co_u32 v43, vcc_lo, s10, v12
	v_add_co_ci_u32_e32 v44, vcc_lo, 0, v13, vcc_lo
	s_mov_b32 s17, exec_lo
	s_delay_alu instid0(VALU_DEP_1)
	v_cmpx_gt_i64_e64 s[4:5], v[43:44]
	s_cbranch_execz .LBB38_27
; %bb.24:                               ;   in Loop: Header=BB38_9 Depth=1
	v_mov_b32_e32 v0, v6
	s_mov_b32 s18, exec_lo
	s_delay_alu instid0(VALU_DEP_1)
	v_cmpx_le_u64_e64 s[0:1], v[0:1]
	s_cbranch_execz .LBB38_26
; %bb.25:                               ;   in Loop: Header=BB38_9 Depth=1
	v_cvt_f32_u32_e32 v5, s0
	s_sub_i32 s19, 0, s0
	s_delay_alu instid0(VALU_DEP_1) | instskip(SKIP_2) | instid1(VALU_DEP_1)
	v_rcp_iflag_f32_e32 v5, v5
	s_waitcnt_depctr 0xfff
	v_mul_f32_e32 v5, 0x4f7ffffe, v5
	v_cvt_u32_f32_e32 v5, v5
	s_delay_alu instid0(VALU_DEP_1) | instskip(NEXT) | instid1(VALU_DEP_1)
	v_mul_lo_u32 v6, s19, v5
	v_mul_hi_u32 v6, v5, v6
	s_delay_alu instid0(VALU_DEP_1) | instskip(NEXT) | instid1(VALU_DEP_1)
	v_add_nc_u32_e32 v5, v5, v6
	v_mul_hi_u32 v5, v0, v5
	s_delay_alu instid0(VALU_DEP_1) | instskip(NEXT) | instid1(VALU_DEP_1)
	v_mul_lo_u32 v5, v5, s0
	v_sub_nc_u32_e32 v0, v0, v5
	s_delay_alu instid0(VALU_DEP_1) | instskip(SKIP_1) | instid1(VALU_DEP_2)
	v_subrev_nc_u32_e32 v5, s0, v0
	v_cmp_le_u32_e32 vcc_lo, s0, v0
	v_cndmask_b32_e32 v0, v0, v5, vcc_lo
	s_delay_alu instid0(VALU_DEP_1) | instskip(SKIP_1) | instid1(VALU_DEP_2)
	v_subrev_nc_u32_e32 v5, s0, v0
	v_cmp_le_u32_e32 vcc_lo, s0, v0
	v_cndmask_b32_e32 v0, v0, v5, vcc_lo
.LBB38_26:                              ;   in Loop: Header=BB38_9 Depth=1
	s_or_b32 exec_lo, exec_lo, s18
	s_delay_alu instid0(VALU_DEP_1) | instskip(SKIP_1) | instid1(VALU_DEP_1)
	v_add_co_u32 v5, vcc_lo, v0, s2
	v_add_co_ci_u32_e32 v6, vcc_lo, s3, v1, vcc_lo
	v_xor_b32_e32 v0, v5, v6
	v_cls_i32_e32 v9, v6
	s_delay_alu instid0(VALU_DEP_2) | instskip(NEXT) | instid1(VALU_DEP_2)
	v_ashrrev_i32_e32 v0, 31, v0
	v_add_nc_u32_e32 v9, -1, v9
	s_delay_alu instid0(VALU_DEP_2) | instskip(NEXT) | instid1(VALU_DEP_1)
	v_add_nc_u32_e32 v0, 32, v0
	v_min_u32_e32 v0, v9, v0
	s_delay_alu instid0(VALU_DEP_1) | instskip(SKIP_1) | instid1(VALU_DEP_2)
	v_lshlrev_b64 v[5:6], v0, v[5:6]
	v_sub_nc_u32_e32 v0, 32, v0
	v_min_u32_e32 v5, 1, v5
	s_delay_alu instid0(VALU_DEP_1) | instskip(SKIP_1) | instid1(VALU_DEP_2)
	v_or_b32_e32 v5, v6, v5
	v_add_nc_u32_e32 v6, s16, v41
	v_cvt_f32_i32_e32 v5, v5
	s_delay_alu instid0(VALU_DEP_2) | instskip(NEXT) | instid1(VALU_DEP_2)
	v_ashrrev_i32_e32 v9, 31, v6
	v_ldexp_f32 v0, v5, v0
	v_add_co_u32 v5, vcc_lo, s8, v6
	s_delay_alu instid0(VALU_DEP_3) | instskip(NEXT) | instid1(VALU_DEP_3)
	v_add_co_ci_u32_e32 v6, vcc_lo, s9, v9, vcc_lo
	v_bfe_u32 v15, v0, 16, 1
	s_delay_alu instid0(VALU_DEP_1)
	v_add3_u32 v0, v0, v15, 0x7fff
	global_store_d16_hi_b16 v[5:6], v0, off
.LBB38_27:                              ;   in Loop: Header=BB38_9 Depth=1
	s_or_b32 exec_lo, exec_lo, s17
	v_add_co_u32 v5, vcc_lo, s13, v12
	v_add_co_ci_u32_e32 v6, vcc_lo, 0, v13, vcc_lo
	s_mov_b32 s17, exec_lo
	s_delay_alu instid0(VALU_DEP_1)
	v_cmpx_gt_i64_e64 s[4:5], v[5:6]
	s_cbranch_execz .LBB38_31
; %bb.28:                               ;   in Loop: Header=BB38_9 Depth=1
	v_mov_b32_e32 v0, v7
	s_mov_b32 s18, exec_lo
	s_delay_alu instid0(VALU_DEP_1)
	v_cmpx_le_u64_e64 s[0:1], v[0:1]
	s_cbranch_execz .LBB38_30
; %bb.29:                               ;   in Loop: Header=BB38_9 Depth=1
	v_cvt_f32_u32_e32 v5, s0
	s_sub_i32 s19, 0, s0
	s_delay_alu instid0(VALU_DEP_1) | instskip(SKIP_2) | instid1(VALU_DEP_1)
	v_rcp_iflag_f32_e32 v5, v5
	s_waitcnt_depctr 0xfff
	v_mul_f32_e32 v5, 0x4f7ffffe, v5
	v_cvt_u32_f32_e32 v5, v5
	s_delay_alu instid0(VALU_DEP_1) | instskip(NEXT) | instid1(VALU_DEP_1)
	v_mul_lo_u32 v6, s19, v5
	v_mul_hi_u32 v6, v5, v6
	s_delay_alu instid0(VALU_DEP_1) | instskip(NEXT) | instid1(VALU_DEP_1)
	v_add_nc_u32_e32 v5, v5, v6
	v_mul_hi_u32 v5, v0, v5
	s_delay_alu instid0(VALU_DEP_1) | instskip(NEXT) | instid1(VALU_DEP_1)
	v_mul_lo_u32 v5, v5, s0
	v_sub_nc_u32_e32 v0, v0, v5
	s_delay_alu instid0(VALU_DEP_1) | instskip(SKIP_1) | instid1(VALU_DEP_2)
	v_subrev_nc_u32_e32 v5, s0, v0
	v_cmp_le_u32_e32 vcc_lo, s0, v0
	v_cndmask_b32_e32 v0, v0, v5, vcc_lo
	s_delay_alu instid0(VALU_DEP_1) | instskip(SKIP_1) | instid1(VALU_DEP_2)
	v_subrev_nc_u32_e32 v5, s0, v0
	v_cmp_le_u32_e32 vcc_lo, s0, v0
	v_cndmask_b32_e32 v0, v0, v5, vcc_lo
.LBB38_30:                              ;   in Loop: Header=BB38_9 Depth=1
	s_or_b32 exec_lo, exec_lo, s18
	s_delay_alu instid0(VALU_DEP_1) | instskip(SKIP_1) | instid1(VALU_DEP_1)
	v_add_co_u32 v5, vcc_lo, v0, s2
	v_add_co_ci_u32_e32 v6, vcc_lo, s3, v1, vcc_lo
	v_xor_b32_e32 v0, v5, v6
	v_cls_i32_e32 v7, v6
	s_delay_alu instid0(VALU_DEP_2) | instskip(NEXT) | instid1(VALU_DEP_2)
	v_ashrrev_i32_e32 v0, 31, v0
	v_add_nc_u32_e32 v7, -1, v7
	s_delay_alu instid0(VALU_DEP_2) | instskip(NEXT) | instid1(VALU_DEP_1)
	v_add_nc_u32_e32 v0, 32, v0
	v_min_u32_e32 v0, v7, v0
	s_delay_alu instid0(VALU_DEP_1) | instskip(SKIP_1) | instid1(VALU_DEP_2)
	v_lshlrev_b64 v[5:6], v0, v[5:6]
	v_sub_nc_u32_e32 v0, 32, v0
	v_min_u32_e32 v5, 1, v5
	s_delay_alu instid0(VALU_DEP_1) | instskip(SKIP_1) | instid1(VALU_DEP_2)
	v_or_b32_e32 v5, v6, v5
	v_add_nc_u32_e32 v6, s16, v40
	v_cvt_f32_i32_e32 v5, v5
	s_delay_alu instid0(VALU_DEP_2) | instskip(NEXT) | instid1(VALU_DEP_2)
	v_ashrrev_i32_e32 v7, 31, v6
	v_ldexp_f32 v0, v5, v0
	v_add_co_u32 v5, vcc_lo, s8, v6
	s_delay_alu instid0(VALU_DEP_3) | instskip(NEXT) | instid1(VALU_DEP_3)
	v_add_co_ci_u32_e32 v6, vcc_lo, s9, v7, vcc_lo
	v_bfe_u32 v9, v0, 16, 1
	s_delay_alu instid0(VALU_DEP_1)
	v_add3_u32 v0, v0, v9, 0x7fff
	global_store_d16_hi_b16 v[5:6], v0, off
.LBB38_31:                              ;   in Loop: Header=BB38_9 Depth=1
	s_or_b32 exec_lo, exec_lo, s17
	v_add_co_u32 v5, vcc_lo, s14, v12
	v_add_co_ci_u32_e32 v6, vcc_lo, 0, v13, vcc_lo
	s_mov_b32 s17, exec_lo
	s_delay_alu instid0(VALU_DEP_1)
	v_cmpx_gt_i64_e64 s[4:5], v[5:6]
	s_cbranch_execz .LBB38_8
; %bb.32:                               ;   in Loop: Header=BB38_9 Depth=1
	v_mov_b32_e32 v0, v8
	s_mov_b32 s18, exec_lo
	s_delay_alu instid0(VALU_DEP_1)
	v_cmpx_le_u64_e64 s[0:1], v[0:1]
	s_cbranch_execz .LBB38_7
; %bb.33:                               ;   in Loop: Header=BB38_9 Depth=1
	v_cvt_f32_u32_e32 v5, s0
	s_sub_i32 s19, 0, s0
	s_delay_alu instid0(VALU_DEP_1) | instskip(SKIP_2) | instid1(VALU_DEP_1)
	v_rcp_iflag_f32_e32 v5, v5
	s_waitcnt_depctr 0xfff
	v_mul_f32_e32 v5, 0x4f7ffffe, v5
	v_cvt_u32_f32_e32 v5, v5
	s_delay_alu instid0(VALU_DEP_1) | instskip(NEXT) | instid1(VALU_DEP_1)
	v_mul_lo_u32 v6, s19, v5
	v_mul_hi_u32 v6, v5, v6
	s_delay_alu instid0(VALU_DEP_1) | instskip(NEXT) | instid1(VALU_DEP_1)
	v_add_nc_u32_e32 v5, v5, v6
	v_mul_hi_u32 v5, v0, v5
	s_delay_alu instid0(VALU_DEP_1) | instskip(NEXT) | instid1(VALU_DEP_1)
	v_mul_lo_u32 v5, v5, s0
	v_sub_nc_u32_e32 v0, v0, v5
	s_delay_alu instid0(VALU_DEP_1) | instskip(SKIP_1) | instid1(VALU_DEP_2)
	v_subrev_nc_u32_e32 v5, s0, v0
	v_cmp_le_u32_e32 vcc_lo, s0, v0
	v_cndmask_b32_e32 v0, v0, v5, vcc_lo
	s_delay_alu instid0(VALU_DEP_1) | instskip(SKIP_1) | instid1(VALU_DEP_2)
	v_subrev_nc_u32_e32 v5, s0, v0
	v_cmp_le_u32_e32 vcc_lo, s0, v0
	v_cndmask_b32_e32 v0, v0, v5, vcc_lo
	s_branch .LBB38_7
.LBB38_34:
	s_endpgm
.LBB38_35:
                                        ; implicit-def: $sgpr2_sgpr3
	s_branch .LBB38_4
	.section	.rodata,"a",@progbits
	.p2align	6, 0x0
	.amdhsa_kernel _ZN2at6native12_GLOBAL__N_143distribution_elementwise_grid_stride_kernelIjLi4EZZZNS0_9templates4cuda21random_from_to_kernelIPNS_17CUDAGeneratorImplEEEvRNS_18TensorIteratorBaseEmlT_ENKUlvE_clEvENKUlvE8_clEvEUlP25hiprandStatePhilox4_32_10E0_ZNS1_27distribution_nullary_kernelIN3c108BFloat16Ej15HIP_vector_typeIjLj4EES7_SF_ZZZNS5_IS7_EEvS9_mlSA_ENKSB_clEvENKSC_clEvEUljE_EEvS9_T2_RKT3_T4_EUlijE_EEvlNS_15PhiloxCudaStateET1_SM_
		.amdhsa_group_segment_fixed_size 0
		.amdhsa_private_segment_fixed_size 0
		.amdhsa_kernarg_size 336
		.amdhsa_user_sgpr_count 15
		.amdhsa_user_sgpr_dispatch_ptr 0
		.amdhsa_user_sgpr_queue_ptr 0
		.amdhsa_user_sgpr_kernarg_segment_ptr 1
		.amdhsa_user_sgpr_dispatch_id 0
		.amdhsa_user_sgpr_private_segment_size 0
		.amdhsa_wavefront_size32 1
		.amdhsa_uses_dynamic_stack 0
		.amdhsa_enable_private_segment 0
		.amdhsa_system_sgpr_workgroup_id_x 1
		.amdhsa_system_sgpr_workgroup_id_y 0
		.amdhsa_system_sgpr_workgroup_id_z 0
		.amdhsa_system_sgpr_workgroup_info 0
		.amdhsa_system_vgpr_workitem_id 0
		.amdhsa_next_free_vgpr 48
		.amdhsa_next_free_sgpr 23
		.amdhsa_reserve_vcc 1
		.amdhsa_float_round_mode_32 0
		.amdhsa_float_round_mode_16_64 0
		.amdhsa_float_denorm_mode_32 3
		.amdhsa_float_denorm_mode_16_64 3
		.amdhsa_dx10_clamp 1
		.amdhsa_ieee_mode 1
		.amdhsa_fp16_overflow 0
		.amdhsa_workgroup_processor_mode 1
		.amdhsa_memory_ordered 1
		.amdhsa_forward_progress 0
		.amdhsa_shared_vgpr_count 0
		.amdhsa_exception_fp_ieee_invalid_op 0
		.amdhsa_exception_fp_denorm_src 0
		.amdhsa_exception_fp_ieee_div_zero 0
		.amdhsa_exception_fp_ieee_overflow 0
		.amdhsa_exception_fp_ieee_underflow 0
		.amdhsa_exception_fp_ieee_inexact 0
		.amdhsa_exception_int_div_zero 0
	.end_amdhsa_kernel
	.section	.text._ZN2at6native12_GLOBAL__N_143distribution_elementwise_grid_stride_kernelIjLi4EZZZNS0_9templates4cuda21random_from_to_kernelIPNS_17CUDAGeneratorImplEEEvRNS_18TensorIteratorBaseEmlT_ENKUlvE_clEvENKUlvE8_clEvEUlP25hiprandStatePhilox4_32_10E0_ZNS1_27distribution_nullary_kernelIN3c108BFloat16Ej15HIP_vector_typeIjLj4EES7_SF_ZZZNS5_IS7_EEvS9_mlSA_ENKSB_clEvENKSC_clEvEUljE_EEvS9_T2_RKT3_T4_EUlijE_EEvlNS_15PhiloxCudaStateET1_SM_,"axG",@progbits,_ZN2at6native12_GLOBAL__N_143distribution_elementwise_grid_stride_kernelIjLi4EZZZNS0_9templates4cuda21random_from_to_kernelIPNS_17CUDAGeneratorImplEEEvRNS_18TensorIteratorBaseEmlT_ENKUlvE_clEvENKUlvE8_clEvEUlP25hiprandStatePhilox4_32_10E0_ZNS1_27distribution_nullary_kernelIN3c108BFloat16Ej15HIP_vector_typeIjLj4EES7_SF_ZZZNS5_IS7_EEvS9_mlSA_ENKSB_clEvENKSC_clEvEUljE_EEvS9_T2_RKT3_T4_EUlijE_EEvlNS_15PhiloxCudaStateET1_SM_,comdat
.Lfunc_end38:
	.size	_ZN2at6native12_GLOBAL__N_143distribution_elementwise_grid_stride_kernelIjLi4EZZZNS0_9templates4cuda21random_from_to_kernelIPNS_17CUDAGeneratorImplEEEvRNS_18TensorIteratorBaseEmlT_ENKUlvE_clEvENKUlvE8_clEvEUlP25hiprandStatePhilox4_32_10E0_ZNS1_27distribution_nullary_kernelIN3c108BFloat16Ej15HIP_vector_typeIjLj4EES7_SF_ZZZNS5_IS7_EEvS9_mlSA_ENKSB_clEvENKSC_clEvEUljE_EEvS9_T2_RKT3_T4_EUlijE_EEvlNS_15PhiloxCudaStateET1_SM_, .Lfunc_end38-_ZN2at6native12_GLOBAL__N_143distribution_elementwise_grid_stride_kernelIjLi4EZZZNS0_9templates4cuda21random_from_to_kernelIPNS_17CUDAGeneratorImplEEEvRNS_18TensorIteratorBaseEmlT_ENKUlvE_clEvENKUlvE8_clEvEUlP25hiprandStatePhilox4_32_10E0_ZNS1_27distribution_nullary_kernelIN3c108BFloat16Ej15HIP_vector_typeIjLj4EES7_SF_ZZZNS5_IS7_EEvS9_mlSA_ENKSB_clEvENKSC_clEvEUljE_EEvS9_T2_RKT3_T4_EUlijE_EEvlNS_15PhiloxCudaStateET1_SM_
                                        ; -- End function
	.section	.AMDGPU.csdata,"",@progbits
; Kernel info:
; codeLenInByte = 3860
; NumSgprs: 25
; NumVgprs: 48
; ScratchSize: 0
; MemoryBound: 0
; FloatMode: 240
; IeeeMode: 1
; LDSByteSize: 0 bytes/workgroup (compile time only)
; SGPRBlocks: 3
; VGPRBlocks: 5
; NumSGPRsForWavesPerEU: 25
; NumVGPRsForWavesPerEU: 48
; Occupancy: 16
; WaveLimiterHint : 0
; COMPUTE_PGM_RSRC2:SCRATCH_EN: 0
; COMPUTE_PGM_RSRC2:USER_SGPR: 15
; COMPUTE_PGM_RSRC2:TRAP_HANDLER: 0
; COMPUTE_PGM_RSRC2:TGID_X_EN: 1
; COMPUTE_PGM_RSRC2:TGID_Y_EN: 0
; COMPUTE_PGM_RSRC2:TGID_Z_EN: 0
; COMPUTE_PGM_RSRC2:TIDIG_COMP_CNT: 0
	.section	.text._ZN2at6native12_GLOBAL__N_143distribution_elementwise_grid_stride_kernelIjLi4EZZZNS0_9templates4cuda21random_from_to_kernelIPNS_17CUDAGeneratorImplEEEvRNS_18TensorIteratorBaseEmlT_ENKUlvE_clEvENKUlvE8_clEvEUlP25hiprandStatePhilox4_32_10E0_ZNS1_27distribution_nullary_kernelIN3c108BFloat16Ej15HIP_vector_typeIjLj4EES7_SF_ZZZNS5_IS7_EEvS9_mlSA_ENKSB_clEvENKSC_clEvEUljE_EEvS9_T2_RKT3_T4_EUlijE0_EEvlNS_15PhiloxCudaStateET1_SM_,"axG",@progbits,_ZN2at6native12_GLOBAL__N_143distribution_elementwise_grid_stride_kernelIjLi4EZZZNS0_9templates4cuda21random_from_to_kernelIPNS_17CUDAGeneratorImplEEEvRNS_18TensorIteratorBaseEmlT_ENKUlvE_clEvENKUlvE8_clEvEUlP25hiprandStatePhilox4_32_10E0_ZNS1_27distribution_nullary_kernelIN3c108BFloat16Ej15HIP_vector_typeIjLj4EES7_SF_ZZZNS5_IS7_EEvS9_mlSA_ENKSB_clEvENKSC_clEvEUljE_EEvS9_T2_RKT3_T4_EUlijE0_EEvlNS_15PhiloxCudaStateET1_SM_,comdat
	.globl	_ZN2at6native12_GLOBAL__N_143distribution_elementwise_grid_stride_kernelIjLi4EZZZNS0_9templates4cuda21random_from_to_kernelIPNS_17CUDAGeneratorImplEEEvRNS_18TensorIteratorBaseEmlT_ENKUlvE_clEvENKUlvE8_clEvEUlP25hiprandStatePhilox4_32_10E0_ZNS1_27distribution_nullary_kernelIN3c108BFloat16Ej15HIP_vector_typeIjLj4EES7_SF_ZZZNS5_IS7_EEvS9_mlSA_ENKSB_clEvENKSC_clEvEUljE_EEvS9_T2_RKT3_T4_EUlijE0_EEvlNS_15PhiloxCudaStateET1_SM_ ; -- Begin function _ZN2at6native12_GLOBAL__N_143distribution_elementwise_grid_stride_kernelIjLi4EZZZNS0_9templates4cuda21random_from_to_kernelIPNS_17CUDAGeneratorImplEEEvRNS_18TensorIteratorBaseEmlT_ENKUlvE_clEvENKUlvE8_clEvEUlP25hiprandStatePhilox4_32_10E0_ZNS1_27distribution_nullary_kernelIN3c108BFloat16Ej15HIP_vector_typeIjLj4EES7_SF_ZZZNS5_IS7_EEvS9_mlSA_ENKSB_clEvENKSC_clEvEUljE_EEvS9_T2_RKT3_T4_EUlijE0_EEvlNS_15PhiloxCudaStateET1_SM_
	.p2align	8
	.type	_ZN2at6native12_GLOBAL__N_143distribution_elementwise_grid_stride_kernelIjLi4EZZZNS0_9templates4cuda21random_from_to_kernelIPNS_17CUDAGeneratorImplEEEvRNS_18TensorIteratorBaseEmlT_ENKUlvE_clEvENKUlvE8_clEvEUlP25hiprandStatePhilox4_32_10E0_ZNS1_27distribution_nullary_kernelIN3c108BFloat16Ej15HIP_vector_typeIjLj4EES7_SF_ZZZNS5_IS7_EEvS9_mlSA_ENKSB_clEvENKSC_clEvEUljE_EEvS9_T2_RKT3_T4_EUlijE0_EEvlNS_15PhiloxCudaStateET1_SM_,@function
_ZN2at6native12_GLOBAL__N_143distribution_elementwise_grid_stride_kernelIjLi4EZZZNS0_9templates4cuda21random_from_to_kernelIPNS_17CUDAGeneratorImplEEEvRNS_18TensorIteratorBaseEmlT_ENKUlvE_clEvENKUlvE8_clEvEUlP25hiprandStatePhilox4_32_10E0_ZNS1_27distribution_nullary_kernelIN3c108BFloat16Ej15HIP_vector_typeIjLj4EES7_SF_ZZZNS5_IS7_EEvS9_mlSA_ENKSB_clEvENKSC_clEvEUljE_EEvS9_T2_RKT3_T4_EUlijE0_EEvlNS_15PhiloxCudaStateET1_SM_: ; @_ZN2at6native12_GLOBAL__N_143distribution_elementwise_grid_stride_kernelIjLi4EZZZNS0_9templates4cuda21random_from_to_kernelIPNS_17CUDAGeneratorImplEEEvRNS_18TensorIteratorBaseEmlT_ENKUlvE_clEvENKUlvE8_clEvEUlP25hiprandStatePhilox4_32_10E0_ZNS1_27distribution_nullary_kernelIN3c108BFloat16Ej15HIP_vector_typeIjLj4EES7_SF_ZZZNS5_IS7_EEvS9_mlSA_ENKSB_clEvENKSC_clEvEUljE_EEvS9_T2_RKT3_T4_EUlijE0_EEvlNS_15PhiloxCudaStateET1_SM_
; %bb.0:
	s_clause 0x2
	s_load_b64 s[4:5], s[0:1], 0x10
	s_load_b128 s[16:19], s[0:1], 0x0
	s_load_b32 s2, s[0:1], 0x20
	s_waitcnt lgkmcnt(0)
	v_dual_mov_b32 v2, s4 :: v_dual_mov_b32 v3, s5
	v_dual_mov_b32 v13, s18 :: v_dual_mov_b32 v14, s19
	s_bitcmp0_b32 s2, 0
	s_mov_b32 s2, 0
	s_cbranch_scc1 .LBB39_2
; %bb.1:
	v_dual_mov_b32 v1, s4 :: v_dual_mov_b32 v2, s5
	v_dual_mov_b32 v4, s18 :: v_dual_mov_b32 v5, s19
	s_load_b64 s[4:5], s[0:1], 0x18
	flat_load_b64 v[2:3], v[1:2]
	flat_load_b64 v[13:14], v[4:5]
	s_waitcnt vmcnt(1) lgkmcnt(0)
	v_add_co_u32 v2, vcc_lo, v2, s4
	v_add_co_ci_u32_e32 v3, vcc_lo, s5, v3, vcc_lo
.LBB39_2:
	s_clause 0x1
	s_load_b32 s3, s[0:1], 0x15c
	s_load_b32 s4, s[0:1], 0x150
	s_waitcnt lgkmcnt(0)
	s_and_b32 s5, s3, 0xffff
	s_add_u32 s6, s16, -1
	s_mul_i32 s28, s4, s5
	s_addc_u32 s3, s17, -1
	s_lshl_b32 s29, s28, 2
	s_cmp_lg_u64 s[2:3], 0
	s_cbranch_scc0 .LBB39_87
; %bb.3:
	v_cvt_f32_ubyte0_e32 v1, 0
	v_cvt_f32_u32_e32 v4, s29
	s_sub_u32 s8, 0, s29
	s_subb_u32 s9, 0, 0
	s_delay_alu instid0(VALU_DEP_1) | instskip(NEXT) | instid1(VALU_DEP_1)
	v_fmamk_f32 v1, v1, 0x4f800000, v4
	v_rcp_f32_e32 v1, v1
	s_waitcnt_depctr 0xfff
	v_mul_f32_e32 v1, 0x5f7ffffc, v1
	s_delay_alu instid0(VALU_DEP_1) | instskip(NEXT) | instid1(VALU_DEP_1)
	v_mul_f32_e32 v4, 0x2f800000, v1
	v_trunc_f32_e32 v4, v4
	s_delay_alu instid0(VALU_DEP_1) | instskip(SKIP_1) | instid1(VALU_DEP_2)
	v_fmamk_f32 v1, v4, 0xcf800000, v1
	v_cvt_u32_f32_e32 v4, v4
	v_cvt_u32_f32_e32 v1, v1
	s_delay_alu instid0(VALU_DEP_2) | instskip(NEXT) | instid1(VALU_DEP_2)
	v_readfirstlane_b32 s2, v4
	v_readfirstlane_b32 s7, v1
	s_delay_alu instid0(VALU_DEP_2) | instskip(NEXT) | instid1(VALU_DEP_1)
	s_mul_i32 s10, s8, s2
	s_mul_hi_u32 s12, s8, s7
	s_mul_i32 s11, s9, s7
	s_add_i32 s10, s12, s10
	s_mul_i32 s13, s8, s7
	s_add_i32 s10, s10, s11
	s_mul_hi_u32 s12, s7, s13
	s_mul_hi_u32 s14, s2, s13
	s_mul_i32 s11, s2, s13
	s_mul_hi_u32 s13, s7, s10
	s_mul_i32 s7, s7, s10
	s_mul_hi_u32 s18, s2, s10
	s_add_u32 s7, s12, s7
	s_addc_u32 s12, 0, s13
	s_add_u32 s7, s7, s11
	s_mul_i32 s10, s2, s10
	s_addc_u32 s7, s12, s14
	s_addc_u32 s11, s18, 0
	s_add_u32 s7, s7, s10
	s_addc_u32 s10, 0, s11
	v_add_co_u32 v1, s7, v1, s7
	s_delay_alu instid0(VALU_DEP_1) | instskip(SKIP_1) | instid1(VALU_DEP_1)
	s_cmp_lg_u32 s7, 0
	s_addc_u32 s2, s2, s10
	v_readfirstlane_b32 s7, v1
	s_mul_i32 s10, s8, s2
	s_delay_alu instid0(VALU_DEP_1)
	s_mul_hi_u32 s11, s8, s7
	s_mul_i32 s9, s9, s7
	s_add_i32 s10, s11, s10
	s_mul_i32 s8, s8, s7
	s_add_i32 s10, s10, s9
	s_mul_hi_u32 s11, s2, s8
	s_mul_i32 s12, s2, s8
	s_mul_hi_u32 s8, s7, s8
	s_mul_hi_u32 s13, s7, s10
	s_mul_i32 s7, s7, s10
	s_mul_hi_u32 s9, s2, s10
	s_add_u32 s7, s8, s7
	s_addc_u32 s8, 0, s13
	s_add_u32 s7, s7, s12
	s_mul_i32 s10, s2, s10
	s_addc_u32 s7, s8, s11
	s_addc_u32 s8, s9, 0
	s_add_u32 s7, s7, s10
	s_addc_u32 s8, 0, s8
	v_add_co_u32 v1, s7, v1, s7
	s_delay_alu instid0(VALU_DEP_1) | instskip(SKIP_2) | instid1(VALU_DEP_1)
	s_cmp_lg_u32 s7, 0
	s_addc_u32 s7, s2, s8
	s_ashr_i32 s8, s3, 31
	v_readfirstlane_b32 s10, v1
	s_add_u32 s2, s6, s8
	s_mov_b32 s9, s8
	s_addc_u32 s3, s3, s8
	s_delay_alu instid0(SALU_CYCLE_1) | instskip(NEXT) | instid1(SALU_CYCLE_1)
	s_xor_b64 s[2:3], s[2:3], s[8:9]
	s_mul_i32 s12, s2, s7
	s_mul_hi_u32 s13, s2, s10
	s_mul_hi_u32 s11, s2, s7
	s_mul_hi_u32 s18, s3, s10
	s_mul_i32 s10, s3, s10
	s_add_u32 s12, s13, s12
	s_addc_u32 s11, 0, s11
	s_mul_hi_u32 s14, s3, s7
	s_add_u32 s10, s12, s10
	s_mul_i32 s7, s3, s7
	s_addc_u32 s10, s11, s18
	s_addc_u32 s11, s14, 0
	s_add_u32 s7, s10, s7
	s_addc_u32 s10, 0, s11
	s_mul_i32 s12, s29, s7
	s_add_u32 s11, s7, 1
	v_sub_co_u32 v1, s2, s2, s12
	s_mul_hi_u32 s12, s29, s7
	s_addc_u32 s13, s10, 0
	s_mul_i32 s14, s29, s10
	s_delay_alu instid0(VALU_DEP_1)
	v_sub_co_u32 v4, s18, v1, s29
	s_add_u32 s19, s7, 2
	s_addc_u32 s20, s10, 0
	s_add_i32 s12, s12, s14
	s_cmp_lg_u32 s2, 0
	v_readfirstlane_b32 s2, v4
	s_subb_u32 s3, s3, s12
	s_cmp_lg_u32 s18, 0
	s_subb_u32 s12, s3, 0
	s_delay_alu instid0(VALU_DEP_1) | instskip(SKIP_4) | instid1(SALU_CYCLE_1)
	s_cmp_ge_u32 s2, s29
	s_cselect_b32 s2, -1, 0
	s_cmp_eq_u32 s12, 0
	v_readfirstlane_b32 s12, v1
	s_cselect_b32 s2, s2, -1
	s_cmp_lg_u32 s2, 0
	s_cselect_b32 s2, s19, s11
	s_cselect_b32 s11, s20, s13
	s_cmp_ge_u32 s12, s29
	s_cselect_b32 s12, -1, 0
	s_cmp_eq_u32 s3, 0
	s_cselect_b32 s3, s12, -1
	s_delay_alu instid0(SALU_CYCLE_1) | instskip(SKIP_2) | instid1(SALU_CYCLE_1)
	s_cmp_lg_u32 s3, 0
	s_cselect_b32 s3, s11, s10
	s_cselect_b32 s2, s2, s7
	s_xor_b64 s[2:3], s[2:3], s[8:9]
	s_delay_alu instid0(SALU_CYCLE_1)
	s_sub_u32 s2, s2, s8
	s_subb_u32 s3, s3, s8
	s_cbranch_execnz .LBB39_5
.LBB39_4:
	v_cvt_f32_u32_e32 v1, s29
	s_sub_i32 s3, 0, s29
	s_delay_alu instid0(VALU_DEP_1) | instskip(SKIP_2) | instid1(VALU_DEP_1)
	v_rcp_iflag_f32_e32 v1, v1
	s_waitcnt_depctr 0xfff
	v_mul_f32_e32 v1, 0x4f7ffffe, v1
	v_cvt_u32_f32_e32 v1, v1
	s_delay_alu instid0(VALU_DEP_1) | instskip(NEXT) | instid1(VALU_DEP_1)
	v_readfirstlane_b32 s2, v1
	s_mul_i32 s3, s3, s2
	s_delay_alu instid0(SALU_CYCLE_1) | instskip(NEXT) | instid1(SALU_CYCLE_1)
	s_mul_hi_u32 s3, s2, s3
	s_add_i32 s2, s2, s3
	s_delay_alu instid0(SALU_CYCLE_1) | instskip(NEXT) | instid1(SALU_CYCLE_1)
	s_mul_hi_u32 s2, s6, s2
	s_mul_i32 s3, s2, s29
	s_delay_alu instid0(SALU_CYCLE_1)
	s_sub_i32 s3, s6, s3
	s_add_i32 s6, s2, 1
	s_sub_i32 s7, s3, s29
	s_cmp_ge_u32 s3, s29
	s_cselect_b32 s2, s6, s2
	s_cselect_b32 s3, s7, s3
	s_add_i32 s6, s2, 1
	s_cmp_ge_u32 s3, s29
	s_mov_b32 s3, 0
	s_cselect_b32 s2, s6, s2
.LBB39_5:
	v_mov_b32_e32 v1, 0
	s_add_u32 s2, s2, 1
	s_addc_u32 s3, s3, 0
	s_mul_hi_u32 s6, s28, s2
	s_mul_i32 s3, s28, s3
	v_mad_u64_u32 v[15:16], null, s5, s15, v[0:1]
	s_mul_hi_u32 s4, s4, s5
	s_add_i32 s3, s6, s3
	s_mul_i32 s4, s4, s2
	s_mul_i32 s2, s28, s2
	s_add_i32 s3, s3, s4
	s_mov_b32 s4, exec_lo
	s_lshl_b64 s[2:3], s[2:3], 2
	s_delay_alu instid0(SALU_CYCLE_1)
	v_cmpx_gt_i64_e64 s[2:3], v[15:16]
	s_cbranch_execz .LBB39_86
; %bb.6:
	v_alignbit_b32 v19, v3, v2, 2
	v_mad_u64_u32 v[6:7], null, 0xcd9e8d57, v15, 0
	v_lshrrev_b32_e32 v20, 2, v3
	s_waitcnt vmcnt(0)
	v_dual_mov_b32 v11, v14 :: v_dual_add_nc_u32 v28, 0x8ff34781, v13
	v_mad_u64_u32 v[4:5], null, 0xd2511f53, v19, 0
	v_add_co_u32 v22, null, 0x9e3779b9, v13
	v_xor3_b32 v3, v13, v7, v20
	s_delay_alu instid0(VALU_DEP_4) | instskip(SKIP_2) | instid1(VALU_DEP_4)
	v_add_co_u32 v21, null, 0xbb67ae85, v11
	v_add_co_u32 v23, null, 0x3c6ef372, v13
	v_xor_b32_e32 v0, v5, v14
	v_mad_u64_u32 v[7:8], null, 0xd2511f53, v3, 0
	v_add_co_u32 v24, null, 0x76cf5d0a, v11
	s_delay_alu instid0(VALU_DEP_3) | instskip(SKIP_2) | instid1(VALU_DEP_3)
	v_xor_b32_e32 v0, v0, v16
	v_add_co_u32 v25, null, 0x32370b8f, v11
	v_add_co_u32 v26, null, 0xdaa66d2b, v13
	v_mad_u64_u32 v[9:10], null, 0xcd9e8d57, v0, 0
	v_xor3_b32 v0, v21, v8, v4
	v_dual_mov_b32 v38, v15 :: v_dual_and_b32 v27, 3, v2
	v_add_co_u32 v29, null, 0x78dde6e4, v13
	s_delay_alu instid0(VALU_DEP_3) | instskip(SKIP_3) | instid1(VALU_DEP_3)
	v_mad_u64_u32 v[3:4], null, 0xcd9e8d57, v0, 0
	v_xor3_b32 v8, v22, v10, v6
	v_add_co_u32 v31, null, 0xed9eba14, v11
	v_add_co_u32 v33, null, 0xa9066899, v11
	v_mad_u64_u32 v[5:6], null, 0xd2511f53, v8, 0
	v_xor3_b32 v0, v23, v4, v9
	v_add_co_u32 v34, null, 0x1715609d, v13
	v_add_co_u32 v35, null, 0xb54cda56, v13
	;; [unrolled: 1-line block ×3, first 2 shown]
	v_xor3_b32 v4, v24, v6, v7
	v_mad_u64_u32 v[6:7], null, 0xd2511f53, v0, 0
	s_load_b256 s[4:11], s[0:1], 0x30
	v_add_co_u32 v32, null, 0x5384540f, v13
	s_delay_alu instid0(VALU_DEP_3) | instskip(SKIP_1) | instid1(VALU_DEP_4)
	v_mad_u64_u32 v[8:9], null, 0xcd9e8d57, v4, 0
	v_add_co_u32 v39, null, 0x1fd5c5a3, v11
	v_xor3_b32 v0, v25, v7, v5
	v_add_co_u32 v36, null, 0xf1bbcdc8, v13
	v_add_co_u32 v40, null, 0xdb3d7428, v11
	v_xor3_b32 v7, v26, v9, v3
	s_delay_alu instid0(VALU_DEP_4) | instskip(SKIP_2) | instid1(VALU_DEP_2)
	v_mad_u64_u32 v[2:3], null, 0xcd9e8d57, v0, 0
	s_add_u32 s18, s0, 48
	s_load_b64 s[20:21], s[0:1], 0x148
	v_mad_u64_u32 v[4:5], null, 0xd2511f53, v7, 0
	s_clause 0x1
	s_load_b64 s[22:23], s[0:1], 0xf4
	s_load_b128 s[12:15], s[0:1], 0x138
	s_addc_u32 s19, s1, 0
	v_xor3_b32 v0, v29, v3, v8
	s_waitcnt lgkmcnt(0)
	s_add_i32 s24, s4, -1
	v_mov_b32_e32 v41, v16
	s_cmp_gt_u32 s24, 1
	v_xor3_b32 v3, v31, v5, v6
	v_mad_u64_u32 v[5:6], null, 0xd2511f53, v0, 0
	s_cselect_b32 s11, -1, 0
	s_cmp_lg_u32 s4, 0
	s_delay_alu instid0(VALU_DEP_2) | instskip(SKIP_2) | instid1(VALU_DEP_2)
	v_mad_u64_u32 v[7:8], null, 0xcd9e8d57, v3, 0
	s_cselect_b32 s31, -1, 0
	s_add_u32 s0, s0, 0xf4
	v_xor3_b32 v0, v33, v6, v4
	s_addc_u32 s1, s1, 0
	s_min_u32 s25, s24, 15
	s_cmp_gt_u32 s4, 1
	s_delay_alu instid0(VALU_DEP_2) | instskip(SKIP_3) | instid1(VALU_DEP_2)
	v_xor3_b32 v4, v34, v8, v2
	v_mad_u64_u32 v[2:3], null, 0xcd9e8d57, v0, 0
	s_cselect_b32 s4, -1, 0
	s_add_i32 s25, s25, 1
	v_mad_u64_u32 v[8:9], null, 0xd2511f53, v4, 0
	s_lshl_b32 s33, s28, 1
	s_and_b32 s34, s25, 3
	s_delay_alu instid0(VALU_DEP_2) | instskip(SKIP_3) | instid1(VALU_DEP_2)
	v_xor3_b32 v0, v35, v3, v7
	s_cmp_lg_u32 s24, 2
	s_mov_b32 s30, 0
	s_cselect_b32 s35, -1, 0
	v_xor3_b32 v7, v37, v9, v5
	v_mad_u64_u32 v[3:4], null, 0xd2511f53, v0, 0
	s_and_b32 s36, s25, 28
	s_cmp_lg_u32 s34, 0
	s_delay_alu instid0(VALU_DEP_2) | instskip(SKIP_2) | instid1(VALU_DEP_2)
	v_mad_u64_u32 v[5:6], null, 0xcd9e8d57, v7, 0
	s_mul_i32 s37, s28, 3
	s_cselect_b32 s38, -1, 0
	v_xor3_b32 v0, v39, v4, v8
	s_delay_alu instid0(VALU_DEP_2) | instskip(NEXT) | instid1(VALU_DEP_2)
	v_xor3_b32 v2, v32, v6, v2
	v_mad_u64_u32 v[6:7], null, 0xcd9e8d57, v0, 0
	s_delay_alu instid0(VALU_DEP_2) | instskip(NEXT) | instid1(VALU_DEP_2)
	v_mad_u64_u32 v[8:9], null, 0xd2511f53, v2, 0
	v_xor3_b32 v0, v36, v7, v5
	s_delay_alu instid0(VALU_DEP_2) | instskip(NEXT) | instid1(VALU_DEP_2)
	v_xor3_b32 v2, v40, v9, v3
	v_mad_u64_u32 v[9:10], null, 0xd2511f53, v0, 0
	v_add_nc_u32_e32 v30, 0x96a522ad, v14
	s_delay_alu instid0(VALU_DEP_3) | instskip(NEXT) | instid1(VALU_DEP_3)
	v_mad_u64_u32 v[3:4], null, 0xcd9e8d57, v2, 0
	v_mov_b32_e32 v5, v9
	s_delay_alu instid0(VALU_DEP_2) | instskip(NEXT) | instid1(VALU_DEP_4)
	v_xor3_b32 v2, v4, v6, v28
	v_xor3_b32 v4, v10, v8, v30
	s_branch .LBB39_9
.LBB39_7:                               ;   in Loop: Header=BB39_9 Depth=1
	s_or_b32 exec_lo, exec_lo, s24
	s_delay_alu instid0(VALU_DEP_1) | instskip(SKIP_1) | instid1(VALU_DEP_1)
	v_add_co_u32 v3, vcc_lo, v0, s20
	v_add_co_ci_u32_e32 v4, vcc_lo, s21, v1, vcc_lo
	v_xor_b32_e32 v0, v3, v4
	v_cls_i32_e32 v5, v4
	s_delay_alu instid0(VALU_DEP_2) | instskip(NEXT) | instid1(VALU_DEP_2)
	v_ashrrev_i32_e32 v0, 31, v0
	v_add_nc_u32_e32 v5, -1, v5
	s_delay_alu instid0(VALU_DEP_2) | instskip(NEXT) | instid1(VALU_DEP_1)
	v_add_nc_u32_e32 v0, 32, v0
	v_min_u32_e32 v0, v5, v0
	s_delay_alu instid0(VALU_DEP_1) | instskip(SKIP_1) | instid1(VALU_DEP_2)
	v_lshlrev_b64 v[3:4], v0, v[3:4]
	v_sub_nc_u32_e32 v0, 32, v0
	v_min_u32_e32 v3, 1, v3
	s_delay_alu instid0(VALU_DEP_1) | instskip(NEXT) | instid1(VALU_DEP_1)
	v_or_b32_e32 v3, v4, v3
	v_cvt_f32_i32_e32 v3, v3
	s_delay_alu instid0(VALU_DEP_1) | instskip(NEXT) | instid1(VALU_DEP_1)
	v_ldexp_f32 v0, v3, v0
	v_bfe_u32 v3, v0, 16, 1
	s_delay_alu instid0(VALU_DEP_1)
	v_add3_u32 v0, v0, v3, 0x7fff
	global_store_d16_hi_b16 v2, v0, s[12:13]
.LBB39_8:                               ;   in Loop: Header=BB39_9 Depth=1
	s_or_b32 exec_lo, exec_lo, s39
	v_add_co_u32 v15, vcc_lo, v15, s29
	v_add_co_ci_u32_e32 v16, vcc_lo, 0, v16, vcc_lo
	v_mov_b32_e32 v9, v17
	v_dual_mov_b32 v2, v6 :: v_dual_mov_b32 v3, v7
	s_delay_alu instid0(VALU_DEP_3) | instskip(NEXT) | instid1(VALU_DEP_3)
	v_cmp_le_i64_e32 vcc_lo, s[2:3], v[15:16]
	v_dual_mov_b32 v4, v8 :: v_dual_mov_b32 v5, v9
	s_waitcnt_vscnt null, 0x0
	s_barrier
	buffer_gl0_inv
	s_or_b32 s30, vcc_lo, s30
	s_delay_alu instid0(SALU_CYCLE_1)
	s_and_not1_b32 exec_lo, exec_lo, s30
	s_cbranch_execz .LBB39_86
.LBB39_9:                               ; =>This Loop Header: Depth=1
                                        ;     Child Loop BB39_24 Depth 2
                                        ;     Child Loop BB39_29 Depth 2
	;; [unrolled: 1-line block ×8, first 2 shown]
	v_add_co_u32 v19, vcc_lo, v19, 1
	s_delay_alu instid0(VALU_DEP_1) | instskip(SKIP_1) | instid1(VALU_DEP_3)
	v_cndmask_b32_e64 v0, 0, 1, vcc_lo
	v_add_co_ci_u32_e32 v20, vcc_lo, 0, v20, vcc_lo
	v_mad_u64_u32 v[6:7], null, 0xd2511f53, v19, 0
	s_mov_b32 s24, exec_lo
	s_delay_alu instid0(VALU_DEP_2) | instskip(SKIP_1) | instid1(VALU_DEP_1)
	v_cmp_eq_u32_e32 vcc_lo, 0, v20
	v_cndmask_b32_e32 v0, 0, v0, vcc_lo
	v_add_nc_u32_e32 v38, v0, v38
	s_delay_alu instid0(VALU_DEP_1) | instskip(SKIP_2) | instid1(VALU_DEP_1)
	v_cmp_eq_u32_e32 vcc_lo, 0, v38
	v_mad_u64_u32 v[8:9], null, 0xcd9e8d57, v38, 0
	v_cndmask_b32_e32 v0, 0, v0, vcc_lo
	v_add_nc_u32_e32 v41, v0, v41
	v_xor_b32_e32 v0, v7, v14
	s_delay_alu instid0(VALU_DEP_4) | instskip(NEXT) | instid1(VALU_DEP_2)
	v_xor3_b32 v7, v9, v13, v20
	v_xor_b32_e32 v0, v41, v0
	s_delay_alu instid0(VALU_DEP_2) | instskip(NEXT) | instid1(VALU_DEP_2)
	v_mad_u64_u32 v[9:10], null, 0xd2511f53, v7, 0
	v_mad_u64_u32 v[11:12], null, 0xcd9e8d57, v0, 0
	s_delay_alu instid0(VALU_DEP_2) | instskip(NEXT) | instid1(VALU_DEP_2)
	v_xor3_b32 v0, v21, v10, v6
	v_xor3_b32 v8, v22, v12, v8
	s_delay_alu instid0(VALU_DEP_2) | instskip(NEXT) | instid1(VALU_DEP_2)
	v_mad_u64_u32 v[6:7], null, 0xcd9e8d57, v0, 0
	v_mad_u64_u32 v[17:18], null, 0xd2511f53, v8, 0
	s_delay_alu instid0(VALU_DEP_2) | instskip(NEXT) | instid1(VALU_DEP_2)
	v_xor3_b32 v0, v23, v7, v11
	v_xor3_b32 v11, v24, v18, v9
	;; [unrolled: 6-line block ×9, first 2 shown]
	s_delay_alu instid0(VALU_DEP_2)
	v_mov_b32_e32 v8, v12
	v_cmpx_lt_i32_e32 1, v27
	s_xor_b32 s24, exec_lo, s24
	s_cbranch_execnz .LBB39_12
; %bb.10:                               ;   in Loop: Header=BB39_9 Depth=1
	s_and_not1_saveexec_b32 s24, s24
	s_cbranch_execnz .LBB39_17
.LBB39_11:                              ;   in Loop: Header=BB39_9 Depth=1
	s_or_b32 exec_lo, exec_lo, s24
	s_delay_alu instid0(SALU_CYCLE_1)
	s_mov_b32 s39, exec_lo
	v_cmpx_gt_i64_e64 s[16:17], v[15:16]
	s_cbranch_execnz .LBB39_20
	s_branch .LBB39_36
.LBB39_12:                              ;   in Loop: Header=BB39_9 Depth=1
	s_mov_b32 s25, exec_lo
	v_cmpx_lt_i32_e32 2, v27
	s_xor_b32 s25, exec_lo, s25
; %bb.13:                               ;   in Loop: Header=BB39_9 Depth=1
	v_dual_mov_b32 v9, v5 :: v_dual_mov_b32 v10, v6
	v_mov_b32_e32 v11, v7
	s_delay_alu instid0(VALU_DEP_2) | instskip(NEXT) | instid1(VALU_DEP_2)
	v_dual_mov_b32 v2, v9 :: v_dual_mov_b32 v3, v10
	v_dual_mov_b32 v4, v11 :: v_dual_mov_b32 v5, v12
; %bb.14:                               ;   in Loop: Header=BB39_9 Depth=1
	s_and_not1_saveexec_b32 s25, s25
; %bb.15:                               ;   in Loop: Header=BB39_9 Depth=1
	s_delay_alu instid0(VALU_DEP_1)
	v_dual_mov_b32 v2, v4 :: v_dual_mov_b32 v3, v5
	v_dual_mov_b32 v4, v6 :: v_dual_mov_b32 v5, v7
; %bb.16:                               ;   in Loop: Header=BB39_9 Depth=1
	s_or_b32 exec_lo, exec_lo, s25
	s_and_not1_saveexec_b32 s24, s24
	s_cbranch_execz .LBB39_11
.LBB39_17:                              ;   in Loop: Header=BB39_9 Depth=1
	s_mov_b32 s25, exec_lo
	v_cmpx_eq_u32_e32 1, v27
; %bb.18:                               ;   in Loop: Header=BB39_9 Depth=1
	v_dual_mov_b32 v2, v3 :: v_dual_mov_b32 v3, v4
	v_dual_mov_b32 v4, v5 :: v_dual_mov_b32 v5, v6
; %bb.19:                               ;   in Loop: Header=BB39_9 Depth=1
	s_or_b32 exec_lo, exec_lo, s25
	s_delay_alu instid0(SALU_CYCLE_1) | instskip(NEXT) | instid1(SALU_CYCLE_1)
	s_or_b32 exec_lo, exec_lo, s24
	s_mov_b32 s39, exec_lo
	v_cmpx_gt_i64_e64 s[16:17], v[15:16]
	s_cbranch_execz .LBB39_36
.LBB39_20:                              ;   in Loop: Header=BB39_9 Depth=1
	s_and_not1_b32 vcc_lo, exec_lo, s11
	s_cbranch_vccnz .LBB39_26
; %bb.21:                               ;   in Loop: Header=BB39_9 Depth=1
	v_mov_b32_e32 v9, 0
	s_and_not1_b32 vcc_lo, exec_lo, s31
	s_cbranch_vccnz .LBB39_30
; %bb.22:                               ;   in Loop: Header=BB39_9 Depth=1
	s_and_not1_b32 vcc_lo, exec_lo, s35
	s_mov_b32 s24, 0
	s_cbranch_vccnz .LBB39_27
; %bb.23:                               ;   in Loop: Header=BB39_9 Depth=1
	v_dual_mov_b32 v9, 0 :: v_dual_mov_b32 v0, v15
	s_mov_b32 s40, 0
	s_mov_b64 s[24:25], s[18:19]
	s_mov_b64 s[26:27], s[0:1]
.LBB39_24:                              ;   Parent Loop BB39_9 Depth=1
                                        ; =>  This Inner Loop Header: Depth=2
	s_clause 0x1
	s_load_b256 s[44:51], s[24:25], 0x4
	s_load_b128 s[52:55], s[24:25], 0x24
	s_load_b128 s[56:59], s[26:27], 0x0
	s_add_u32 s24, s24, 48
	s_addc_u32 s25, s25, 0
	s_add_i32 s40, s40, 4
	s_add_u32 s26, s26, 16
	s_addc_u32 s27, s27, 0
	s_cmp_lg_u32 s36, s40
	s_waitcnt lgkmcnt(0)
	v_mul_hi_u32 v10, s45, v0
	s_delay_alu instid0(VALU_DEP_1) | instskip(NEXT) | instid1(VALU_DEP_1)
	v_add_nc_u32_e32 v10, v0, v10
	v_lshrrev_b32_e32 v10, s46, v10
	s_delay_alu instid0(VALU_DEP_1) | instskip(SKIP_1) | instid1(VALU_DEP_2)
	v_mul_hi_u32 v11, s48, v10
	v_mul_lo_u32 v42, v10, s44
	v_add_nc_u32_e32 v11, v10, v11
	s_delay_alu instid0(VALU_DEP_2) | instskip(NEXT) | instid1(VALU_DEP_2)
	v_sub_nc_u32_e32 v42, v0, v42
	v_lshrrev_b32_e32 v11, s49, v11
	s_delay_alu instid0(VALU_DEP_2) | instskip(NEXT) | instid1(VALU_DEP_2)
	v_mul_lo_u32 v42, v42, s56
	v_mul_hi_u32 v12, s51, v11
	v_mul_lo_u32 v43, v11, s47
	s_delay_alu instid0(VALU_DEP_2) | instskip(NEXT) | instid1(VALU_DEP_2)
	v_add_nc_u32_e32 v12, v11, v12
	v_sub_nc_u32_e32 v10, v10, v43
	s_delay_alu instid0(VALU_DEP_2) | instskip(NEXT) | instid1(VALU_DEP_2)
	v_lshrrev_b32_e32 v12, s52, v12
	v_mul_lo_u32 v10, v10, s57
	s_delay_alu instid0(VALU_DEP_2) | instskip(NEXT) | instid1(VALU_DEP_2)
	v_mul_hi_u32 v18, s54, v12
	v_add3_u32 v9, v42, v9, v10
	s_delay_alu instid0(VALU_DEP_2) | instskip(NEXT) | instid1(VALU_DEP_1)
	v_add_nc_u32_e32 v18, v12, v18
	v_lshrrev_b32_e32 v0, s55, v18
	v_mul_lo_u32 v18, v12, s50
	s_delay_alu instid0(VALU_DEP_2) | instskip(NEXT) | instid1(VALU_DEP_2)
	v_mul_lo_u32 v44, v0, s53
	v_sub_nc_u32_e32 v11, v11, v18
	s_delay_alu instid0(VALU_DEP_2) | instskip(NEXT) | instid1(VALU_DEP_2)
	v_sub_nc_u32_e32 v12, v12, v44
	v_mul_lo_u32 v11, v11, s58
	s_delay_alu instid0(VALU_DEP_2) | instskip(NEXT) | instid1(VALU_DEP_1)
	v_mul_lo_u32 v12, v12, s59
	v_add3_u32 v9, v11, v9, v12
	s_cbranch_scc1 .LBB39_24
; %bb.25:                               ;   in Loop: Header=BB39_9 Depth=1
	s_mov_b32 s24, s36
	s_and_not1_b32 vcc_lo, exec_lo, s38
	s_cbranch_vccz .LBB39_28
	s_branch .LBB39_30
.LBB39_26:                              ;   in Loop: Header=BB39_9 Depth=1
                                        ; implicit-def: $vgpr9
	s_branch .LBB39_31
.LBB39_27:                              ;   in Loop: Header=BB39_9 Depth=1
	v_mov_b32_e32 v0, v15
	s_and_not1_b32 vcc_lo, exec_lo, s38
	s_cbranch_vccnz .LBB39_30
.LBB39_28:                              ;   in Loop: Header=BB39_9 Depth=1
	s_lshl_b32 s25, s24, 2
	s_mul_i32 s26, s24, 12
	s_add_u32 s24, s0, s25
	s_addc_u32 s25, s1, 0
	s_add_u32 s26, s18, s26
	s_addc_u32 s27, s19, 0
	s_mov_b32 s40, s34
	.p2align	6
.LBB39_29:                              ;   Parent Loop BB39_9 Depth=1
                                        ; =>  This Inner Loop Header: Depth=2
	s_clause 0x1
	s_load_b64 s[42:43], s[26:27], 0x4
	s_load_b32 s41, s[26:27], 0xc
	s_add_u32 s26, s26, 12
	s_addc_u32 s27, s27, 0
	s_waitcnt lgkmcnt(0)
	v_mul_hi_u32 v10, s43, v0
	s_load_b32 s43, s[24:25], 0x0
	s_add_u32 s24, s24, 4
	s_addc_u32 s25, s25, 0
	s_add_i32 s40, s40, -1
	s_delay_alu instid0(SALU_CYCLE_1) | instskip(NEXT) | instid1(VALU_DEP_1)
	s_cmp_lg_u32 s40, 0
	v_add_nc_u32_e32 v10, v0, v10
	s_delay_alu instid0(VALU_DEP_1) | instskip(NEXT) | instid1(VALU_DEP_1)
	v_lshrrev_b32_e32 v12, s41, v10
	v_mul_lo_u32 v10, v12, s42
	s_delay_alu instid0(VALU_DEP_1) | instskip(SKIP_1) | instid1(VALU_DEP_1)
	v_sub_nc_u32_e32 v0, v0, v10
	s_waitcnt lgkmcnt(0)
	v_mad_u64_u32 v[10:11], null, v0, s43, v[9:10]
	s_delay_alu instid0(VALU_DEP_1)
	v_dual_mov_b32 v0, v12 :: v_dual_mov_b32 v9, v10
	s_cbranch_scc1 .LBB39_29
.LBB39_30:                              ;   in Loop: Header=BB39_9 Depth=1
	s_cbranch_execnz .LBB39_33
.LBB39_31:                              ;   in Loop: Header=BB39_9 Depth=1
	v_mul_hi_u32 v0, v15, s6
	s_and_not1_b32 vcc_lo, exec_lo, s4
	s_delay_alu instid0(VALU_DEP_1) | instskip(NEXT) | instid1(VALU_DEP_1)
	v_add_nc_u32_e32 v0, v0, v15
	v_lshrrev_b32_e32 v0, s7, v0
	s_delay_alu instid0(VALU_DEP_1) | instskip(NEXT) | instid1(VALU_DEP_1)
	v_mul_lo_u32 v9, v0, s5
	v_sub_nc_u32_e32 v9, v15, v9
	s_delay_alu instid0(VALU_DEP_1)
	v_mul_lo_u32 v9, v9, s22
	s_cbranch_vccnz .LBB39_33
; %bb.32:                               ;   in Loop: Header=BB39_9 Depth=1
	v_mul_hi_u32 v10, s9, v0
	s_delay_alu instid0(VALU_DEP_1) | instskip(NEXT) | instid1(VALU_DEP_1)
	v_add_nc_u32_e32 v10, v0, v10
	v_lshrrev_b32_e32 v10, s10, v10
	s_delay_alu instid0(VALU_DEP_1) | instskip(NEXT) | instid1(VALU_DEP_1)
	v_mul_lo_u32 v10, v10, s8
	v_sub_nc_u32_e32 v0, v0, v10
	s_delay_alu instid0(VALU_DEP_1) | instskip(NEXT) | instid1(VALU_DEP_1)
	v_mad_u64_u32 v[10:11], null, v0, s23, v[9:10]
	v_mov_b32_e32 v9, v10
.LBB39_33:                              ;   in Loop: Header=BB39_9 Depth=1
	v_mov_b32_e32 v0, v2
	s_mov_b32 s24, exec_lo
	s_delay_alu instid0(VALU_DEP_1)
	v_cmpx_le_u64_e64 s[14:15], v[0:1]
	s_cbranch_execz .LBB39_35
; %bb.34:                               ;   in Loop: Header=BB39_9 Depth=1
	v_cvt_f32_u32_e32 v2, s14
	s_sub_i32 s25, 0, s14
	s_delay_alu instid0(VALU_DEP_1) | instskip(SKIP_2) | instid1(VALU_DEP_1)
	v_rcp_iflag_f32_e32 v2, v2
	s_waitcnt_depctr 0xfff
	v_mul_f32_e32 v2, 0x4f7ffffe, v2
	v_cvt_u32_f32_e32 v2, v2
	s_delay_alu instid0(VALU_DEP_1) | instskip(NEXT) | instid1(VALU_DEP_1)
	v_mul_lo_u32 v10, s25, v2
	v_mul_hi_u32 v10, v2, v10
	s_delay_alu instid0(VALU_DEP_1) | instskip(NEXT) | instid1(VALU_DEP_1)
	v_add_nc_u32_e32 v2, v2, v10
	v_mul_hi_u32 v2, v0, v2
	s_delay_alu instid0(VALU_DEP_1) | instskip(NEXT) | instid1(VALU_DEP_1)
	v_mul_lo_u32 v2, v2, s14
	v_sub_nc_u32_e32 v0, v0, v2
	s_delay_alu instid0(VALU_DEP_1) | instskip(SKIP_1) | instid1(VALU_DEP_2)
	v_subrev_nc_u32_e32 v2, s14, v0
	v_cmp_le_u32_e32 vcc_lo, s14, v0
	v_cndmask_b32_e32 v0, v0, v2, vcc_lo
	s_delay_alu instid0(VALU_DEP_1) | instskip(SKIP_1) | instid1(VALU_DEP_2)
	v_subrev_nc_u32_e32 v2, s14, v0
	v_cmp_le_u32_e32 vcc_lo, s14, v0
	v_cndmask_b32_e32 v0, v0, v2, vcc_lo
.LBB39_35:                              ;   in Loop: Header=BB39_9 Depth=1
	s_or_b32 exec_lo, exec_lo, s24
	s_delay_alu instid0(VALU_DEP_1) | instskip(SKIP_1) | instid1(VALU_DEP_1)
	v_add_co_u32 v10, vcc_lo, v0, s20
	v_add_co_ci_u32_e32 v11, vcc_lo, s21, v1, vcc_lo
	v_xor_b32_e32 v0, v10, v11
	v_cls_i32_e32 v2, v11
	s_delay_alu instid0(VALU_DEP_2) | instskip(NEXT) | instid1(VALU_DEP_2)
	v_ashrrev_i32_e32 v0, 31, v0
	v_add_nc_u32_e32 v2, -1, v2
	s_delay_alu instid0(VALU_DEP_2) | instskip(NEXT) | instid1(VALU_DEP_1)
	v_add_nc_u32_e32 v0, 32, v0
	v_min_u32_e32 v0, v2, v0
	s_delay_alu instid0(VALU_DEP_1) | instskip(SKIP_1) | instid1(VALU_DEP_2)
	v_lshlrev_b64 v[10:11], v0, v[10:11]
	v_sub_nc_u32_e32 v0, 32, v0
	v_min_u32_e32 v2, 1, v10
	s_delay_alu instid0(VALU_DEP_1) | instskip(NEXT) | instid1(VALU_DEP_1)
	v_or_b32_e32 v2, v11, v2
	v_cvt_f32_i32_e32 v2, v2
	s_delay_alu instid0(VALU_DEP_1) | instskip(NEXT) | instid1(VALU_DEP_1)
	v_ldexp_f32 v0, v2, v0
	v_bfe_u32 v2, v0, 16, 1
	s_delay_alu instid0(VALU_DEP_1)
	v_add3_u32 v0, v0, v2, 0x7fff
	global_store_d16_hi_b16 v9, v0, s[12:13]
.LBB39_36:                              ;   in Loop: Header=BB39_9 Depth=1
	s_or_b32 exec_lo, exec_lo, s39
	v_add_co_u32 v9, vcc_lo, v15, s28
	v_add_co_ci_u32_e32 v10, vcc_lo, 0, v16, vcc_lo
	s_mov_b32 s39, exec_lo
	s_delay_alu instid0(VALU_DEP_1)
	v_cmpx_gt_i64_e64 s[16:17], v[9:10]
	s_cbranch_execz .LBB39_53
; %bb.37:                               ;   in Loop: Header=BB39_9 Depth=1
	s_and_not1_b32 vcc_lo, exec_lo, s11
	s_cbranch_vccnz .LBB39_43
; %bb.38:                               ;   in Loop: Header=BB39_9 Depth=1
	v_mov_b32_e32 v2, 0
	s_and_not1_b32 vcc_lo, exec_lo, s31
	s_cbranch_vccnz .LBB39_47
; %bb.39:                               ;   in Loop: Header=BB39_9 Depth=1
	s_and_not1_b32 vcc_lo, exec_lo, s35
	s_mov_b32 s24, 0
	s_cbranch_vccnz .LBB39_44
; %bb.40:                               ;   in Loop: Header=BB39_9 Depth=1
	v_mov_b32_e32 v2, 0
	v_mov_b32_e32 v0, v9
	s_mov_b32 s40, 0
	s_mov_b64 s[24:25], s[18:19]
	s_mov_b64 s[26:27], s[0:1]
.LBB39_41:                              ;   Parent Loop BB39_9 Depth=1
                                        ; =>  This Inner Loop Header: Depth=2
	s_clause 0x1
	s_load_b256 s[44:51], s[24:25], 0x4
	s_load_b128 s[52:55], s[24:25], 0x24
	s_load_b128 s[56:59], s[26:27], 0x0
	s_add_u32 s24, s24, 48
	s_addc_u32 s25, s25, 0
	s_add_i32 s40, s40, 4
	s_add_u32 s26, s26, 16
	s_addc_u32 s27, s27, 0
	s_cmp_eq_u32 s36, s40
	s_waitcnt lgkmcnt(0)
	v_mul_hi_u32 v10, s45, v0
	s_delay_alu instid0(VALU_DEP_1) | instskip(NEXT) | instid1(VALU_DEP_1)
	v_add_nc_u32_e32 v10, v0, v10
	v_lshrrev_b32_e32 v10, s46, v10
	s_delay_alu instid0(VALU_DEP_1) | instskip(SKIP_1) | instid1(VALU_DEP_2)
	v_mul_hi_u32 v11, s48, v10
	v_mul_lo_u32 v42, v10, s44
	v_add_nc_u32_e32 v11, v10, v11
	s_delay_alu instid0(VALU_DEP_2) | instskip(NEXT) | instid1(VALU_DEP_2)
	v_sub_nc_u32_e32 v42, v0, v42
	v_lshrrev_b32_e32 v11, s49, v11
	s_delay_alu instid0(VALU_DEP_2) | instskip(NEXT) | instid1(VALU_DEP_2)
	v_mul_lo_u32 v42, v42, s56
	v_mul_hi_u32 v12, s51, v11
	v_mul_lo_u32 v43, v11, s47
	s_delay_alu instid0(VALU_DEP_2) | instskip(NEXT) | instid1(VALU_DEP_2)
	v_add_nc_u32_e32 v12, v11, v12
	v_sub_nc_u32_e32 v10, v10, v43
	s_delay_alu instid0(VALU_DEP_2) | instskip(NEXT) | instid1(VALU_DEP_2)
	v_lshrrev_b32_e32 v12, s52, v12
	v_mul_lo_u32 v10, v10, s57
	s_delay_alu instid0(VALU_DEP_2) | instskip(NEXT) | instid1(VALU_DEP_2)
	v_mul_hi_u32 v18, s54, v12
	v_add3_u32 v2, v42, v2, v10
	s_delay_alu instid0(VALU_DEP_2) | instskip(NEXT) | instid1(VALU_DEP_1)
	v_add_nc_u32_e32 v18, v12, v18
	v_lshrrev_b32_e32 v0, s55, v18
	v_mul_lo_u32 v18, v12, s50
	s_delay_alu instid0(VALU_DEP_2) | instskip(NEXT) | instid1(VALU_DEP_2)
	v_mul_lo_u32 v44, v0, s53
	v_sub_nc_u32_e32 v11, v11, v18
	s_delay_alu instid0(VALU_DEP_2) | instskip(NEXT) | instid1(VALU_DEP_2)
	v_sub_nc_u32_e32 v12, v12, v44
	v_mul_lo_u32 v11, v11, s58
	s_delay_alu instid0(VALU_DEP_2) | instskip(NEXT) | instid1(VALU_DEP_1)
	v_mul_lo_u32 v12, v12, s59
	v_add3_u32 v2, v11, v2, v12
	s_cbranch_scc0 .LBB39_41
; %bb.42:                               ;   in Loop: Header=BB39_9 Depth=1
	s_mov_b32 s24, s36
	s_and_not1_b32 vcc_lo, exec_lo, s38
	s_cbranch_vccz .LBB39_45
	s_branch .LBB39_47
.LBB39_43:                              ;   in Loop: Header=BB39_9 Depth=1
                                        ; implicit-def: $vgpr2
	s_branch .LBB39_48
.LBB39_44:                              ;   in Loop: Header=BB39_9 Depth=1
	v_mov_b32_e32 v0, v9
	s_and_not1_b32 vcc_lo, exec_lo, s38
	s_cbranch_vccnz .LBB39_47
.LBB39_45:                              ;   in Loop: Header=BB39_9 Depth=1
	s_lshl_b32 s25, s24, 2
	s_mul_i32 s26, s24, 12
	s_add_u32 s24, s0, s25
	s_addc_u32 s25, s1, 0
	s_add_u32 s26, s18, s26
	s_addc_u32 s27, s19, 0
	s_mov_b32 s40, s34
	.p2align	6
.LBB39_46:                              ;   Parent Loop BB39_9 Depth=1
                                        ; =>  This Inner Loop Header: Depth=2
	s_clause 0x1
	s_load_b64 s[42:43], s[26:27], 0x4
	s_load_b32 s41, s[26:27], 0xc
	s_add_u32 s26, s26, 12
	s_addc_u32 s27, s27, 0
	s_waitcnt lgkmcnt(0)
	v_mul_hi_u32 v10, s43, v0
	s_load_b32 s43, s[24:25], 0x0
	s_add_u32 s24, s24, 4
	s_addc_u32 s25, s25, 0
	s_add_i32 s40, s40, -1
	s_delay_alu instid0(SALU_CYCLE_1) | instskip(NEXT) | instid1(VALU_DEP_1)
	s_cmp_lg_u32 s40, 0
	v_add_nc_u32_e32 v10, v0, v10
	s_delay_alu instid0(VALU_DEP_1) | instskip(NEXT) | instid1(VALU_DEP_1)
	v_lshrrev_b32_e32 v12, s41, v10
	v_mul_lo_u32 v10, v12, s42
	s_delay_alu instid0(VALU_DEP_1) | instskip(SKIP_1) | instid1(VALU_DEP_1)
	v_sub_nc_u32_e32 v0, v0, v10
	s_waitcnt lgkmcnt(0)
	v_mad_u64_u32 v[10:11], null, v0, s43, v[2:3]
	v_mov_b32_e32 v0, v12
	s_delay_alu instid0(VALU_DEP_2)
	v_mov_b32_e32 v2, v10
	s_cbranch_scc1 .LBB39_46
.LBB39_47:                              ;   in Loop: Header=BB39_9 Depth=1
	s_cbranch_execnz .LBB39_50
.LBB39_48:                              ;   in Loop: Header=BB39_9 Depth=1
	v_mul_hi_u32 v0, v9, s6
	s_and_not1_b32 vcc_lo, exec_lo, s4
	s_delay_alu instid0(VALU_DEP_1) | instskip(NEXT) | instid1(VALU_DEP_1)
	v_add_nc_u32_e32 v0, v0, v9
	v_lshrrev_b32_e32 v0, s7, v0
	s_delay_alu instid0(VALU_DEP_1) | instskip(NEXT) | instid1(VALU_DEP_1)
	v_mul_lo_u32 v2, v0, s5
	v_sub_nc_u32_e32 v2, v9, v2
	s_delay_alu instid0(VALU_DEP_1)
	v_mul_lo_u32 v2, v2, s22
	s_cbranch_vccnz .LBB39_50
; %bb.49:                               ;   in Loop: Header=BB39_9 Depth=1
	v_mul_hi_u32 v9, s9, v0
	s_delay_alu instid0(VALU_DEP_1) | instskip(NEXT) | instid1(VALU_DEP_1)
	v_add_nc_u32_e32 v9, v0, v9
	v_lshrrev_b32_e32 v9, s10, v9
	s_delay_alu instid0(VALU_DEP_1) | instskip(NEXT) | instid1(VALU_DEP_1)
	v_mul_lo_u32 v9, v9, s8
	v_sub_nc_u32_e32 v0, v0, v9
	s_delay_alu instid0(VALU_DEP_1) | instskip(NEXT) | instid1(VALU_DEP_1)
	v_mad_u64_u32 v[9:10], null, v0, s23, v[2:3]
	v_mov_b32_e32 v2, v9
.LBB39_50:                              ;   in Loop: Header=BB39_9 Depth=1
	v_mov_b32_e32 v0, v3
	s_mov_b32 s24, exec_lo
	s_delay_alu instid0(VALU_DEP_1)
	v_cmpx_le_u64_e64 s[14:15], v[0:1]
	s_cbranch_execz .LBB39_52
; %bb.51:                               ;   in Loop: Header=BB39_9 Depth=1
	v_cvt_f32_u32_e32 v3, s14
	s_sub_i32 s25, 0, s14
	s_delay_alu instid0(VALU_DEP_1) | instskip(SKIP_2) | instid1(VALU_DEP_1)
	v_rcp_iflag_f32_e32 v3, v3
	s_waitcnt_depctr 0xfff
	v_mul_f32_e32 v3, 0x4f7ffffe, v3
	v_cvt_u32_f32_e32 v3, v3
	s_delay_alu instid0(VALU_DEP_1) | instskip(NEXT) | instid1(VALU_DEP_1)
	v_mul_lo_u32 v9, s25, v3
	v_mul_hi_u32 v9, v3, v9
	s_delay_alu instid0(VALU_DEP_1) | instskip(NEXT) | instid1(VALU_DEP_1)
	v_add_nc_u32_e32 v3, v3, v9
	v_mul_hi_u32 v3, v0, v3
	s_delay_alu instid0(VALU_DEP_1) | instskip(NEXT) | instid1(VALU_DEP_1)
	v_mul_lo_u32 v3, v3, s14
	v_sub_nc_u32_e32 v0, v0, v3
	s_delay_alu instid0(VALU_DEP_1) | instskip(SKIP_1) | instid1(VALU_DEP_2)
	v_subrev_nc_u32_e32 v3, s14, v0
	v_cmp_le_u32_e32 vcc_lo, s14, v0
	v_cndmask_b32_e32 v0, v0, v3, vcc_lo
	s_delay_alu instid0(VALU_DEP_1) | instskip(SKIP_1) | instid1(VALU_DEP_2)
	v_subrev_nc_u32_e32 v3, s14, v0
	v_cmp_le_u32_e32 vcc_lo, s14, v0
	v_cndmask_b32_e32 v0, v0, v3, vcc_lo
.LBB39_52:                              ;   in Loop: Header=BB39_9 Depth=1
	s_or_b32 exec_lo, exec_lo, s24
	s_delay_alu instid0(VALU_DEP_1) | instskip(SKIP_1) | instid1(VALU_DEP_1)
	v_add_co_u32 v9, vcc_lo, v0, s20
	v_add_co_ci_u32_e32 v10, vcc_lo, s21, v1, vcc_lo
	v_xor_b32_e32 v0, v9, v10
	v_cls_i32_e32 v3, v10
	s_delay_alu instid0(VALU_DEP_2) | instskip(NEXT) | instid1(VALU_DEP_2)
	v_ashrrev_i32_e32 v0, 31, v0
	v_add_nc_u32_e32 v3, -1, v3
	s_delay_alu instid0(VALU_DEP_2) | instskip(NEXT) | instid1(VALU_DEP_1)
	v_add_nc_u32_e32 v0, 32, v0
	v_min_u32_e32 v0, v3, v0
	s_delay_alu instid0(VALU_DEP_1) | instskip(SKIP_1) | instid1(VALU_DEP_2)
	v_lshlrev_b64 v[9:10], v0, v[9:10]
	v_sub_nc_u32_e32 v0, 32, v0
	v_min_u32_e32 v3, 1, v9
	s_delay_alu instid0(VALU_DEP_1) | instskip(NEXT) | instid1(VALU_DEP_1)
	v_or_b32_e32 v3, v10, v3
	v_cvt_f32_i32_e32 v3, v3
	s_delay_alu instid0(VALU_DEP_1) | instskip(NEXT) | instid1(VALU_DEP_1)
	v_ldexp_f32 v0, v3, v0
	v_bfe_u32 v3, v0, 16, 1
	s_delay_alu instid0(VALU_DEP_1)
	v_add3_u32 v0, v0, v3, 0x7fff
	global_store_d16_hi_b16 v2, v0, s[12:13]
.LBB39_53:                              ;   in Loop: Header=BB39_9 Depth=1
	s_or_b32 exec_lo, exec_lo, s39
	v_add_co_u32 v9, vcc_lo, v15, s33
	v_add_co_ci_u32_e32 v10, vcc_lo, 0, v16, vcc_lo
	s_mov_b32 s39, exec_lo
	s_delay_alu instid0(VALU_DEP_1)
	v_cmpx_gt_i64_e64 s[16:17], v[9:10]
	s_cbranch_execz .LBB39_70
; %bb.54:                               ;   in Loop: Header=BB39_9 Depth=1
	s_and_not1_b32 vcc_lo, exec_lo, s11
	s_cbranch_vccnz .LBB39_60
; %bb.55:                               ;   in Loop: Header=BB39_9 Depth=1
	v_mov_b32_e32 v2, 0
	s_and_not1_b32 vcc_lo, exec_lo, s31
	s_cbranch_vccnz .LBB39_64
; %bb.56:                               ;   in Loop: Header=BB39_9 Depth=1
	s_and_not1_b32 vcc_lo, exec_lo, s35
	s_mov_b32 s24, 0
	s_cbranch_vccnz .LBB39_61
; %bb.57:                               ;   in Loop: Header=BB39_9 Depth=1
	v_mov_b32_e32 v2, 0
	v_mov_b32_e32 v0, v9
	s_mov_b32 s40, 0
	s_mov_b64 s[24:25], s[18:19]
	s_mov_b64 s[26:27], s[0:1]
.LBB39_58:                              ;   Parent Loop BB39_9 Depth=1
                                        ; =>  This Inner Loop Header: Depth=2
	s_clause 0x1
	s_load_b256 s[44:51], s[24:25], 0x4
	s_load_b128 s[52:55], s[24:25], 0x24
	s_load_b128 s[56:59], s[26:27], 0x0
	s_add_u32 s24, s24, 48
	s_addc_u32 s25, s25, 0
	s_add_i32 s40, s40, 4
	s_add_u32 s26, s26, 16
	s_addc_u32 s27, s27, 0
	s_cmp_eq_u32 s36, s40
	s_waitcnt lgkmcnt(0)
	v_mul_hi_u32 v3, s45, v0
	s_delay_alu instid0(VALU_DEP_1) | instskip(NEXT) | instid1(VALU_DEP_1)
	v_add_nc_u32_e32 v3, v0, v3
	v_lshrrev_b32_e32 v3, s46, v3
	s_delay_alu instid0(VALU_DEP_1) | instskip(SKIP_1) | instid1(VALU_DEP_2)
	v_mul_hi_u32 v10, s48, v3
	v_mul_lo_u32 v18, v3, s44
	v_add_nc_u32_e32 v10, v3, v10
	s_delay_alu instid0(VALU_DEP_2) | instskip(NEXT) | instid1(VALU_DEP_2)
	v_sub_nc_u32_e32 v18, v0, v18
	v_lshrrev_b32_e32 v10, s49, v10
	s_delay_alu instid0(VALU_DEP_2) | instskip(NEXT) | instid1(VALU_DEP_2)
	v_mul_lo_u32 v18, v18, s56
	v_mul_hi_u32 v11, s51, v10
	v_mul_lo_u32 v42, v10, s47
	s_delay_alu instid0(VALU_DEP_2) | instskip(NEXT) | instid1(VALU_DEP_2)
	v_add_nc_u32_e32 v11, v10, v11
	v_sub_nc_u32_e32 v3, v3, v42
	s_delay_alu instid0(VALU_DEP_2) | instskip(NEXT) | instid1(VALU_DEP_2)
	v_lshrrev_b32_e32 v11, s52, v11
	v_mul_lo_u32 v3, v3, s57
	s_delay_alu instid0(VALU_DEP_2) | instskip(NEXT) | instid1(VALU_DEP_2)
	v_mul_hi_u32 v12, s54, v11
	v_add3_u32 v2, v18, v2, v3
	s_delay_alu instid0(VALU_DEP_2) | instskip(NEXT) | instid1(VALU_DEP_1)
	v_add_nc_u32_e32 v12, v11, v12
	v_lshrrev_b32_e32 v0, s55, v12
	v_mul_lo_u32 v12, v11, s50
	s_delay_alu instid0(VALU_DEP_2) | instskip(NEXT) | instid1(VALU_DEP_2)
	v_mul_lo_u32 v43, v0, s53
	v_sub_nc_u32_e32 v10, v10, v12
	s_delay_alu instid0(VALU_DEP_2) | instskip(NEXT) | instid1(VALU_DEP_2)
	v_sub_nc_u32_e32 v11, v11, v43
	v_mul_lo_u32 v10, v10, s58
	s_delay_alu instid0(VALU_DEP_2) | instskip(NEXT) | instid1(VALU_DEP_1)
	v_mul_lo_u32 v11, v11, s59
	v_add3_u32 v2, v10, v2, v11
	s_cbranch_scc0 .LBB39_58
; %bb.59:                               ;   in Loop: Header=BB39_9 Depth=1
	s_mov_b32 s24, s36
	s_and_not1_b32 vcc_lo, exec_lo, s38
	s_cbranch_vccz .LBB39_62
	s_branch .LBB39_64
.LBB39_60:                              ;   in Loop: Header=BB39_9 Depth=1
                                        ; implicit-def: $vgpr2
	s_branch .LBB39_65
.LBB39_61:                              ;   in Loop: Header=BB39_9 Depth=1
	v_mov_b32_e32 v0, v9
	s_and_not1_b32 vcc_lo, exec_lo, s38
	s_cbranch_vccnz .LBB39_64
.LBB39_62:                              ;   in Loop: Header=BB39_9 Depth=1
	s_lshl_b32 s25, s24, 2
	s_mul_i32 s26, s24, 12
	s_add_u32 s24, s0, s25
	s_addc_u32 s25, s1, 0
	s_add_u32 s26, s18, s26
	s_addc_u32 s27, s19, 0
	s_mov_b32 s40, s34
	.p2align	6
.LBB39_63:                              ;   Parent Loop BB39_9 Depth=1
                                        ; =>  This Inner Loop Header: Depth=2
	s_clause 0x1
	s_load_b64 s[42:43], s[26:27], 0x4
	s_load_b32 s41, s[26:27], 0xc
	s_add_u32 s26, s26, 12
	s_addc_u32 s27, s27, 0
	s_waitcnt lgkmcnt(0)
	v_mul_hi_u32 v3, s43, v0
	s_load_b32 s43, s[24:25], 0x0
	s_add_u32 s24, s24, 4
	s_addc_u32 s25, s25, 0
	s_add_i32 s40, s40, -1
	s_delay_alu instid0(SALU_CYCLE_1) | instskip(NEXT) | instid1(VALU_DEP_1)
	s_cmp_lg_u32 s40, 0
	v_add_nc_u32_e32 v3, v0, v3
	s_delay_alu instid0(VALU_DEP_1) | instskip(NEXT) | instid1(VALU_DEP_1)
	v_lshrrev_b32_e32 v3, s41, v3
	v_mul_lo_u32 v10, v3, s42
	s_delay_alu instid0(VALU_DEP_1) | instskip(SKIP_1) | instid1(VALU_DEP_1)
	v_sub_nc_u32_e32 v0, v0, v10
	s_waitcnt lgkmcnt(0)
	v_mad_u64_u32 v[10:11], null, v0, s43, v[2:3]
	v_mov_b32_e32 v0, v3
	s_delay_alu instid0(VALU_DEP_2)
	v_mov_b32_e32 v2, v10
	s_cbranch_scc1 .LBB39_63
.LBB39_64:                              ;   in Loop: Header=BB39_9 Depth=1
	s_cbranch_execnz .LBB39_67
.LBB39_65:                              ;   in Loop: Header=BB39_9 Depth=1
	v_mul_hi_u32 v0, v9, s6
	s_and_not1_b32 vcc_lo, exec_lo, s4
	s_delay_alu instid0(VALU_DEP_1) | instskip(NEXT) | instid1(VALU_DEP_1)
	v_add_nc_u32_e32 v0, v0, v9
	v_lshrrev_b32_e32 v0, s7, v0
	s_delay_alu instid0(VALU_DEP_1) | instskip(NEXT) | instid1(VALU_DEP_1)
	v_mul_lo_u32 v2, v0, s5
	v_sub_nc_u32_e32 v2, v9, v2
	s_delay_alu instid0(VALU_DEP_1)
	v_mul_lo_u32 v2, v2, s22
	s_cbranch_vccnz .LBB39_67
; %bb.66:                               ;   in Loop: Header=BB39_9 Depth=1
	v_mul_hi_u32 v3, s9, v0
	s_delay_alu instid0(VALU_DEP_1) | instskip(NEXT) | instid1(VALU_DEP_1)
	v_add_nc_u32_e32 v3, v0, v3
	v_lshrrev_b32_e32 v3, s10, v3
	s_delay_alu instid0(VALU_DEP_1) | instskip(NEXT) | instid1(VALU_DEP_1)
	v_mul_lo_u32 v3, v3, s8
	v_sub_nc_u32_e32 v0, v0, v3
	s_delay_alu instid0(VALU_DEP_1) | instskip(NEXT) | instid1(VALU_DEP_1)
	v_mad_u64_u32 v[9:10], null, v0, s23, v[2:3]
	v_mov_b32_e32 v2, v9
.LBB39_67:                              ;   in Loop: Header=BB39_9 Depth=1
	v_mov_b32_e32 v0, v4
	s_mov_b32 s24, exec_lo
	s_delay_alu instid0(VALU_DEP_1)
	v_cmpx_le_u64_e64 s[14:15], v[0:1]
	s_cbranch_execz .LBB39_69
; %bb.68:                               ;   in Loop: Header=BB39_9 Depth=1
	v_cvt_f32_u32_e32 v3, s14
	s_sub_i32 s25, 0, s14
	s_delay_alu instid0(VALU_DEP_1) | instskip(SKIP_2) | instid1(VALU_DEP_1)
	v_rcp_iflag_f32_e32 v3, v3
	s_waitcnt_depctr 0xfff
	v_mul_f32_e32 v3, 0x4f7ffffe, v3
	v_cvt_u32_f32_e32 v3, v3
	s_delay_alu instid0(VALU_DEP_1) | instskip(NEXT) | instid1(VALU_DEP_1)
	v_mul_lo_u32 v4, s25, v3
	v_mul_hi_u32 v4, v3, v4
	s_delay_alu instid0(VALU_DEP_1) | instskip(NEXT) | instid1(VALU_DEP_1)
	v_add_nc_u32_e32 v3, v3, v4
	v_mul_hi_u32 v3, v0, v3
	s_delay_alu instid0(VALU_DEP_1) | instskip(NEXT) | instid1(VALU_DEP_1)
	v_mul_lo_u32 v3, v3, s14
	v_sub_nc_u32_e32 v0, v0, v3
	s_delay_alu instid0(VALU_DEP_1) | instskip(SKIP_1) | instid1(VALU_DEP_2)
	v_subrev_nc_u32_e32 v3, s14, v0
	v_cmp_le_u32_e32 vcc_lo, s14, v0
	v_cndmask_b32_e32 v0, v0, v3, vcc_lo
	s_delay_alu instid0(VALU_DEP_1) | instskip(SKIP_1) | instid1(VALU_DEP_2)
	v_subrev_nc_u32_e32 v3, s14, v0
	v_cmp_le_u32_e32 vcc_lo, s14, v0
	v_cndmask_b32_e32 v0, v0, v3, vcc_lo
.LBB39_69:                              ;   in Loop: Header=BB39_9 Depth=1
	s_or_b32 exec_lo, exec_lo, s24
	s_delay_alu instid0(VALU_DEP_1) | instskip(SKIP_1) | instid1(VALU_DEP_1)
	v_add_co_u32 v3, vcc_lo, v0, s20
	v_add_co_ci_u32_e32 v4, vcc_lo, s21, v1, vcc_lo
	v_xor_b32_e32 v0, v3, v4
	v_cls_i32_e32 v9, v4
	s_delay_alu instid0(VALU_DEP_2) | instskip(NEXT) | instid1(VALU_DEP_2)
	v_ashrrev_i32_e32 v0, 31, v0
	v_add_nc_u32_e32 v9, -1, v9
	s_delay_alu instid0(VALU_DEP_2) | instskip(NEXT) | instid1(VALU_DEP_1)
	v_add_nc_u32_e32 v0, 32, v0
	v_min_u32_e32 v0, v9, v0
	s_delay_alu instid0(VALU_DEP_1) | instskip(SKIP_1) | instid1(VALU_DEP_2)
	v_lshlrev_b64 v[3:4], v0, v[3:4]
	v_sub_nc_u32_e32 v0, 32, v0
	v_min_u32_e32 v3, 1, v3
	s_delay_alu instid0(VALU_DEP_1) | instskip(NEXT) | instid1(VALU_DEP_1)
	v_or_b32_e32 v3, v4, v3
	v_cvt_f32_i32_e32 v3, v3
	s_delay_alu instid0(VALU_DEP_1) | instskip(NEXT) | instid1(VALU_DEP_1)
	v_ldexp_f32 v0, v3, v0
	v_bfe_u32 v3, v0, 16, 1
	s_delay_alu instid0(VALU_DEP_1)
	v_add3_u32 v0, v0, v3, 0x7fff
	global_store_d16_hi_b16 v2, v0, s[12:13]
.LBB39_70:                              ;   in Loop: Header=BB39_9 Depth=1
	s_or_b32 exec_lo, exec_lo, s39
	v_add_co_u32 v3, vcc_lo, v15, s37
	v_add_co_ci_u32_e32 v4, vcc_lo, 0, v16, vcc_lo
	s_mov_b32 s39, exec_lo
	s_delay_alu instid0(VALU_DEP_1)
	v_cmpx_gt_i64_e64 s[16:17], v[3:4]
	s_cbranch_execz .LBB39_8
; %bb.71:                               ;   in Loop: Header=BB39_9 Depth=1
	s_and_not1_b32 vcc_lo, exec_lo, s11
	s_cbranch_vccnz .LBB39_77
; %bb.72:                               ;   in Loop: Header=BB39_9 Depth=1
	v_mov_b32_e32 v2, 0
	s_and_not1_b32 vcc_lo, exec_lo, s31
	s_cbranch_vccnz .LBB39_81
; %bb.73:                               ;   in Loop: Header=BB39_9 Depth=1
	s_and_not1_b32 vcc_lo, exec_lo, s35
	s_mov_b32 s24, 0
	s_cbranch_vccnz .LBB39_78
; %bb.74:                               ;   in Loop: Header=BB39_9 Depth=1
	v_mov_b32_e32 v2, 0
	v_mov_b32_e32 v0, v3
	s_mov_b32 s40, 0
	s_mov_b64 s[24:25], s[18:19]
	s_mov_b64 s[26:27], s[0:1]
.LBB39_75:                              ;   Parent Loop BB39_9 Depth=1
                                        ; =>  This Inner Loop Header: Depth=2
	s_clause 0x1
	s_load_b256 s[44:51], s[24:25], 0x4
	s_load_b128 s[52:55], s[24:25], 0x24
	s_load_b128 s[56:59], s[26:27], 0x0
	s_add_u32 s24, s24, 48
	s_addc_u32 s25, s25, 0
	s_add_i32 s40, s40, 4
	s_add_u32 s26, s26, 16
	s_addc_u32 s27, s27, 0
	s_cmp_eq_u32 s36, s40
	s_waitcnt lgkmcnt(0)
	v_mul_hi_u32 v4, s45, v0
	s_delay_alu instid0(VALU_DEP_1) | instskip(NEXT) | instid1(VALU_DEP_1)
	v_add_nc_u32_e32 v4, v0, v4
	v_lshrrev_b32_e32 v4, s46, v4
	s_delay_alu instid0(VALU_DEP_1) | instskip(SKIP_1) | instid1(VALU_DEP_2)
	v_mul_hi_u32 v9, s48, v4
	v_mul_lo_u32 v12, v4, s44
	v_add_nc_u32_e32 v9, v4, v9
	s_delay_alu instid0(VALU_DEP_2) | instskip(NEXT) | instid1(VALU_DEP_2)
	v_sub_nc_u32_e32 v12, v0, v12
	v_lshrrev_b32_e32 v9, s49, v9
	s_delay_alu instid0(VALU_DEP_2) | instskip(NEXT) | instid1(VALU_DEP_2)
	v_mul_lo_u32 v12, v12, s56
	v_mul_hi_u32 v10, s51, v9
	v_mul_lo_u32 v18, v9, s47
	s_delay_alu instid0(VALU_DEP_2) | instskip(NEXT) | instid1(VALU_DEP_2)
	v_add_nc_u32_e32 v10, v9, v10
	v_sub_nc_u32_e32 v4, v4, v18
	s_delay_alu instid0(VALU_DEP_2) | instskip(NEXT) | instid1(VALU_DEP_2)
	v_lshrrev_b32_e32 v10, s52, v10
	v_mul_lo_u32 v4, v4, s57
	s_delay_alu instid0(VALU_DEP_2) | instskip(NEXT) | instid1(VALU_DEP_2)
	v_mul_hi_u32 v11, s54, v10
	v_add3_u32 v2, v12, v2, v4
	s_delay_alu instid0(VALU_DEP_2) | instskip(NEXT) | instid1(VALU_DEP_1)
	v_add_nc_u32_e32 v11, v10, v11
	v_lshrrev_b32_e32 v0, s55, v11
	v_mul_lo_u32 v11, v10, s50
	s_delay_alu instid0(VALU_DEP_2) | instskip(NEXT) | instid1(VALU_DEP_2)
	v_mul_lo_u32 v42, v0, s53
	v_sub_nc_u32_e32 v9, v9, v11
	s_delay_alu instid0(VALU_DEP_2) | instskip(NEXT) | instid1(VALU_DEP_2)
	v_sub_nc_u32_e32 v10, v10, v42
	v_mul_lo_u32 v9, v9, s58
	s_delay_alu instid0(VALU_DEP_2) | instskip(NEXT) | instid1(VALU_DEP_1)
	v_mul_lo_u32 v10, v10, s59
	v_add3_u32 v2, v9, v2, v10
	s_cbranch_scc0 .LBB39_75
; %bb.76:                               ;   in Loop: Header=BB39_9 Depth=1
	s_mov_b32 s24, s36
	s_and_not1_b32 vcc_lo, exec_lo, s38
	s_cbranch_vccz .LBB39_79
	s_branch .LBB39_81
.LBB39_77:                              ;   in Loop: Header=BB39_9 Depth=1
                                        ; implicit-def: $vgpr2
	s_branch .LBB39_82
.LBB39_78:                              ;   in Loop: Header=BB39_9 Depth=1
	v_mov_b32_e32 v0, v3
	s_and_not1_b32 vcc_lo, exec_lo, s38
	s_cbranch_vccnz .LBB39_81
.LBB39_79:                              ;   in Loop: Header=BB39_9 Depth=1
	s_lshl_b32 s25, s24, 2
	s_mul_i32 s26, s24, 12
	s_add_u32 s24, s0, s25
	s_addc_u32 s25, s1, 0
	s_add_u32 s26, s18, s26
	s_addc_u32 s27, s19, 0
	s_mov_b32 s40, s34
	.p2align	6
.LBB39_80:                              ;   Parent Loop BB39_9 Depth=1
                                        ; =>  This Inner Loop Header: Depth=2
	s_clause 0x1
	s_load_b64 s[42:43], s[26:27], 0x4
	s_load_b32 s41, s[26:27], 0xc
	s_add_u32 s26, s26, 12
	s_addc_u32 s27, s27, 0
	s_waitcnt lgkmcnt(0)
	v_mul_hi_u32 v4, s43, v0
	s_load_b32 s43, s[24:25], 0x0
	s_add_u32 s24, s24, 4
	s_addc_u32 s25, s25, 0
	s_add_i32 s40, s40, -1
	s_delay_alu instid0(SALU_CYCLE_1) | instskip(NEXT) | instid1(VALU_DEP_1)
	s_cmp_lg_u32 s40, 0
	v_add_nc_u32_e32 v4, v0, v4
	s_delay_alu instid0(VALU_DEP_1) | instskip(NEXT) | instid1(VALU_DEP_1)
	v_lshrrev_b32_e32 v4, s41, v4
	v_mul_lo_u32 v9, v4, s42
	s_delay_alu instid0(VALU_DEP_1) | instskip(SKIP_1) | instid1(VALU_DEP_1)
	v_sub_nc_u32_e32 v0, v0, v9
	s_waitcnt lgkmcnt(0)
	v_mad_u64_u32 v[9:10], null, v0, s43, v[2:3]
	v_mov_b32_e32 v0, v4
	s_delay_alu instid0(VALU_DEP_2)
	v_mov_b32_e32 v2, v9
	s_cbranch_scc1 .LBB39_80
.LBB39_81:                              ;   in Loop: Header=BB39_9 Depth=1
	s_cbranch_execnz .LBB39_84
.LBB39_82:                              ;   in Loop: Header=BB39_9 Depth=1
	v_mul_hi_u32 v0, v3, s6
	s_and_not1_b32 vcc_lo, exec_lo, s4
	s_delay_alu instid0(VALU_DEP_1) | instskip(NEXT) | instid1(VALU_DEP_1)
	v_add_nc_u32_e32 v0, v0, v3
	v_lshrrev_b32_e32 v0, s7, v0
	s_delay_alu instid0(VALU_DEP_1) | instskip(NEXT) | instid1(VALU_DEP_1)
	v_mul_lo_u32 v2, v0, s5
	v_sub_nc_u32_e32 v2, v3, v2
	s_delay_alu instid0(VALU_DEP_1)
	v_mul_lo_u32 v2, v2, s22
	s_cbranch_vccnz .LBB39_84
; %bb.83:                               ;   in Loop: Header=BB39_9 Depth=1
	v_mul_hi_u32 v3, s9, v0
	s_delay_alu instid0(VALU_DEP_1) | instskip(NEXT) | instid1(VALU_DEP_1)
	v_add_nc_u32_e32 v3, v0, v3
	v_lshrrev_b32_e32 v3, s10, v3
	s_delay_alu instid0(VALU_DEP_1) | instskip(NEXT) | instid1(VALU_DEP_1)
	v_mul_lo_u32 v3, v3, s8
	v_sub_nc_u32_e32 v0, v0, v3
	s_delay_alu instid0(VALU_DEP_1) | instskip(NEXT) | instid1(VALU_DEP_1)
	v_mad_u64_u32 v[3:4], null, v0, s23, v[2:3]
	v_mov_b32_e32 v2, v3
.LBB39_84:                              ;   in Loop: Header=BB39_9 Depth=1
	v_mov_b32_e32 v0, v5
	s_mov_b32 s24, exec_lo
	s_delay_alu instid0(VALU_DEP_1)
	v_cmpx_le_u64_e64 s[14:15], v[0:1]
	s_cbranch_execz .LBB39_7
; %bb.85:                               ;   in Loop: Header=BB39_9 Depth=1
	v_cvt_f32_u32_e32 v3, s14
	s_sub_i32 s25, 0, s14
	s_delay_alu instid0(VALU_DEP_1) | instskip(SKIP_2) | instid1(VALU_DEP_1)
	v_rcp_iflag_f32_e32 v3, v3
	s_waitcnt_depctr 0xfff
	v_mul_f32_e32 v3, 0x4f7ffffe, v3
	v_cvt_u32_f32_e32 v3, v3
	s_delay_alu instid0(VALU_DEP_1) | instskip(NEXT) | instid1(VALU_DEP_1)
	v_mul_lo_u32 v4, s25, v3
	v_mul_hi_u32 v4, v3, v4
	s_delay_alu instid0(VALU_DEP_1) | instskip(NEXT) | instid1(VALU_DEP_1)
	v_add_nc_u32_e32 v3, v3, v4
	v_mul_hi_u32 v3, v0, v3
	s_delay_alu instid0(VALU_DEP_1) | instskip(NEXT) | instid1(VALU_DEP_1)
	v_mul_lo_u32 v3, v3, s14
	v_sub_nc_u32_e32 v0, v0, v3
	s_delay_alu instid0(VALU_DEP_1) | instskip(SKIP_1) | instid1(VALU_DEP_2)
	v_subrev_nc_u32_e32 v3, s14, v0
	v_cmp_le_u32_e32 vcc_lo, s14, v0
	v_cndmask_b32_e32 v0, v0, v3, vcc_lo
	s_delay_alu instid0(VALU_DEP_1) | instskip(SKIP_1) | instid1(VALU_DEP_2)
	v_subrev_nc_u32_e32 v3, s14, v0
	v_cmp_le_u32_e32 vcc_lo, s14, v0
	v_cndmask_b32_e32 v0, v0, v3, vcc_lo
	s_branch .LBB39_7
.LBB39_86:
	s_endpgm
.LBB39_87:
                                        ; implicit-def: $sgpr2_sgpr3
	s_branch .LBB39_4
	.section	.rodata,"a",@progbits
	.p2align	6, 0x0
	.amdhsa_kernel _ZN2at6native12_GLOBAL__N_143distribution_elementwise_grid_stride_kernelIjLi4EZZZNS0_9templates4cuda21random_from_to_kernelIPNS_17CUDAGeneratorImplEEEvRNS_18TensorIteratorBaseEmlT_ENKUlvE_clEvENKUlvE8_clEvEUlP25hiprandStatePhilox4_32_10E0_ZNS1_27distribution_nullary_kernelIN3c108BFloat16Ej15HIP_vector_typeIjLj4EES7_SF_ZZZNS5_IS7_EEvS9_mlSA_ENKSB_clEvENKSC_clEvEUljE_EEvS9_T2_RKT3_T4_EUlijE0_EEvlNS_15PhiloxCudaStateET1_SM_
		.amdhsa_group_segment_fixed_size 0
		.amdhsa_private_segment_fixed_size 0
		.amdhsa_kernarg_size 592
		.amdhsa_user_sgpr_count 15
		.amdhsa_user_sgpr_dispatch_ptr 0
		.amdhsa_user_sgpr_queue_ptr 0
		.amdhsa_user_sgpr_kernarg_segment_ptr 1
		.amdhsa_user_sgpr_dispatch_id 0
		.amdhsa_user_sgpr_private_segment_size 0
		.amdhsa_wavefront_size32 1
		.amdhsa_uses_dynamic_stack 0
		.amdhsa_enable_private_segment 0
		.amdhsa_system_sgpr_workgroup_id_x 1
		.amdhsa_system_sgpr_workgroup_id_y 0
		.amdhsa_system_sgpr_workgroup_id_z 0
		.amdhsa_system_sgpr_workgroup_info 0
		.amdhsa_system_vgpr_workitem_id 0
		.amdhsa_next_free_vgpr 45
		.amdhsa_next_free_sgpr 60
		.amdhsa_reserve_vcc 1
		.amdhsa_float_round_mode_32 0
		.amdhsa_float_round_mode_16_64 0
		.amdhsa_float_denorm_mode_32 3
		.amdhsa_float_denorm_mode_16_64 3
		.amdhsa_dx10_clamp 1
		.amdhsa_ieee_mode 1
		.amdhsa_fp16_overflow 0
		.amdhsa_workgroup_processor_mode 1
		.amdhsa_memory_ordered 1
		.amdhsa_forward_progress 0
		.amdhsa_shared_vgpr_count 0
		.amdhsa_exception_fp_ieee_invalid_op 0
		.amdhsa_exception_fp_denorm_src 0
		.amdhsa_exception_fp_ieee_div_zero 0
		.amdhsa_exception_fp_ieee_overflow 0
		.amdhsa_exception_fp_ieee_underflow 0
		.amdhsa_exception_fp_ieee_inexact 0
		.amdhsa_exception_int_div_zero 0
	.end_amdhsa_kernel
	.section	.text._ZN2at6native12_GLOBAL__N_143distribution_elementwise_grid_stride_kernelIjLi4EZZZNS0_9templates4cuda21random_from_to_kernelIPNS_17CUDAGeneratorImplEEEvRNS_18TensorIteratorBaseEmlT_ENKUlvE_clEvENKUlvE8_clEvEUlP25hiprandStatePhilox4_32_10E0_ZNS1_27distribution_nullary_kernelIN3c108BFloat16Ej15HIP_vector_typeIjLj4EES7_SF_ZZZNS5_IS7_EEvS9_mlSA_ENKSB_clEvENKSC_clEvEUljE_EEvS9_T2_RKT3_T4_EUlijE0_EEvlNS_15PhiloxCudaStateET1_SM_,"axG",@progbits,_ZN2at6native12_GLOBAL__N_143distribution_elementwise_grid_stride_kernelIjLi4EZZZNS0_9templates4cuda21random_from_to_kernelIPNS_17CUDAGeneratorImplEEEvRNS_18TensorIteratorBaseEmlT_ENKUlvE_clEvENKUlvE8_clEvEUlP25hiprandStatePhilox4_32_10E0_ZNS1_27distribution_nullary_kernelIN3c108BFloat16Ej15HIP_vector_typeIjLj4EES7_SF_ZZZNS5_IS7_EEvS9_mlSA_ENKSB_clEvENKSC_clEvEUljE_EEvS9_T2_RKT3_T4_EUlijE0_EEvlNS_15PhiloxCudaStateET1_SM_,comdat
.Lfunc_end39:
	.size	_ZN2at6native12_GLOBAL__N_143distribution_elementwise_grid_stride_kernelIjLi4EZZZNS0_9templates4cuda21random_from_to_kernelIPNS_17CUDAGeneratorImplEEEvRNS_18TensorIteratorBaseEmlT_ENKUlvE_clEvENKUlvE8_clEvEUlP25hiprandStatePhilox4_32_10E0_ZNS1_27distribution_nullary_kernelIN3c108BFloat16Ej15HIP_vector_typeIjLj4EES7_SF_ZZZNS5_IS7_EEvS9_mlSA_ENKSB_clEvENKSC_clEvEUljE_EEvS9_T2_RKT3_T4_EUlijE0_EEvlNS_15PhiloxCudaStateET1_SM_, .Lfunc_end39-_ZN2at6native12_GLOBAL__N_143distribution_elementwise_grid_stride_kernelIjLi4EZZZNS0_9templates4cuda21random_from_to_kernelIPNS_17CUDAGeneratorImplEEEvRNS_18TensorIteratorBaseEmlT_ENKUlvE_clEvENKUlvE8_clEvEUlP25hiprandStatePhilox4_32_10E0_ZNS1_27distribution_nullary_kernelIN3c108BFloat16Ej15HIP_vector_typeIjLj4EES7_SF_ZZZNS5_IS7_EEvS9_mlSA_ENKSB_clEvENKSC_clEvEUljE_EEvS9_T2_RKT3_T4_EUlijE0_EEvlNS_15PhiloxCudaStateET1_SM_
                                        ; -- End function
	.section	.AMDGPU.csdata,"",@progbits
; Kernel info:
; codeLenInByte = 6180
; NumSgprs: 62
; NumVgprs: 45
; ScratchSize: 0
; MemoryBound: 0
; FloatMode: 240
; IeeeMode: 1
; LDSByteSize: 0 bytes/workgroup (compile time only)
; SGPRBlocks: 7
; VGPRBlocks: 5
; NumSGPRsForWavesPerEU: 62
; NumVGPRsForWavesPerEU: 45
; Occupancy: 16
; WaveLimiterHint : 1
; COMPUTE_PGM_RSRC2:SCRATCH_EN: 0
; COMPUTE_PGM_RSRC2:USER_SGPR: 15
; COMPUTE_PGM_RSRC2:TRAP_HANDLER: 0
; COMPUTE_PGM_RSRC2:TGID_X_EN: 1
; COMPUTE_PGM_RSRC2:TGID_Y_EN: 0
; COMPUTE_PGM_RSRC2:TGID_Z_EN: 0
; COMPUTE_PGM_RSRC2:TIDIG_COMP_CNT: 0
	.section	.text._ZN2at6native12_GLOBAL__N_143distribution_elementwise_grid_stride_kernelImLi2EZZZNS0_9templates4cuda21random_from_to_kernelIPNS_17CUDAGeneratorImplEEEvRNS_18TensorIteratorBaseEmlT_ENKUlvE_clEvENKUlvE9_clEvEUlP25hiprandStatePhilox4_32_10E_ZNS1_27distribution_nullary_kernelItm15HIP_vector_typeIyLj2EES7_SF_ZZZNS5_IS7_EEvS9_mlSA_ENKSB_clEvENKSC_clEvEUlmE_EEvS9_T2_RKT3_T4_EUlimE_EEvlNS_15PhiloxCudaStateET1_SK_,"axG",@progbits,_ZN2at6native12_GLOBAL__N_143distribution_elementwise_grid_stride_kernelImLi2EZZZNS0_9templates4cuda21random_from_to_kernelIPNS_17CUDAGeneratorImplEEEvRNS_18TensorIteratorBaseEmlT_ENKUlvE_clEvENKUlvE9_clEvEUlP25hiprandStatePhilox4_32_10E_ZNS1_27distribution_nullary_kernelItm15HIP_vector_typeIyLj2EES7_SF_ZZZNS5_IS7_EEvS9_mlSA_ENKSB_clEvENKSC_clEvEUlmE_EEvS9_T2_RKT3_T4_EUlimE_EEvlNS_15PhiloxCudaStateET1_SK_,comdat
	.globl	_ZN2at6native12_GLOBAL__N_143distribution_elementwise_grid_stride_kernelImLi2EZZZNS0_9templates4cuda21random_from_to_kernelIPNS_17CUDAGeneratorImplEEEvRNS_18TensorIteratorBaseEmlT_ENKUlvE_clEvENKUlvE9_clEvEUlP25hiprandStatePhilox4_32_10E_ZNS1_27distribution_nullary_kernelItm15HIP_vector_typeIyLj2EES7_SF_ZZZNS5_IS7_EEvS9_mlSA_ENKSB_clEvENKSC_clEvEUlmE_EEvS9_T2_RKT3_T4_EUlimE_EEvlNS_15PhiloxCudaStateET1_SK_ ; -- Begin function _ZN2at6native12_GLOBAL__N_143distribution_elementwise_grid_stride_kernelImLi2EZZZNS0_9templates4cuda21random_from_to_kernelIPNS_17CUDAGeneratorImplEEEvRNS_18TensorIteratorBaseEmlT_ENKUlvE_clEvENKUlvE9_clEvEUlP25hiprandStatePhilox4_32_10E_ZNS1_27distribution_nullary_kernelItm15HIP_vector_typeIyLj2EES7_SF_ZZZNS5_IS7_EEvS9_mlSA_ENKSB_clEvENKSC_clEvEUlmE_EEvS9_T2_RKT3_T4_EUlimE_EEvlNS_15PhiloxCudaStateET1_SK_
	.p2align	8
	.type	_ZN2at6native12_GLOBAL__N_143distribution_elementwise_grid_stride_kernelImLi2EZZZNS0_9templates4cuda21random_from_to_kernelIPNS_17CUDAGeneratorImplEEEvRNS_18TensorIteratorBaseEmlT_ENKUlvE_clEvENKUlvE9_clEvEUlP25hiprandStatePhilox4_32_10E_ZNS1_27distribution_nullary_kernelItm15HIP_vector_typeIyLj2EES7_SF_ZZZNS5_IS7_EEvS9_mlSA_ENKSB_clEvENKSC_clEvEUlmE_EEvS9_T2_RKT3_T4_EUlimE_EEvlNS_15PhiloxCudaStateET1_SK_,@function
_ZN2at6native12_GLOBAL__N_143distribution_elementwise_grid_stride_kernelImLi2EZZZNS0_9templates4cuda21random_from_to_kernelIPNS_17CUDAGeneratorImplEEEvRNS_18TensorIteratorBaseEmlT_ENKUlvE_clEvENKUlvE9_clEvEUlP25hiprandStatePhilox4_32_10E_ZNS1_27distribution_nullary_kernelItm15HIP_vector_typeIyLj2EES7_SF_ZZZNS5_IS7_EEvS9_mlSA_ENKSB_clEvENKSC_clEvEUlmE_EEvS9_T2_RKT3_T4_EUlimE_EEvlNS_15PhiloxCudaStateET1_SK_: ; @_ZN2at6native12_GLOBAL__N_143distribution_elementwise_grid_stride_kernelImLi2EZZZNS0_9templates4cuda21random_from_to_kernelIPNS_17CUDAGeneratorImplEEEvRNS_18TensorIteratorBaseEmlT_ENKUlvE_clEvENKUlvE9_clEvEUlP25hiprandStatePhilox4_32_10E_ZNS1_27distribution_nullary_kernelItm15HIP_vector_typeIyLj2EES7_SF_ZZZNS5_IS7_EEvS9_mlSA_ENKSB_clEvENKSC_clEvEUlmE_EEvS9_T2_RKT3_T4_EUlimE_EEvlNS_15PhiloxCudaStateET1_SK_
; %bb.0:
	s_clause 0x2
	s_load_b64 s[8:9], s[0:1], 0x10
	s_load_b128 s[4:7], s[0:1], 0x0
	s_load_b32 s2, s[0:1], 0x20
	s_waitcnt lgkmcnt(0)
	v_dual_mov_b32 v2, s8 :: v_dual_mov_b32 v3, s9
	v_dual_mov_b32 v12, s7 :: v_dual_mov_b32 v11, s6
	s_bitcmp0_b32 s2, 0
	s_mov_b32 s2, 0
	s_cbranch_scc1 .LBB40_2
; %bb.1:
	v_dual_mov_b32 v1, s8 :: v_dual_mov_b32 v2, s9
	v_dual_mov_b32 v4, s6 :: v_dual_mov_b32 v5, s7
	s_load_b64 s[6:7], s[0:1], 0x18
	flat_load_b64 v[2:3], v[1:2]
	flat_load_b64 v[11:12], v[4:5]
	s_waitcnt vmcnt(1) lgkmcnt(0)
	v_add_co_u32 v2, vcc_lo, v2, s6
	v_add_co_ci_u32_e32 v3, vcc_lo, s7, v3, vcc_lo
.LBB40_2:
	s_clause 0x1
	s_load_b32 s3, s[0:1], 0x5c
	s_load_b32 s16, s[0:1], 0x50
	s_waitcnt lgkmcnt(0)
	s_and_b32 s14, s3, 0xffff
	s_add_u32 s6, s4, -1
	s_mul_i32 s12, s16, s14
	s_addc_u32 s3, s5, -1
	s_lshl_b32 s13, s12, 1
	s_cmp_lg_u64 s[2:3], 0
	s_cbranch_scc0 .LBB40_31
; %bb.3:
	v_cvt_f32_ubyte0_e32 v1, 0
	v_cvt_f32_u32_e32 v4, s13
	s_sub_u32 s8, 0, s13
	s_subb_u32 s9, 0, 0
	s_delay_alu instid0(VALU_DEP_1) | instskip(NEXT) | instid1(VALU_DEP_1)
	v_fmamk_f32 v1, v1, 0x4f800000, v4
	v_rcp_f32_e32 v1, v1
	s_waitcnt_depctr 0xfff
	v_mul_f32_e32 v1, 0x5f7ffffc, v1
	s_delay_alu instid0(VALU_DEP_1) | instskip(NEXT) | instid1(VALU_DEP_1)
	v_mul_f32_e32 v4, 0x2f800000, v1
	v_trunc_f32_e32 v4, v4
	s_delay_alu instid0(VALU_DEP_1) | instskip(SKIP_1) | instid1(VALU_DEP_2)
	v_fmamk_f32 v1, v4, 0xcf800000, v1
	v_cvt_u32_f32_e32 v4, v4
	v_cvt_u32_f32_e32 v1, v1
	s_delay_alu instid0(VALU_DEP_2) | instskip(NEXT) | instid1(VALU_DEP_2)
	v_readfirstlane_b32 s2, v4
	v_readfirstlane_b32 s7, v1
	s_delay_alu instid0(VALU_DEP_2) | instskip(NEXT) | instid1(VALU_DEP_1)
	s_mul_i32 s10, s8, s2
	s_mul_hi_u32 s17, s8, s7
	s_mul_i32 s11, s9, s7
	s_add_i32 s10, s17, s10
	s_mul_i32 s18, s8, s7
	s_add_i32 s10, s10, s11
	s_mul_hi_u32 s17, s7, s18
	s_mul_hi_u32 s19, s2, s18
	s_mul_i32 s11, s2, s18
	s_mul_hi_u32 s18, s7, s10
	s_mul_i32 s7, s7, s10
	s_mul_hi_u32 s20, s2, s10
	s_add_u32 s7, s17, s7
	s_addc_u32 s17, 0, s18
	s_add_u32 s7, s7, s11
	s_mul_i32 s10, s2, s10
	s_addc_u32 s7, s17, s19
	s_addc_u32 s11, s20, 0
	s_add_u32 s7, s7, s10
	s_addc_u32 s10, 0, s11
	v_add_co_u32 v1, s7, v1, s7
	s_delay_alu instid0(VALU_DEP_1) | instskip(SKIP_1) | instid1(VALU_DEP_1)
	s_cmp_lg_u32 s7, 0
	s_addc_u32 s2, s2, s10
	v_readfirstlane_b32 s7, v1
	s_mul_i32 s10, s8, s2
	s_delay_alu instid0(VALU_DEP_1)
	s_mul_hi_u32 s11, s8, s7
	s_mul_i32 s9, s9, s7
	s_add_i32 s10, s11, s10
	s_mul_i32 s8, s8, s7
	s_add_i32 s10, s10, s9
	s_mul_hi_u32 s11, s2, s8
	s_mul_i32 s17, s2, s8
	s_mul_hi_u32 s8, s7, s8
	s_mul_hi_u32 s18, s7, s10
	s_mul_i32 s7, s7, s10
	s_mul_hi_u32 s9, s2, s10
	s_add_u32 s7, s8, s7
	s_addc_u32 s8, 0, s18
	s_add_u32 s7, s7, s17
	s_mul_i32 s10, s2, s10
	s_addc_u32 s7, s8, s11
	s_addc_u32 s8, s9, 0
	s_add_u32 s7, s7, s10
	s_addc_u32 s8, 0, s8
	v_add_co_u32 v1, s7, v1, s7
	s_delay_alu instid0(VALU_DEP_1) | instskip(SKIP_2) | instid1(VALU_DEP_1)
	s_cmp_lg_u32 s7, 0
	s_addc_u32 s7, s2, s8
	s_ashr_i32 s8, s3, 31
	v_readfirstlane_b32 s10, v1
	s_add_u32 s2, s6, s8
	s_mov_b32 s9, s8
	s_addc_u32 s3, s3, s8
	s_delay_alu instid0(SALU_CYCLE_1) | instskip(NEXT) | instid1(SALU_CYCLE_1)
	s_xor_b64 s[2:3], s[2:3], s[8:9]
	s_mul_i32 s17, s2, s7
	s_mul_hi_u32 s18, s2, s10
	s_mul_hi_u32 s11, s2, s7
	;; [unrolled: 1-line block ×3, first 2 shown]
	s_mul_i32 s10, s3, s10
	s_add_u32 s17, s18, s17
	s_addc_u32 s11, 0, s11
	s_mul_hi_u32 s19, s3, s7
	s_add_u32 s10, s17, s10
	s_mul_i32 s7, s3, s7
	s_addc_u32 s10, s11, s20
	s_addc_u32 s11, s19, 0
	s_add_u32 s7, s10, s7
	s_addc_u32 s10, 0, s11
	s_mul_i32 s17, s13, s7
	s_add_u32 s11, s7, 1
	v_sub_co_u32 v1, s2, s2, s17
	s_mul_hi_u32 s17, s13, s7
	s_addc_u32 s18, s10, 0
	s_mul_i32 s19, s13, s10
	s_delay_alu instid0(VALU_DEP_1)
	v_sub_co_u32 v4, s20, v1, s13
	s_add_u32 s21, s7, 2
	s_addc_u32 s22, s10, 0
	s_add_i32 s17, s17, s19
	s_cmp_lg_u32 s2, 0
	v_readfirstlane_b32 s2, v4
	s_subb_u32 s3, s3, s17
	s_cmp_lg_u32 s20, 0
	s_subb_u32 s17, s3, 0
	s_delay_alu instid0(VALU_DEP_1) | instskip(SKIP_4) | instid1(SALU_CYCLE_1)
	s_cmp_ge_u32 s2, s13
	s_cselect_b32 s2, -1, 0
	s_cmp_eq_u32 s17, 0
	v_readfirstlane_b32 s17, v1
	s_cselect_b32 s2, s2, -1
	s_cmp_lg_u32 s2, 0
	s_cselect_b32 s2, s21, s11
	s_cselect_b32 s11, s22, s18
	s_cmp_ge_u32 s17, s13
	s_cselect_b32 s17, -1, 0
	s_cmp_eq_u32 s3, 0
	s_cselect_b32 s3, s17, -1
	s_delay_alu instid0(SALU_CYCLE_1) | instskip(SKIP_2) | instid1(SALU_CYCLE_1)
	s_cmp_lg_u32 s3, 0
	s_cselect_b32 s3, s11, s10
	s_cselect_b32 s2, s2, s7
	s_xor_b64 s[2:3], s[2:3], s[8:9]
	s_delay_alu instid0(SALU_CYCLE_1)
	s_sub_u32 s2, s2, s8
	s_subb_u32 s3, s3, s8
	s_cbranch_execnz .LBB40_5
.LBB40_4:
	v_cvt_f32_u32_e32 v1, s13
	s_sub_i32 s3, 0, s13
	s_delay_alu instid0(VALU_DEP_1) | instskip(SKIP_2) | instid1(VALU_DEP_1)
	v_rcp_iflag_f32_e32 v1, v1
	s_waitcnt_depctr 0xfff
	v_mul_f32_e32 v1, 0x4f7ffffe, v1
	v_cvt_u32_f32_e32 v1, v1
	s_delay_alu instid0(VALU_DEP_1) | instskip(NEXT) | instid1(VALU_DEP_1)
	v_readfirstlane_b32 s2, v1
	s_mul_i32 s3, s3, s2
	s_delay_alu instid0(SALU_CYCLE_1) | instskip(NEXT) | instid1(SALU_CYCLE_1)
	s_mul_hi_u32 s3, s2, s3
	s_add_i32 s2, s2, s3
	s_delay_alu instid0(SALU_CYCLE_1) | instskip(NEXT) | instid1(SALU_CYCLE_1)
	s_mul_hi_u32 s2, s6, s2
	s_mul_i32 s3, s2, s13
	s_delay_alu instid0(SALU_CYCLE_1)
	s_sub_i32 s3, s6, s3
	s_add_i32 s6, s2, 1
	s_sub_i32 s7, s3, s13
	s_cmp_ge_u32 s3, s13
	s_cselect_b32 s2, s6, s2
	s_cselect_b32 s3, s7, s3
	s_add_i32 s6, s2, 1
	s_cmp_ge_u32 s3, s13
	s_mov_b32 s3, 0
	s_cselect_b32 s2, s6, s2
.LBB40_5:
	v_mov_b32_e32 v13, 0
	s_add_u32 s2, s2, 1
	s_addc_u32 s3, s3, 0
	s_mul_hi_u32 s6, s16, s14
	s_mul_hi_u32 s7, s12, s2
	v_mov_b32_e32 v1, v13
	s_mul_i32 s3, s12, s3
	s_mul_i32 s6, s6, s2
	s_add_i32 s3, s7, s3
	s_mul_i32 s2, s12, s2
	v_mad_u64_u32 v[15:16], null, s14, s15, v[0:1]
	s_add_i32 s3, s3, s6
	s_mov_b32 s6, exec_lo
	s_lshl_b64 s[2:3], s[2:3], 1
	s_delay_alu instid0(VALU_DEP_1) | instid1(SALU_CYCLE_1)
	v_cmpx_gt_i64_e64 s[2:3], v[15:16]
	s_cbranch_execz .LBB40_30
; %bb.6:
	v_alignbit_b32 v19, v3, v2, 2
	v_mad_u64_u32 v[6:7], null, 0xcd9e8d57, v15, 0
	v_lshrrev_b32_e32 v20, 2, v3
	s_waitcnt vmcnt(0)
	v_dual_mov_b32 v14, v12 :: v_dual_and_b32 v35, 3, v2
	v_mad_u64_u32 v[4:5], null, 0xd2511f53, v19, 0
	v_add_co_u32 v22, null, 0x9e3779b9, v11
	v_xor3_b32 v3, v11, v7, v20
	s_delay_alu instid0(VALU_DEP_4) | instskip(SKIP_2) | instid1(VALU_DEP_4)
	v_add_co_u32 v21, null, 0xbb67ae85, v14
	v_add_co_u32 v23, null, 0x3c6ef372, v11
	v_xor_b32_e32 v1, v5, v12
	v_mad_u64_u32 v[7:8], null, 0xd2511f53, v3, 0
	v_add_co_u32 v24, null, 0x76cf5d0a, v14
	s_delay_alu instid0(VALU_DEP_3) | instskip(SKIP_2) | instid1(VALU_DEP_3)
	v_xor_b32_e32 v1, v1, v16
	v_add_co_u32 v25, null, 0x32370b8f, v14
	v_add_co_u32 v26, null, 0xdaa66d2b, v11
	v_mad_u64_u32 v[9:10], null, 0xcd9e8d57, v1, 0
	v_xor3_b32 v1, v21, v8, v4
	v_add_co_u32 v27, null, 0x78dde6e4, v11
	v_add_co_u32 v28, null, 0xed9eba14, v14
	s_delay_alu instid0(VALU_DEP_3) | instskip(SKIP_3) | instid1(VALU_DEP_3)
	v_mad_u64_u32 v[3:4], null, 0xcd9e8d57, v1, 0
	v_xor3_b32 v8, v22, v10, v6
	v_add_co_u32 v29, null, 0xa9066899, v14
	v_add_co_u32 v30, null, 0x1715609d, v11
	v_mad_u64_u32 v[5:6], null, 0xd2511f53, v8, 0
	v_xor3_b32 v1, v23, v4, v9
	v_add_co_u32 v31, null, 0xb54cda56, v11
	v_add_co_u32 v32, null, 0x646e171e, v14
	;; [unrolled: 1-line block ×3, first 2 shown]
	v_xor3_b32 v4, v24, v6, v7
	v_mad_u64_u32 v[6:7], null, 0xd2511f53, v1, 0
	v_add_co_u32 v34, null, 0x5384540f, v11
	s_delay_alu instid0(VALU_DEP_3)
	v_mad_u64_u32 v[8:9], null, 0xcd9e8d57, v4, 0
	s_clause 0x2
	s_load_b64 s[6:7], s[0:1], 0x30
	s_load_b32 s17, s[0:1], 0x38
	s_load_b128 s[8:11], s[0:1], 0x40
	v_add_co_u32 v37, null, 0xf1bbcdc8, v11
	v_xor3_b32 v1, v25, v7, v5
	v_add_co_u32 v38, null, 0xdb3d7428, v14
	v_xor3_b32 v5, v26, v9, v3
	v_dual_mov_b32 v40, v15 :: v_dual_add_nc_u32 v39, 0x96a522ad, v12
	s_delay_alu instid0(VALU_DEP_4) | instskip(NEXT) | instid1(VALU_DEP_3)
	v_mad_u64_u32 v[3:4], null, 0xcd9e8d57, v1, 0
	v_mad_u64_u32 v[9:10], null, 0xd2511f53, v5, 0
	v_mov_b32_e32 v43, v16
	s_mov_b32 s1, 0
	s_delay_alu instid0(VALU_DEP_3) | instskip(NEXT) | instid1(VALU_DEP_3)
	v_xor3_b32 v1, v27, v4, v8
	v_xor3_b32 v8, v28, v10, v6
	s_waitcnt lgkmcnt(0)
	s_mul_i32 s0, s16, s17
	s_delay_alu instid0(VALU_DEP_2) | instskip(NEXT) | instid1(VALU_DEP_2)
	v_mad_u64_u32 v[4:5], null, 0xd2511f53, v1, 0
	v_mad_u64_u32 v[6:7], null, 0xcd9e8d57, v8, 0
	s_mul_i32 s0, s0, s14
	s_delay_alu instid0(SALU_CYCLE_1) | instskip(NEXT) | instid1(VALU_DEP_2)
	s_lshl_b32 s11, s0, 1
	v_xor3_b32 v1, v29, v5, v9
	s_delay_alu instid0(VALU_DEP_2) | instskip(NEXT) | instid1(VALU_DEP_2)
	v_xor3_b32 v3, v30, v7, v3
	v_mad_u64_u32 v[7:8], null, 0xcd9e8d57, v1, 0
	s_delay_alu instid0(VALU_DEP_2) | instskip(NEXT) | instid1(VALU_DEP_2)
	v_mad_u64_u32 v[9:10], null, 0xd2511f53, v3, 0
	v_xor3_b32 v1, v31, v8, v6
	s_delay_alu instid0(VALU_DEP_2) | instskip(NEXT) | instid1(VALU_DEP_2)
	v_xor3_b32 v8, v32, v10, v4
	v_mad_u64_u32 v[3:4], null, 0xd2511f53, v1, 0
	s_delay_alu instid0(VALU_DEP_2) | instskip(NEXT) | instid1(VALU_DEP_2)
	v_mad_u64_u32 v[5:6], null, 0xcd9e8d57, v8, 0
	v_xor3_b32 v1, v33, v4, v9
	s_delay_alu instid0(VALU_DEP_2) | instskip(NEXT) | instid1(VALU_DEP_2)
	v_xor3_b32 v2, v34, v6, v7
	v_mad_u64_u32 v[6:7], null, 0xcd9e8d57, v1, 0
	s_delay_alu instid0(VALU_DEP_2) | instskip(SKIP_2) | instid1(VALU_DEP_3)
	v_mad_u64_u32 v[8:9], null, 0xd2511f53, v2, 0
	v_mad_u64_u32 v[17:18], null, s15, s14, v[0:1]
	s_add_i32 s15, s15, s16
	v_xor3_b32 v1, v37, v7, v5
	s_delay_alu instid0(VALU_DEP_3) | instskip(NEXT) | instid1(VALU_DEP_3)
	v_xor3_b32 v7, v38, v9, v3
	v_mul_lo_u32 v41, s17, v17
	s_delay_alu instid0(VALU_DEP_3) | instskip(SKIP_1) | instid1(VALU_DEP_4)
	v_mad_u64_u32 v[3:4], null, s15, s14, v[0:1]
	v_mad_u64_u32 v[4:5], null, 0xd2511f53, v1, 0
	;; [unrolled: 1-line block ×3, first 2 shown]
	v_add_nc_u32_e32 v36, 0x8ff34781, v11
	s_mov_b32 s14, 0
	s_delay_alu instid0(VALU_DEP_4) | instskip(NEXT) | instid1(VALU_DEP_4)
	v_mul_lo_u32 v42, s17, v3
	v_mov_b32_e32 v3, v4
	s_delay_alu instid0(VALU_DEP_3)
	v_xor3_b32 v0, v2, v6, v36
	v_xor3_b32 v2, v5, v8, v39
	s_branch .LBB40_9
.LBB40_7:                               ;   in Loop: Header=BB40_9 Depth=1
	s_or_b32 exec_lo, exec_lo, s0
	v_add_nc_u32_e32 v0, s14, v42
	s_delay_alu instid0(VALU_DEP_2) | instskip(NEXT) | instid1(VALU_DEP_2)
	v_add_nc_u32_e32 v2, s10, v7
	v_ashrrev_i32_e32 v1, 31, v0
	v_add_co_u32 v0, vcc_lo, s6, v0
	s_delay_alu instid0(VALU_DEP_2)
	v_add_co_ci_u32_e32 v1, vcc_lo, s7, v1, vcc_lo
	global_store_b16 v[0:1], v2, off
.LBB40_8:                               ;   in Loop: Header=BB40_9 Depth=1
	s_or_b32 exec_lo, exec_lo, s15
	v_add_co_u32 v15, vcc_lo, v15, s13
	v_add_co_ci_u32_e32 v16, vcc_lo, 0, v16, vcc_lo
	v_mov_b32_e32 v7, v17
	v_dual_mov_b32 v0, v4 :: v_dual_mov_b32 v1, v5
	s_delay_alu instid0(VALU_DEP_3) | instskip(NEXT) | instid1(VALU_DEP_3)
	v_cmp_le_i64_e32 vcc_lo, s[2:3], v[15:16]
	v_dual_mov_b32 v2, v6 :: v_dual_mov_b32 v3, v7
	s_add_i32 s14, s14, s11
	s_waitcnt_vscnt null, 0x0
	s_barrier
	s_or_b32 s1, vcc_lo, s1
	buffer_gl0_inv
	s_and_not1_b32 exec_lo, exec_lo, s1
	s_cbranch_execz .LBB40_30
.LBB40_9:                               ; =>This Inner Loop Header: Depth=1
	v_add_co_u32 v19, vcc_lo, v19, 1
	s_delay_alu instid0(VALU_DEP_1) | instskip(SKIP_2) | instid1(VALU_DEP_1)
	v_cndmask_b32_e64 v4, 0, 1, vcc_lo
	v_add_co_ci_u32_e32 v20, vcc_lo, 0, v20, vcc_lo
	s_mov_b32 s0, exec_lo
	v_cmp_eq_u32_e32 vcc_lo, 0, v20
	s_delay_alu instid0(VALU_DEP_3) | instskip(NEXT) | instid1(VALU_DEP_1)
	v_cndmask_b32_e32 v4, 0, v4, vcc_lo
	v_add_nc_u32_e32 v40, v4, v40
	s_delay_alu instid0(VALU_DEP_1) | instskip(SKIP_2) | instid1(VALU_DEP_2)
	v_cmp_eq_u32_e32 vcc_lo, 0, v40
	v_mad_u64_u32 v[6:7], null, 0xcd9e8d57, v40, 0
	v_cndmask_b32_e32 v4, 0, v4, vcc_lo
	v_xor3_b32 v9, v7, v11, v20
	s_delay_alu instid0(VALU_DEP_2) | instskip(SKIP_1) | instid1(VALU_DEP_3)
	v_add_nc_u32_e32 v43, v4, v43
	v_mad_u64_u32 v[4:5], null, 0xd2511f53, v19, 0
	v_mad_u64_u32 v[7:8], null, 0xd2511f53, v9, 0
	s_delay_alu instid0(VALU_DEP_2) | instskip(NEXT) | instid1(VALU_DEP_2)
	v_xor_b32_e32 v5, v5, v12
	v_xor3_b32 v8, v21, v8, v4
	s_delay_alu instid0(VALU_DEP_2) | instskip(NEXT) | instid1(VALU_DEP_1)
	v_xor_b32_e32 v5, v43, v5
	v_mad_u64_u32 v[9:10], null, 0xcd9e8d57, v5, 0
	s_delay_alu instid0(VALU_DEP_3) | instskip(NEXT) | instid1(VALU_DEP_2)
	v_mad_u64_u32 v[4:5], null, 0xcd9e8d57, v8, 0
	v_xor3_b32 v6, v22, v10, v6
	s_delay_alu instid0(VALU_DEP_2) | instskip(NEXT) | instid1(VALU_DEP_2)
	v_xor3_b32 v8, v23, v5, v9
	v_mad_u64_u32 v[17:18], null, 0xd2511f53, v6, 0
	s_delay_alu instid0(VALU_DEP_2) | instskip(NEXT) | instid1(VALU_DEP_2)
	v_mad_u64_u32 v[5:6], null, 0xd2511f53, v8, 0
	v_xor3_b32 v9, v24, v18, v7
	s_delay_alu instid0(VALU_DEP_2) | instskip(NEXT) | instid1(VALU_DEP_2)
	v_xor3_b32 v6, v25, v6, v17
	v_mad_u64_u32 v[7:8], null, 0xcd9e8d57, v9, 0
	s_delay_alu instid0(VALU_DEP_1) | instskip(NEXT) | instid1(VALU_DEP_3)
	v_xor3_b32 v4, v26, v8, v4
	v_mad_u64_u32 v[8:9], null, 0xcd9e8d57, v6, 0
	s_delay_alu instid0(VALU_DEP_2) | instskip(NEXT) | instid1(VALU_DEP_2)
	v_mad_u64_u32 v[17:18], null, 0xd2511f53, v4, 0
	v_xor3_b32 v6, v27, v9, v7
	s_delay_alu instid0(VALU_DEP_2) | instskip(NEXT) | instid1(VALU_DEP_2)
	v_xor3_b32 v9, v28, v18, v5
	v_mad_u64_u32 v[4:5], null, 0xd2511f53, v6, 0
	s_delay_alu instid0(VALU_DEP_2) | instskip(NEXT) | instid1(VALU_DEP_2)
	v_mad_u64_u32 v[6:7], null, 0xcd9e8d57, v9, 0
	v_xor3_b32 v5, v29, v5, v17
	s_delay_alu instid0(VALU_DEP_2) | instskip(NEXT) | instid1(VALU_DEP_2)
	;; [unrolled: 6-line block ×6, first 2 shown]
	v_xor3_b32 v4, v6, v7, v36
	v_mov_b32_e32 v6, v10
	v_cmpx_lt_i32_e32 1, v35
	s_xor_b32 s0, exec_lo, s0
	s_cbranch_execnz .LBB40_12
; %bb.10:                               ;   in Loop: Header=BB40_9 Depth=1
	s_and_not1_saveexec_b32 s0, s0
	s_cbranch_execnz .LBB40_17
.LBB40_11:                              ;   in Loop: Header=BB40_9 Depth=1
	s_or_b32 exec_lo, exec_lo, s0
	s_delay_alu instid0(SALU_CYCLE_1)
	s_mov_b32 s15, exec_lo
	v_cmpx_gt_i64_e64 s[4:5], v[15:16]
	s_cbranch_execnz .LBB40_20
	s_branch .LBB40_25
.LBB40_12:                              ;   in Loop: Header=BB40_9 Depth=1
	s_mov_b32 s15, exec_lo
	v_cmpx_lt_i32_e32 2, v35
	s_xor_b32 s15, exec_lo, s15
; %bb.13:                               ;   in Loop: Header=BB40_9 Depth=1
	v_dual_mov_b32 v7, v3 :: v_dual_mov_b32 v8, v4
	v_mov_b32_e32 v9, v5
	s_delay_alu instid0(VALU_DEP_2) | instskip(NEXT) | instid1(VALU_DEP_2)
	v_dual_mov_b32 v0, v7 :: v_dual_mov_b32 v1, v8
	v_dual_mov_b32 v2, v9 :: v_dual_mov_b32 v3, v10
; %bb.14:                               ;   in Loop: Header=BB40_9 Depth=1
	s_and_not1_saveexec_b32 s15, s15
; %bb.15:                               ;   in Loop: Header=BB40_9 Depth=1
	s_delay_alu instid0(VALU_DEP_1)
	v_dual_mov_b32 v0, v2 :: v_dual_mov_b32 v1, v3
	v_dual_mov_b32 v2, v4 :: v_dual_mov_b32 v3, v5
; %bb.16:                               ;   in Loop: Header=BB40_9 Depth=1
	s_or_b32 exec_lo, exec_lo, s15
	s_and_not1_saveexec_b32 s0, s0
	s_cbranch_execz .LBB40_11
.LBB40_17:                              ;   in Loop: Header=BB40_9 Depth=1
	s_mov_b32 s15, exec_lo
	v_cmpx_eq_u32_e32 1, v35
; %bb.18:                               ;   in Loop: Header=BB40_9 Depth=1
	v_dual_mov_b32 v0, v1 :: v_dual_mov_b32 v1, v2
	v_dual_mov_b32 v2, v3 :: v_dual_mov_b32 v3, v4
; %bb.19:                               ;   in Loop: Header=BB40_9 Depth=1
	s_or_b32 exec_lo, exec_lo, s15
	s_delay_alu instid0(SALU_CYCLE_1) | instskip(NEXT) | instid1(SALU_CYCLE_1)
	s_or_b32 exec_lo, exec_lo, s0
	s_mov_b32 s15, exec_lo
	v_cmpx_gt_i64_e64 s[4:5], v[15:16]
	s_cbranch_execz .LBB40_25
.LBB40_20:                              ;   in Loop: Header=BB40_9 Depth=1
	v_or_b32_e32 v14, s9, v0
                                        ; implicit-def: $vgpr7_vgpr8
	s_mov_b32 s0, exec_lo
	s_delay_alu instid0(VALU_DEP_1)
	v_cmpx_ne_u64_e32 0, v[13:14]
	s_xor_b32 s16, exec_lo, s0
	s_cbranch_execz .LBB40_22
; %bb.21:                               ;   in Loop: Header=BB40_9 Depth=1
	v_cvt_f32_u32_e32 v7, s8
	v_cvt_f32_u32_e32 v8, s9
	s_sub_u32 s0, 0, s8
	s_subb_u32 s17, 0, s9
	s_delay_alu instid0(VALU_DEP_1) | instskip(NEXT) | instid1(VALU_DEP_1)
	v_fmac_f32_e32 v7, 0x4f800000, v8
	v_rcp_f32_e32 v7, v7
	s_waitcnt_depctr 0xfff
	v_mul_f32_e32 v7, 0x5f7ffffc, v7
	s_delay_alu instid0(VALU_DEP_1) | instskip(NEXT) | instid1(VALU_DEP_1)
	v_mul_f32_e32 v8, 0x2f800000, v7
	v_trunc_f32_e32 v8, v8
	s_delay_alu instid0(VALU_DEP_1) | instskip(SKIP_1) | instid1(VALU_DEP_2)
	v_fmac_f32_e32 v7, 0xcf800000, v8
	v_cvt_u32_f32_e32 v8, v8
	v_cvt_u32_f32_e32 v7, v7
	s_delay_alu instid0(VALU_DEP_2) | instskip(NEXT) | instid1(VALU_DEP_2)
	v_mul_lo_u32 v9, s0, v8
	v_mul_hi_u32 v10, s0, v7
	v_mul_lo_u32 v14, s17, v7
	s_delay_alu instid0(VALU_DEP_2) | instskip(SKIP_1) | instid1(VALU_DEP_2)
	v_add_nc_u32_e32 v9, v10, v9
	v_mul_lo_u32 v10, s0, v7
	v_add_nc_u32_e32 v9, v9, v14
	s_delay_alu instid0(VALU_DEP_2) | instskip(NEXT) | instid1(VALU_DEP_2)
	v_mul_hi_u32 v14, v7, v10
	v_mul_lo_u32 v18, v7, v9
	v_mul_hi_u32 v44, v7, v9
	v_mul_hi_u32 v45, v8, v10
	v_mul_lo_u32 v10, v8, v10
	v_mul_hi_u32 v46, v8, v9
	v_mul_lo_u32 v9, v8, v9
	v_add_co_u32 v14, vcc_lo, v14, v18
	v_add_co_ci_u32_e32 v18, vcc_lo, 0, v44, vcc_lo
	s_delay_alu instid0(VALU_DEP_2) | instskip(NEXT) | instid1(VALU_DEP_2)
	v_add_co_u32 v10, vcc_lo, v14, v10
	v_add_co_ci_u32_e32 v10, vcc_lo, v18, v45, vcc_lo
	v_add_co_ci_u32_e32 v14, vcc_lo, 0, v46, vcc_lo
	s_delay_alu instid0(VALU_DEP_2) | instskip(NEXT) | instid1(VALU_DEP_2)
	v_add_co_u32 v9, vcc_lo, v10, v9
	v_add_co_ci_u32_e32 v10, vcc_lo, 0, v14, vcc_lo
	s_delay_alu instid0(VALU_DEP_2) | instskip(NEXT) | instid1(VALU_DEP_2)
	v_add_co_u32 v7, vcc_lo, v7, v9
	v_add_co_ci_u32_e32 v8, vcc_lo, v8, v10, vcc_lo
	s_delay_alu instid0(VALU_DEP_2) | instskip(SKIP_1) | instid1(VALU_DEP_3)
	v_mul_hi_u32 v9, s0, v7
	v_mul_lo_u32 v14, s17, v7
	v_mul_lo_u32 v10, s0, v8
	s_delay_alu instid0(VALU_DEP_1) | instskip(SKIP_1) | instid1(VALU_DEP_2)
	v_add_nc_u32_e32 v9, v9, v10
	v_mul_lo_u32 v10, s0, v7
	v_add_nc_u32_e32 v9, v9, v14
	s_delay_alu instid0(VALU_DEP_2) | instskip(NEXT) | instid1(VALU_DEP_2)
	v_mul_hi_u32 v14, v7, v10
	v_mul_lo_u32 v18, v7, v9
	v_mul_hi_u32 v44, v7, v9
	v_mul_hi_u32 v45, v8, v10
	v_mul_lo_u32 v10, v8, v10
	v_mul_hi_u32 v46, v8, v9
	v_mul_lo_u32 v9, v8, v9
	v_add_co_u32 v14, vcc_lo, v14, v18
	v_add_co_ci_u32_e32 v18, vcc_lo, 0, v44, vcc_lo
	s_delay_alu instid0(VALU_DEP_2) | instskip(NEXT) | instid1(VALU_DEP_2)
	v_add_co_u32 v10, vcc_lo, v14, v10
	v_add_co_ci_u32_e32 v10, vcc_lo, v18, v45, vcc_lo
	v_add_co_ci_u32_e32 v14, vcc_lo, 0, v46, vcc_lo
	s_delay_alu instid0(VALU_DEP_2) | instskip(NEXT) | instid1(VALU_DEP_2)
	v_add_co_u32 v9, vcc_lo, v10, v9
	v_add_co_ci_u32_e32 v10, vcc_lo, 0, v14, vcc_lo
	s_delay_alu instid0(VALU_DEP_2) | instskip(NEXT) | instid1(VALU_DEP_2)
	v_add_co_u32 v14, vcc_lo, v7, v9
	v_add_co_ci_u32_e32 v18, vcc_lo, v8, v10, vcc_lo
	s_delay_alu instid0(VALU_DEP_2) | instskip(SKIP_1) | instid1(VALU_DEP_3)
	v_mul_hi_u32 v46, v1, v14
	v_mad_u64_u32 v[9:10], null, v0, v14, 0
	v_mad_u64_u32 v[7:8], null, v1, v18, 0
	;; [unrolled: 1-line block ×3, first 2 shown]
	s_delay_alu instid0(VALU_DEP_2) | instskip(NEXT) | instid1(VALU_DEP_3)
	v_add_co_u32 v7, vcc_lo, v46, v7
	v_add_co_ci_u32_e32 v8, vcc_lo, 0, v8, vcc_lo
	s_delay_alu instid0(VALU_DEP_2) | instskip(NEXT) | instid1(VALU_DEP_2)
	v_add_co_u32 v7, vcc_lo, v7, v9
	v_add_co_ci_u32_e32 v7, vcc_lo, v8, v10, vcc_lo
	v_add_co_ci_u32_e32 v8, vcc_lo, 0, v45, vcc_lo
	s_delay_alu instid0(VALU_DEP_2) | instskip(NEXT) | instid1(VALU_DEP_2)
	v_add_co_u32 v9, vcc_lo, v7, v44
	v_add_co_ci_u32_e32 v10, vcc_lo, 0, v8, vcc_lo
	s_delay_alu instid0(VALU_DEP_2) | instskip(SKIP_1) | instid1(VALU_DEP_3)
	v_mul_lo_u32 v14, s9, v9
	v_mad_u64_u32 v[7:8], null, s8, v9, 0
	v_mul_lo_u32 v9, s8, v10
	s_delay_alu instid0(VALU_DEP_2) | instskip(NEXT) | instid1(VALU_DEP_2)
	v_sub_co_u32 v7, vcc_lo, v1, v7
	v_add3_u32 v8, v8, v9, v14
	s_delay_alu instid0(VALU_DEP_1) | instskip(NEXT) | instid1(VALU_DEP_1)
	v_sub_nc_u32_e32 v9, v0, v8
	v_subrev_co_ci_u32_e64 v9, s0, s9, v9, vcc_lo
	s_delay_alu instid0(VALU_DEP_4) | instskip(SKIP_1) | instid1(VALU_DEP_3)
	v_sub_co_u32 v10, s0, v7, s8
	v_sub_co_ci_u32_e32 v0, vcc_lo, v0, v8, vcc_lo
	v_subrev_co_ci_u32_e64 v9, s0, 0, v9, s0
	s_delay_alu instid0(VALU_DEP_3) | instskip(SKIP_1) | instid1(VALU_DEP_3)
	v_cmp_le_u32_e32 vcc_lo, s8, v10
	v_cndmask_b32_e64 v8, 0, -1, vcc_lo
	v_cmp_le_u32_e32 vcc_lo, s9, v9
	v_cndmask_b32_e64 v14, 0, -1, vcc_lo
	v_cmp_le_u32_e32 vcc_lo, s8, v7
	v_cndmask_b32_e64 v18, 0, -1, vcc_lo
	v_cmp_le_u32_e32 vcc_lo, s9, v0
	v_cndmask_b32_e64 v44, 0, -1, vcc_lo
	v_cmp_eq_u32_e32 vcc_lo, s9, v9
	v_cndmask_b32_e32 v8, v14, v8, vcc_lo
	v_sub_co_u32 v9, vcc_lo, v10, s8
	v_cmp_eq_u32_e32 vcc_lo, s9, v0
	v_cndmask_b32_e32 v0, v44, v18, vcc_lo
	s_delay_alu instid0(VALU_DEP_4) | instskip(NEXT) | instid1(VALU_DEP_4)
	v_cmp_ne_u32_e32 vcc_lo, 0, v8
	v_cndmask_b32_e32 v8, v10, v9, vcc_lo
	s_delay_alu instid0(VALU_DEP_3) | instskip(NEXT) | instid1(VALU_DEP_2)
	v_cmp_ne_u32_e32 vcc_lo, 0, v0
	v_cndmask_b32_e32 v7, v7, v8, vcc_lo
.LBB40_22:                              ;   in Loop: Header=BB40_9 Depth=1
	s_and_not1_saveexec_b32 s0, s16
	s_cbranch_execz .LBB40_24
; %bb.23:                               ;   in Loop: Header=BB40_9 Depth=1
	v_cvt_f32_u32_e32 v0, s8
	s_sub_i32 s16, 0, s8
	s_delay_alu instid0(VALU_DEP_1) | instskip(SKIP_2) | instid1(VALU_DEP_1)
	v_rcp_iflag_f32_e32 v0, v0
	s_waitcnt_depctr 0xfff
	v_mul_f32_e32 v0, 0x4f7ffffe, v0
	v_cvt_u32_f32_e32 v0, v0
	s_delay_alu instid0(VALU_DEP_1) | instskip(NEXT) | instid1(VALU_DEP_1)
	v_mul_lo_u32 v7, s16, v0
	v_mul_hi_u32 v7, v0, v7
	s_delay_alu instid0(VALU_DEP_1) | instskip(NEXT) | instid1(VALU_DEP_1)
	v_add_nc_u32_e32 v0, v0, v7
	v_mul_hi_u32 v0, v1, v0
	s_delay_alu instid0(VALU_DEP_1) | instskip(NEXT) | instid1(VALU_DEP_1)
	v_mul_lo_u32 v0, v0, s8
	v_sub_nc_u32_e32 v0, v1, v0
	s_delay_alu instid0(VALU_DEP_1) | instskip(SKIP_1) | instid1(VALU_DEP_2)
	v_subrev_nc_u32_e32 v1, s8, v0
	v_cmp_le_u32_e32 vcc_lo, s8, v0
	v_cndmask_b32_e32 v0, v0, v1, vcc_lo
	s_delay_alu instid0(VALU_DEP_1) | instskip(SKIP_1) | instid1(VALU_DEP_2)
	v_subrev_nc_u32_e32 v1, s8, v0
	v_cmp_le_u32_e32 vcc_lo, s8, v0
	v_cndmask_b32_e32 v7, v0, v1, vcc_lo
.LBB40_24:                              ;   in Loop: Header=BB40_9 Depth=1
	s_or_b32 exec_lo, exec_lo, s0
	v_add_nc_u32_e32 v0, s14, v41
	s_delay_alu instid0(VALU_DEP_2) | instskip(NEXT) | instid1(VALU_DEP_2)
	v_add_nc_u32_e32 v7, s10, v7
	v_ashrrev_i32_e32 v1, 31, v0
	v_add_co_u32 v0, vcc_lo, s6, v0
	s_delay_alu instid0(VALU_DEP_2)
	v_add_co_ci_u32_e32 v1, vcc_lo, s7, v1, vcc_lo
	global_store_b16 v[0:1], v7, off
.LBB40_25:                              ;   in Loop: Header=BB40_9 Depth=1
	s_or_b32 exec_lo, exec_lo, s15
	v_add_co_u32 v0, vcc_lo, s12, v15
	v_add_co_ci_u32_e32 v1, vcc_lo, 0, v16, vcc_lo
	s_mov_b32 s15, exec_lo
	s_delay_alu instid0(VALU_DEP_1)
	v_cmpx_gt_i64_e64 s[4:5], v[0:1]
	s_cbranch_execz .LBB40_8
; %bb.26:                               ;   in Loop: Header=BB40_9 Depth=1
	v_or_b32_e32 v14, s9, v2
                                        ; implicit-def: $vgpr7_vgpr8
	s_mov_b32 s0, exec_lo
	s_delay_alu instid0(VALU_DEP_1)
	v_cmpx_ne_u64_e32 0, v[13:14]
	s_xor_b32 s16, exec_lo, s0
	s_cbranch_execz .LBB40_28
; %bb.27:                               ;   in Loop: Header=BB40_9 Depth=1
	v_cvt_f32_u32_e32 v0, s8
	v_cvt_f32_u32_e32 v1, s9
	s_sub_u32 s0, 0, s8
	s_subb_u32 s17, 0, s9
	s_delay_alu instid0(VALU_DEP_1) | instskip(NEXT) | instid1(VALU_DEP_1)
	v_fmac_f32_e32 v0, 0x4f800000, v1
	v_rcp_f32_e32 v0, v0
	s_waitcnt_depctr 0xfff
	v_mul_f32_e32 v0, 0x5f7ffffc, v0
	s_delay_alu instid0(VALU_DEP_1) | instskip(NEXT) | instid1(VALU_DEP_1)
	v_mul_f32_e32 v1, 0x2f800000, v0
	v_trunc_f32_e32 v1, v1
	s_delay_alu instid0(VALU_DEP_1) | instskip(SKIP_1) | instid1(VALU_DEP_2)
	v_fmac_f32_e32 v0, 0xcf800000, v1
	v_cvt_u32_f32_e32 v1, v1
	v_cvt_u32_f32_e32 v0, v0
	s_delay_alu instid0(VALU_DEP_2) | instskip(NEXT) | instid1(VALU_DEP_2)
	v_mul_lo_u32 v7, s0, v1
	v_mul_hi_u32 v8, s0, v0
	v_mul_lo_u32 v9, s17, v0
	s_delay_alu instid0(VALU_DEP_2) | instskip(SKIP_1) | instid1(VALU_DEP_2)
	v_add_nc_u32_e32 v7, v8, v7
	v_mul_lo_u32 v8, s0, v0
	v_add_nc_u32_e32 v7, v7, v9
	s_delay_alu instid0(VALU_DEP_2) | instskip(NEXT) | instid1(VALU_DEP_2)
	v_mul_hi_u32 v9, v0, v8
	v_mul_lo_u32 v10, v0, v7
	v_mul_hi_u32 v14, v0, v7
	v_mul_hi_u32 v18, v1, v8
	v_mul_lo_u32 v8, v1, v8
	v_mul_hi_u32 v44, v1, v7
	v_mul_lo_u32 v7, v1, v7
	v_add_co_u32 v9, vcc_lo, v9, v10
	v_add_co_ci_u32_e32 v10, vcc_lo, 0, v14, vcc_lo
	s_delay_alu instid0(VALU_DEP_2) | instskip(NEXT) | instid1(VALU_DEP_2)
	v_add_co_u32 v8, vcc_lo, v9, v8
	v_add_co_ci_u32_e32 v8, vcc_lo, v10, v18, vcc_lo
	v_add_co_ci_u32_e32 v9, vcc_lo, 0, v44, vcc_lo
	s_delay_alu instid0(VALU_DEP_2) | instskip(NEXT) | instid1(VALU_DEP_2)
	v_add_co_u32 v7, vcc_lo, v8, v7
	v_add_co_ci_u32_e32 v8, vcc_lo, 0, v9, vcc_lo
	s_delay_alu instid0(VALU_DEP_2) | instskip(NEXT) | instid1(VALU_DEP_2)
	v_add_co_u32 v0, vcc_lo, v0, v7
	v_add_co_ci_u32_e32 v1, vcc_lo, v1, v8, vcc_lo
	s_delay_alu instid0(VALU_DEP_2) | instskip(SKIP_1) | instid1(VALU_DEP_3)
	v_mul_hi_u32 v7, s0, v0
	v_mul_lo_u32 v9, s17, v0
	v_mul_lo_u32 v8, s0, v1
	s_delay_alu instid0(VALU_DEP_1) | instskip(SKIP_1) | instid1(VALU_DEP_2)
	v_add_nc_u32_e32 v7, v7, v8
	v_mul_lo_u32 v8, s0, v0
	v_add_nc_u32_e32 v7, v7, v9
	s_delay_alu instid0(VALU_DEP_2) | instskip(NEXT) | instid1(VALU_DEP_2)
	v_mul_hi_u32 v9, v0, v8
	v_mul_lo_u32 v10, v0, v7
	v_mul_hi_u32 v14, v0, v7
	v_mul_hi_u32 v18, v1, v8
	v_mul_lo_u32 v8, v1, v8
	v_mul_hi_u32 v44, v1, v7
	v_mul_lo_u32 v7, v1, v7
	v_add_co_u32 v9, vcc_lo, v9, v10
	v_add_co_ci_u32_e32 v10, vcc_lo, 0, v14, vcc_lo
	s_delay_alu instid0(VALU_DEP_2) | instskip(NEXT) | instid1(VALU_DEP_2)
	v_add_co_u32 v8, vcc_lo, v9, v8
	v_add_co_ci_u32_e32 v8, vcc_lo, v10, v18, vcc_lo
	v_add_co_ci_u32_e32 v9, vcc_lo, 0, v44, vcc_lo
	s_delay_alu instid0(VALU_DEP_2) | instskip(NEXT) | instid1(VALU_DEP_2)
	v_add_co_u32 v7, vcc_lo, v8, v7
	v_add_co_ci_u32_e32 v8, vcc_lo, 0, v9, vcc_lo
	s_delay_alu instid0(VALU_DEP_2) | instskip(NEXT) | instid1(VALU_DEP_2)
	v_add_co_u32 v9, vcc_lo, v0, v7
	v_add_co_ci_u32_e32 v14, vcc_lo, v1, v8, vcc_lo
	s_delay_alu instid0(VALU_DEP_2) | instskip(SKIP_1) | instid1(VALU_DEP_3)
	v_mul_hi_u32 v18, v3, v9
	v_mad_u64_u32 v[7:8], null, v2, v9, 0
	v_mad_u64_u32 v[0:1], null, v3, v14, 0
	;; [unrolled: 1-line block ×3, first 2 shown]
	s_delay_alu instid0(VALU_DEP_2) | instskip(NEXT) | instid1(VALU_DEP_3)
	v_add_co_u32 v0, vcc_lo, v18, v0
	v_add_co_ci_u32_e32 v1, vcc_lo, 0, v1, vcc_lo
	s_delay_alu instid0(VALU_DEP_2) | instskip(NEXT) | instid1(VALU_DEP_2)
	v_add_co_u32 v0, vcc_lo, v0, v7
	v_add_co_ci_u32_e32 v0, vcc_lo, v1, v8, vcc_lo
	v_add_co_ci_u32_e32 v1, vcc_lo, 0, v10, vcc_lo
	s_delay_alu instid0(VALU_DEP_2) | instskip(NEXT) | instid1(VALU_DEP_2)
	v_add_co_u32 v7, vcc_lo, v0, v9
	v_add_co_ci_u32_e32 v8, vcc_lo, 0, v1, vcc_lo
	s_delay_alu instid0(VALU_DEP_2) | instskip(SKIP_1) | instid1(VALU_DEP_3)
	v_mul_lo_u32 v9, s9, v7
	v_mad_u64_u32 v[0:1], null, s8, v7, 0
	v_mul_lo_u32 v7, s8, v8
	s_delay_alu instid0(VALU_DEP_2) | instskip(NEXT) | instid1(VALU_DEP_2)
	v_sub_co_u32 v0, vcc_lo, v3, v0
	v_add3_u32 v1, v1, v7, v9
	s_delay_alu instid0(VALU_DEP_1) | instskip(NEXT) | instid1(VALU_DEP_1)
	v_sub_nc_u32_e32 v7, v2, v1
	v_subrev_co_ci_u32_e64 v3, s0, s9, v7, vcc_lo
	s_delay_alu instid0(VALU_DEP_4) | instskip(SKIP_1) | instid1(VALU_DEP_3)
	v_sub_co_u32 v7, s0, v0, s8
	v_sub_co_ci_u32_e32 v1, vcc_lo, v2, v1, vcc_lo
	v_subrev_co_ci_u32_e64 v3, s0, 0, v3, s0
	s_delay_alu instid0(VALU_DEP_3) | instskip(SKIP_1) | instid1(VALU_DEP_3)
	v_cmp_le_u32_e32 vcc_lo, s8, v7
	v_cndmask_b32_e64 v2, 0, -1, vcc_lo
	v_cmp_le_u32_e32 vcc_lo, s9, v3
	v_cndmask_b32_e64 v8, 0, -1, vcc_lo
	;; [unrolled: 2-line block ×4, first 2 shown]
	v_cmp_eq_u32_e32 vcc_lo, s9, v3
	v_cndmask_b32_e32 v2, v8, v2, vcc_lo
	v_sub_co_u32 v3, vcc_lo, v7, s8
	v_cmp_eq_u32_e32 vcc_lo, s9, v1
	v_cndmask_b32_e32 v1, v10, v9, vcc_lo
	s_delay_alu instid0(VALU_DEP_4) | instskip(NEXT) | instid1(VALU_DEP_4)
	v_cmp_ne_u32_e32 vcc_lo, 0, v2
	v_cndmask_b32_e32 v2, v7, v3, vcc_lo
	s_delay_alu instid0(VALU_DEP_3) | instskip(NEXT) | instid1(VALU_DEP_2)
	v_cmp_ne_u32_e32 vcc_lo, 0, v1
	v_cndmask_b32_e32 v7, v0, v2, vcc_lo
                                        ; implicit-def: $vgpr0_vgpr1_vgpr2_vgpr3
.LBB40_28:                              ;   in Loop: Header=BB40_9 Depth=1
	s_and_not1_saveexec_b32 s0, s16
	s_cbranch_execz .LBB40_7
; %bb.29:                               ;   in Loop: Header=BB40_9 Depth=1
	v_cvt_f32_u32_e32 v0, s8
	s_sub_i32 s16, 0, s8
	s_delay_alu instid0(VALU_DEP_1) | instskip(SKIP_2) | instid1(VALU_DEP_1)
	v_rcp_iflag_f32_e32 v0, v0
	s_waitcnt_depctr 0xfff
	v_mul_f32_e32 v0, 0x4f7ffffe, v0
	v_cvt_u32_f32_e32 v0, v0
	s_delay_alu instid0(VALU_DEP_1) | instskip(NEXT) | instid1(VALU_DEP_1)
	v_mul_lo_u32 v1, s16, v0
	v_mul_hi_u32 v1, v0, v1
	s_delay_alu instid0(VALU_DEP_1) | instskip(NEXT) | instid1(VALU_DEP_1)
	v_add_nc_u32_e32 v0, v0, v1
	v_mul_hi_u32 v0, v3, v0
	s_delay_alu instid0(VALU_DEP_1) | instskip(NEXT) | instid1(VALU_DEP_1)
	v_mul_lo_u32 v0, v0, s8
	v_sub_nc_u32_e32 v0, v3, v0
	s_delay_alu instid0(VALU_DEP_1) | instskip(SKIP_1) | instid1(VALU_DEP_2)
	v_subrev_nc_u32_e32 v1, s8, v0
	v_cmp_le_u32_e32 vcc_lo, s8, v0
	v_cndmask_b32_e32 v0, v0, v1, vcc_lo
	s_delay_alu instid0(VALU_DEP_1) | instskip(SKIP_1) | instid1(VALU_DEP_2)
	v_subrev_nc_u32_e32 v1, s8, v0
	v_cmp_le_u32_e32 vcc_lo, s8, v0
	v_cndmask_b32_e32 v7, v0, v1, vcc_lo
	s_branch .LBB40_7
.LBB40_30:
	s_endpgm
.LBB40_31:
                                        ; implicit-def: $sgpr2_sgpr3
	s_branch .LBB40_4
	.section	.rodata,"a",@progbits
	.p2align	6, 0x0
	.amdhsa_kernel _ZN2at6native12_GLOBAL__N_143distribution_elementwise_grid_stride_kernelImLi2EZZZNS0_9templates4cuda21random_from_to_kernelIPNS_17CUDAGeneratorImplEEEvRNS_18TensorIteratorBaseEmlT_ENKUlvE_clEvENKUlvE9_clEvEUlP25hiprandStatePhilox4_32_10E_ZNS1_27distribution_nullary_kernelItm15HIP_vector_typeIyLj2EES7_SF_ZZZNS5_IS7_EEvS9_mlSA_ENKSB_clEvENKSC_clEvEUlmE_EEvS9_T2_RKT3_T4_EUlimE_EEvlNS_15PhiloxCudaStateET1_SK_
		.amdhsa_group_segment_fixed_size 0
		.amdhsa_private_segment_fixed_size 0
		.amdhsa_kernarg_size 336
		.amdhsa_user_sgpr_count 15
		.amdhsa_user_sgpr_dispatch_ptr 0
		.amdhsa_user_sgpr_queue_ptr 0
		.amdhsa_user_sgpr_kernarg_segment_ptr 1
		.amdhsa_user_sgpr_dispatch_id 0
		.amdhsa_user_sgpr_private_segment_size 0
		.amdhsa_wavefront_size32 1
		.amdhsa_uses_dynamic_stack 0
		.amdhsa_enable_private_segment 0
		.amdhsa_system_sgpr_workgroup_id_x 1
		.amdhsa_system_sgpr_workgroup_id_y 0
		.amdhsa_system_sgpr_workgroup_id_z 0
		.amdhsa_system_sgpr_workgroup_info 0
		.amdhsa_system_vgpr_workitem_id 0
		.amdhsa_next_free_vgpr 47
		.amdhsa_next_free_sgpr 23
		.amdhsa_reserve_vcc 1
		.amdhsa_float_round_mode_32 0
		.amdhsa_float_round_mode_16_64 0
		.amdhsa_float_denorm_mode_32 3
		.amdhsa_float_denorm_mode_16_64 3
		.amdhsa_dx10_clamp 1
		.amdhsa_ieee_mode 1
		.amdhsa_fp16_overflow 0
		.amdhsa_workgroup_processor_mode 1
		.amdhsa_memory_ordered 1
		.amdhsa_forward_progress 0
		.amdhsa_shared_vgpr_count 0
		.amdhsa_exception_fp_ieee_invalid_op 0
		.amdhsa_exception_fp_denorm_src 0
		.amdhsa_exception_fp_ieee_div_zero 0
		.amdhsa_exception_fp_ieee_overflow 0
		.amdhsa_exception_fp_ieee_underflow 0
		.amdhsa_exception_fp_ieee_inexact 0
		.amdhsa_exception_int_div_zero 0
	.end_amdhsa_kernel
	.section	.text._ZN2at6native12_GLOBAL__N_143distribution_elementwise_grid_stride_kernelImLi2EZZZNS0_9templates4cuda21random_from_to_kernelIPNS_17CUDAGeneratorImplEEEvRNS_18TensorIteratorBaseEmlT_ENKUlvE_clEvENKUlvE9_clEvEUlP25hiprandStatePhilox4_32_10E_ZNS1_27distribution_nullary_kernelItm15HIP_vector_typeIyLj2EES7_SF_ZZZNS5_IS7_EEvS9_mlSA_ENKSB_clEvENKSC_clEvEUlmE_EEvS9_T2_RKT3_T4_EUlimE_EEvlNS_15PhiloxCudaStateET1_SK_,"axG",@progbits,_ZN2at6native12_GLOBAL__N_143distribution_elementwise_grid_stride_kernelImLi2EZZZNS0_9templates4cuda21random_from_to_kernelIPNS_17CUDAGeneratorImplEEEvRNS_18TensorIteratorBaseEmlT_ENKUlvE_clEvENKUlvE9_clEvEUlP25hiprandStatePhilox4_32_10E_ZNS1_27distribution_nullary_kernelItm15HIP_vector_typeIyLj2EES7_SF_ZZZNS5_IS7_EEvS9_mlSA_ENKSB_clEvENKSC_clEvEUlmE_EEvS9_T2_RKT3_T4_EUlimE_EEvlNS_15PhiloxCudaStateET1_SK_,comdat
.Lfunc_end40:
	.size	_ZN2at6native12_GLOBAL__N_143distribution_elementwise_grid_stride_kernelImLi2EZZZNS0_9templates4cuda21random_from_to_kernelIPNS_17CUDAGeneratorImplEEEvRNS_18TensorIteratorBaseEmlT_ENKUlvE_clEvENKUlvE9_clEvEUlP25hiprandStatePhilox4_32_10E_ZNS1_27distribution_nullary_kernelItm15HIP_vector_typeIyLj2EES7_SF_ZZZNS5_IS7_EEvS9_mlSA_ENKSB_clEvENKSC_clEvEUlmE_EEvS9_T2_RKT3_T4_EUlimE_EEvlNS_15PhiloxCudaStateET1_SK_, .Lfunc_end40-_ZN2at6native12_GLOBAL__N_143distribution_elementwise_grid_stride_kernelImLi2EZZZNS0_9templates4cuda21random_from_to_kernelIPNS_17CUDAGeneratorImplEEEvRNS_18TensorIteratorBaseEmlT_ENKUlvE_clEvENKUlvE9_clEvEUlP25hiprandStatePhilox4_32_10E_ZNS1_27distribution_nullary_kernelItm15HIP_vector_typeIyLj2EES7_SF_ZZZNS5_IS7_EEvS9_mlSA_ENKSB_clEvENKSC_clEvEUlmE_EEvS9_T2_RKT3_T4_EUlimE_EEvlNS_15PhiloxCudaStateET1_SK_
                                        ; -- End function
	.section	.AMDGPU.csdata,"",@progbits
; Kernel info:
; codeLenInByte = 4348
; NumSgprs: 25
; NumVgprs: 47
; ScratchSize: 0
; MemoryBound: 0
; FloatMode: 240
; IeeeMode: 1
; LDSByteSize: 0 bytes/workgroup (compile time only)
; SGPRBlocks: 3
; VGPRBlocks: 5
; NumSGPRsForWavesPerEU: 25
; NumVGPRsForWavesPerEU: 47
; Occupancy: 16
; WaveLimiterHint : 0
; COMPUTE_PGM_RSRC2:SCRATCH_EN: 0
; COMPUTE_PGM_RSRC2:USER_SGPR: 15
; COMPUTE_PGM_RSRC2:TRAP_HANDLER: 0
; COMPUTE_PGM_RSRC2:TGID_X_EN: 1
; COMPUTE_PGM_RSRC2:TGID_Y_EN: 0
; COMPUTE_PGM_RSRC2:TGID_Z_EN: 0
; COMPUTE_PGM_RSRC2:TIDIG_COMP_CNT: 0
	.section	.text._ZN2at6native12_GLOBAL__N_143distribution_elementwise_grid_stride_kernelImLi2EZZZNS0_9templates4cuda21random_from_to_kernelIPNS_17CUDAGeneratorImplEEEvRNS_18TensorIteratorBaseEmlT_ENKUlvE_clEvENKUlvE9_clEvEUlP25hiprandStatePhilox4_32_10E_ZNS1_27distribution_nullary_kernelItm15HIP_vector_typeIyLj2EES7_SF_ZZZNS5_IS7_EEvS9_mlSA_ENKSB_clEvENKSC_clEvEUlmE_EEvS9_T2_RKT3_T4_EUlimE0_EEvlNS_15PhiloxCudaStateET1_SK_,"axG",@progbits,_ZN2at6native12_GLOBAL__N_143distribution_elementwise_grid_stride_kernelImLi2EZZZNS0_9templates4cuda21random_from_to_kernelIPNS_17CUDAGeneratorImplEEEvRNS_18TensorIteratorBaseEmlT_ENKUlvE_clEvENKUlvE9_clEvEUlP25hiprandStatePhilox4_32_10E_ZNS1_27distribution_nullary_kernelItm15HIP_vector_typeIyLj2EES7_SF_ZZZNS5_IS7_EEvS9_mlSA_ENKSB_clEvENKSC_clEvEUlmE_EEvS9_T2_RKT3_T4_EUlimE0_EEvlNS_15PhiloxCudaStateET1_SK_,comdat
	.globl	_ZN2at6native12_GLOBAL__N_143distribution_elementwise_grid_stride_kernelImLi2EZZZNS0_9templates4cuda21random_from_to_kernelIPNS_17CUDAGeneratorImplEEEvRNS_18TensorIteratorBaseEmlT_ENKUlvE_clEvENKUlvE9_clEvEUlP25hiprandStatePhilox4_32_10E_ZNS1_27distribution_nullary_kernelItm15HIP_vector_typeIyLj2EES7_SF_ZZZNS5_IS7_EEvS9_mlSA_ENKSB_clEvENKSC_clEvEUlmE_EEvS9_T2_RKT3_T4_EUlimE0_EEvlNS_15PhiloxCudaStateET1_SK_ ; -- Begin function _ZN2at6native12_GLOBAL__N_143distribution_elementwise_grid_stride_kernelImLi2EZZZNS0_9templates4cuda21random_from_to_kernelIPNS_17CUDAGeneratorImplEEEvRNS_18TensorIteratorBaseEmlT_ENKUlvE_clEvENKUlvE9_clEvEUlP25hiprandStatePhilox4_32_10E_ZNS1_27distribution_nullary_kernelItm15HIP_vector_typeIyLj2EES7_SF_ZZZNS5_IS7_EEvS9_mlSA_ENKSB_clEvENKSC_clEvEUlmE_EEvS9_T2_RKT3_T4_EUlimE0_EEvlNS_15PhiloxCudaStateET1_SK_
	.p2align	8
	.type	_ZN2at6native12_GLOBAL__N_143distribution_elementwise_grid_stride_kernelImLi2EZZZNS0_9templates4cuda21random_from_to_kernelIPNS_17CUDAGeneratorImplEEEvRNS_18TensorIteratorBaseEmlT_ENKUlvE_clEvENKUlvE9_clEvEUlP25hiprandStatePhilox4_32_10E_ZNS1_27distribution_nullary_kernelItm15HIP_vector_typeIyLj2EES7_SF_ZZZNS5_IS7_EEvS9_mlSA_ENKSB_clEvENKSC_clEvEUlmE_EEvS9_T2_RKT3_T4_EUlimE0_EEvlNS_15PhiloxCudaStateET1_SK_,@function
_ZN2at6native12_GLOBAL__N_143distribution_elementwise_grid_stride_kernelImLi2EZZZNS0_9templates4cuda21random_from_to_kernelIPNS_17CUDAGeneratorImplEEEvRNS_18TensorIteratorBaseEmlT_ENKUlvE_clEvENKUlvE9_clEvEUlP25hiprandStatePhilox4_32_10E_ZNS1_27distribution_nullary_kernelItm15HIP_vector_typeIyLj2EES7_SF_ZZZNS5_IS7_EEvS9_mlSA_ENKSB_clEvENKSC_clEvEUlmE_EEvS9_T2_RKT3_T4_EUlimE0_EEvlNS_15PhiloxCudaStateET1_SK_: ; @_ZN2at6native12_GLOBAL__N_143distribution_elementwise_grid_stride_kernelImLi2EZZZNS0_9templates4cuda21random_from_to_kernelIPNS_17CUDAGeneratorImplEEEvRNS_18TensorIteratorBaseEmlT_ENKUlvE_clEvENKUlvE9_clEvEUlP25hiprandStatePhilox4_32_10E_ZNS1_27distribution_nullary_kernelItm15HIP_vector_typeIyLj2EES7_SF_ZZZNS5_IS7_EEvS9_mlSA_ENKSB_clEvENKSC_clEvEUlmE_EEvS9_T2_RKT3_T4_EUlimE0_EEvlNS_15PhiloxCudaStateET1_SK_
; %bb.0:
	s_clause 0x2
	s_load_b64 s[4:5], s[0:1], 0x10
	s_load_b128 s[16:19], s[0:1], 0x0
	s_load_b32 s2, s[0:1], 0x20
	s_waitcnt lgkmcnt(0)
	v_dual_mov_b32 v2, s4 :: v_dual_mov_b32 v3, s5
	v_dual_mov_b32 v11, s18 :: v_dual_mov_b32 v12, s19
	s_bitcmp0_b32 s2, 0
	s_mov_b32 s2, 0
	s_cbranch_scc1 .LBB41_2
; %bb.1:
	v_dual_mov_b32 v1, s4 :: v_dual_mov_b32 v2, s5
	v_dual_mov_b32 v4, s18 :: v_dual_mov_b32 v5, s19
	s_load_b64 s[4:5], s[0:1], 0x18
	flat_load_b64 v[2:3], v[1:2]
	flat_load_b64 v[11:12], v[4:5]
	s_waitcnt vmcnt(1) lgkmcnt(0)
	v_add_co_u32 v2, vcc_lo, v2, s4
	v_add_co_ci_u32_e32 v3, vcc_lo, s5, v3, vcc_lo
.LBB41_2:
	s_clause 0x1
	s_load_b32 s3, s[0:1], 0x15c
	s_load_b32 s5, s[0:1], 0x150
	s_waitcnt lgkmcnt(0)
	s_and_b32 s4, s3, 0xffff
	s_add_u32 s6, s16, -1
	s_mul_i32 s28, s5, s4
	s_addc_u32 s3, s17, -1
	s_lshl_b32 s29, s28, 1
	s_cmp_lg_u64 s[2:3], 0
	s_cbranch_scc0 .LBB41_57
; %bb.3:
	v_cvt_f32_ubyte0_e32 v1, 0
	v_cvt_f32_u32_e32 v4, s29
	s_sub_u32 s8, 0, s29
	s_subb_u32 s9, 0, 0
	s_delay_alu instid0(VALU_DEP_1) | instskip(NEXT) | instid1(VALU_DEP_1)
	v_fmamk_f32 v1, v1, 0x4f800000, v4
	v_rcp_f32_e32 v1, v1
	s_waitcnt_depctr 0xfff
	v_mul_f32_e32 v1, 0x5f7ffffc, v1
	s_delay_alu instid0(VALU_DEP_1) | instskip(NEXT) | instid1(VALU_DEP_1)
	v_mul_f32_e32 v4, 0x2f800000, v1
	v_trunc_f32_e32 v4, v4
	s_delay_alu instid0(VALU_DEP_1) | instskip(SKIP_1) | instid1(VALU_DEP_2)
	v_fmamk_f32 v1, v4, 0xcf800000, v1
	v_cvt_u32_f32_e32 v4, v4
	v_cvt_u32_f32_e32 v1, v1
	s_delay_alu instid0(VALU_DEP_2) | instskip(NEXT) | instid1(VALU_DEP_2)
	v_readfirstlane_b32 s2, v4
	v_readfirstlane_b32 s7, v1
	s_delay_alu instid0(VALU_DEP_2) | instskip(NEXT) | instid1(VALU_DEP_1)
	s_mul_i32 s10, s8, s2
	s_mul_hi_u32 s12, s8, s7
	s_mul_i32 s11, s9, s7
	s_add_i32 s10, s12, s10
	s_mul_i32 s13, s8, s7
	s_add_i32 s10, s10, s11
	s_mul_hi_u32 s12, s7, s13
	s_mul_hi_u32 s14, s2, s13
	s_mul_i32 s11, s2, s13
	s_mul_hi_u32 s13, s7, s10
	s_mul_i32 s7, s7, s10
	s_mul_hi_u32 s18, s2, s10
	s_add_u32 s7, s12, s7
	s_addc_u32 s12, 0, s13
	s_add_u32 s7, s7, s11
	s_mul_i32 s10, s2, s10
	s_addc_u32 s7, s12, s14
	s_addc_u32 s11, s18, 0
	s_add_u32 s7, s7, s10
	s_addc_u32 s10, 0, s11
	v_add_co_u32 v1, s7, v1, s7
	s_delay_alu instid0(VALU_DEP_1) | instskip(SKIP_1) | instid1(VALU_DEP_1)
	s_cmp_lg_u32 s7, 0
	s_addc_u32 s2, s2, s10
	v_readfirstlane_b32 s7, v1
	s_mul_i32 s10, s8, s2
	s_delay_alu instid0(VALU_DEP_1)
	s_mul_hi_u32 s11, s8, s7
	s_mul_i32 s9, s9, s7
	s_add_i32 s10, s11, s10
	s_mul_i32 s8, s8, s7
	s_add_i32 s10, s10, s9
	s_mul_hi_u32 s11, s2, s8
	s_mul_i32 s12, s2, s8
	s_mul_hi_u32 s8, s7, s8
	s_mul_hi_u32 s13, s7, s10
	s_mul_i32 s7, s7, s10
	s_mul_hi_u32 s9, s2, s10
	s_add_u32 s7, s8, s7
	s_addc_u32 s8, 0, s13
	s_add_u32 s7, s7, s12
	s_mul_i32 s10, s2, s10
	s_addc_u32 s7, s8, s11
	s_addc_u32 s8, s9, 0
	s_add_u32 s7, s7, s10
	s_addc_u32 s8, 0, s8
	v_add_co_u32 v1, s7, v1, s7
	s_delay_alu instid0(VALU_DEP_1) | instskip(SKIP_2) | instid1(VALU_DEP_1)
	s_cmp_lg_u32 s7, 0
	s_addc_u32 s7, s2, s8
	s_ashr_i32 s8, s3, 31
	v_readfirstlane_b32 s10, v1
	s_add_u32 s2, s6, s8
	s_mov_b32 s9, s8
	s_addc_u32 s3, s3, s8
	s_delay_alu instid0(SALU_CYCLE_1) | instskip(NEXT) | instid1(SALU_CYCLE_1)
	s_xor_b64 s[2:3], s[2:3], s[8:9]
	s_mul_i32 s12, s2, s7
	s_mul_hi_u32 s13, s2, s10
	s_mul_hi_u32 s11, s2, s7
	;; [unrolled: 1-line block ×3, first 2 shown]
	s_mul_i32 s10, s3, s10
	s_add_u32 s12, s13, s12
	s_addc_u32 s11, 0, s11
	s_mul_hi_u32 s14, s3, s7
	s_add_u32 s10, s12, s10
	s_mul_i32 s7, s3, s7
	s_addc_u32 s10, s11, s18
	s_addc_u32 s11, s14, 0
	s_add_u32 s7, s10, s7
	s_addc_u32 s10, 0, s11
	s_mul_i32 s12, s29, s7
	s_add_u32 s11, s7, 1
	v_sub_co_u32 v1, s2, s2, s12
	s_mul_hi_u32 s12, s29, s7
	s_addc_u32 s13, s10, 0
	s_mul_i32 s14, s29, s10
	s_delay_alu instid0(VALU_DEP_1)
	v_sub_co_u32 v4, s18, v1, s29
	s_add_u32 s19, s7, 2
	s_addc_u32 s20, s10, 0
	s_add_i32 s12, s12, s14
	s_cmp_lg_u32 s2, 0
	v_readfirstlane_b32 s2, v4
	s_subb_u32 s3, s3, s12
	s_cmp_lg_u32 s18, 0
	s_subb_u32 s12, s3, 0
	s_delay_alu instid0(VALU_DEP_1) | instskip(SKIP_4) | instid1(SALU_CYCLE_1)
	s_cmp_ge_u32 s2, s29
	s_cselect_b32 s2, -1, 0
	s_cmp_eq_u32 s12, 0
	v_readfirstlane_b32 s12, v1
	s_cselect_b32 s2, s2, -1
	s_cmp_lg_u32 s2, 0
	s_cselect_b32 s2, s19, s11
	s_cselect_b32 s11, s20, s13
	s_cmp_ge_u32 s12, s29
	s_cselect_b32 s12, -1, 0
	s_cmp_eq_u32 s3, 0
	s_cselect_b32 s3, s12, -1
	s_delay_alu instid0(SALU_CYCLE_1) | instskip(SKIP_2) | instid1(SALU_CYCLE_1)
	s_cmp_lg_u32 s3, 0
	s_cselect_b32 s3, s11, s10
	s_cselect_b32 s2, s2, s7
	s_xor_b64 s[2:3], s[2:3], s[8:9]
	s_delay_alu instid0(SALU_CYCLE_1)
	s_sub_u32 s2, s2, s8
	s_subb_u32 s3, s3, s8
	s_cbranch_execnz .LBB41_5
.LBB41_4:
	v_cvt_f32_u32_e32 v1, s29
	s_sub_i32 s3, 0, s29
	s_delay_alu instid0(VALU_DEP_1) | instskip(SKIP_2) | instid1(VALU_DEP_1)
	v_rcp_iflag_f32_e32 v1, v1
	s_waitcnt_depctr 0xfff
	v_mul_f32_e32 v1, 0x4f7ffffe, v1
	v_cvt_u32_f32_e32 v1, v1
	s_delay_alu instid0(VALU_DEP_1) | instskip(NEXT) | instid1(VALU_DEP_1)
	v_readfirstlane_b32 s2, v1
	s_mul_i32 s3, s3, s2
	s_delay_alu instid0(SALU_CYCLE_1) | instskip(NEXT) | instid1(SALU_CYCLE_1)
	s_mul_hi_u32 s3, s2, s3
	s_add_i32 s2, s2, s3
	s_delay_alu instid0(SALU_CYCLE_1) | instskip(NEXT) | instid1(SALU_CYCLE_1)
	s_mul_hi_u32 s2, s6, s2
	s_mul_i32 s3, s2, s29
	s_delay_alu instid0(SALU_CYCLE_1)
	s_sub_i32 s3, s6, s3
	s_add_i32 s6, s2, 1
	s_sub_i32 s7, s3, s29
	s_cmp_ge_u32 s3, s29
	s_cselect_b32 s2, s6, s2
	s_cselect_b32 s3, s7, s3
	s_add_i32 s6, s2, 1
	s_cmp_ge_u32 s3, s29
	s_mov_b32 s3, 0
	s_cselect_b32 s2, s6, s2
.LBB41_5:
	v_mov_b32_e32 v13, 0
	s_add_u32 s2, s2, 1
	s_addc_u32 s3, s3, 0
	s_mul_hi_u32 s5, s5, s4
	s_mul_hi_u32 s6, s28, s2
	v_mov_b32_e32 v1, v13
	s_mul_i32 s3, s28, s3
	s_mul_i32 s5, s5, s2
	s_add_i32 s3, s6, s3
	s_mul_i32 s2, s28, s2
	v_mad_u64_u32 v[15:16], null, s4, s15, v[0:1]
	s_add_i32 s3, s3, s5
	s_mov_b32 s4, exec_lo
	s_lshl_b64 s[2:3], s[2:3], 1
	s_delay_alu instid0(VALU_DEP_1) | instid1(SALU_CYCLE_1)
	v_cmpx_gt_i64_e64 s[2:3], v[15:16]
	s_cbranch_execz .LBB41_56
; %bb.6:
	v_alignbit_b32 v19, v3, v2, 2
	v_mad_u64_u32 v[4:5], null, 0xcd9e8d57, v15, 0
	v_lshrrev_b32_e32 v20, 2, v3
	s_waitcnt vmcnt(0)
	v_dual_mov_b32 v9, v12 :: v_dual_add_nc_u32 v30, 0x8ff34781, v11
	v_mad_u64_u32 v[0:1], null, 0xd2511f53, v19, 0
	v_add_co_u32 v22, null, 0x9e3779b9, v11
	v_xor3_b32 v3, v11, v5, v20
	s_delay_alu instid0(VALU_DEP_4) | instskip(SKIP_2) | instid1(VALU_DEP_4)
	v_add_co_u32 v21, null, 0xbb67ae85, v9
	v_add_co_u32 v23, null, 0x3c6ef372, v11
	v_xor_b32_e32 v1, v1, v12
	v_mad_u64_u32 v[5:6], null, 0xd2511f53, v3, 0
	v_add_co_u32 v24, null, 0x76cf5d0a, v9
	s_delay_alu instid0(VALU_DEP_3) | instskip(SKIP_2) | instid1(VALU_DEP_3)
	v_xor_b32_e32 v1, v1, v16
	v_add_co_u32 v25, null, 0x32370b8f, v9
	v_add_co_u32 v26, null, 0xdaa66d2b, v11
	v_mad_u64_u32 v[7:8], null, 0xcd9e8d57, v1, 0
	v_xor3_b32 v3, v21, v6, v0
	v_add_co_u32 v27, null, 0x78dde6e4, v11
	v_add_co_u32 v28, null, 0xed9eba14, v9
	s_delay_alu instid0(VALU_DEP_3) | instskip(SKIP_3) | instid1(VALU_DEP_3)
	v_mad_u64_u32 v[0:1], null, 0xcd9e8d57, v3, 0
	v_xor3_b32 v6, v22, v8, v4
	v_dual_mov_b32 v40, v15 :: v_dual_and_b32 v29, 3, v2
	v_add_co_u32 v31, null, 0xa9066899, v9
	v_mad_u64_u32 v[3:4], null, 0xd2511f53, v6, 0
	v_xor3_b32 v1, v23, v1, v7
	v_add_co_u32 v32, null, 0x1715609d, v11
	v_add_co_u32 v34, null, 0xb54cda56, v11
	;; [unrolled: 1-line block ×3, first 2 shown]
	v_xor3_b32 v8, v24, v4, v5
	v_mad_u64_u32 v[4:5], null, 0xd2511f53, v1, 0
	s_load_b256 s[4:11], s[0:1], 0x30
	v_add_co_u32 v33, null, 0x5384540f, v11
	s_delay_alu instid0(VALU_DEP_3) | instskip(SKIP_1) | instid1(VALU_DEP_4)
	v_mad_u64_u32 v[6:7], null, 0xcd9e8d57, v8, 0
	v_add_co_u32 v37, null, 0x1fd5c5a3, v9
	v_xor3_b32 v3, v25, v5, v3
	v_add_co_u32 v35, null, 0xf1bbcdc8, v11
	v_add_co_u32 v38, null, 0xdb3d7428, v9
	v_xor3_b32 v5, v26, v7, v0
	s_delay_alu instid0(VALU_DEP_4) | instskip(SKIP_2) | instid1(VALU_DEP_2)
	v_mad_u64_u32 v[0:1], null, 0xcd9e8d57, v3, 0
	s_add_u32 s18, s0, 48
	s_load_b64 s[20:21], s[0:1], 0x148
	v_mad_u64_u32 v[7:8], null, 0xd2511f53, v5, 0
	s_clause 0x1
	s_load_b64 s[22:23], s[0:1], 0xf4
	s_load_b128 s[12:15], s[0:1], 0x138
	s_addc_u32 s19, s1, 0
	v_xor3_b32 v3, v27, v1, v6
	s_waitcnt lgkmcnt(0)
	s_add_i32 s26, s4, -1
	v_add_nc_u32_e32 v39, 0x96a522ad, v12
	s_cmp_gt_u32 s26, 1
	v_xor3_b32 v5, v28, v8, v4
	v_mad_u64_u32 v[1:2], null, 0xd2511f53, v3, 0
	s_cselect_b32 s11, -1, 0
	s_cmp_lg_u32 s4, 0
	s_delay_alu instid0(VALU_DEP_2) | instskip(SKIP_2) | instid1(VALU_DEP_2)
	v_mad_u64_u32 v[3:4], null, 0xcd9e8d57, v5, 0
	s_cselect_b32 s21, -1, 0
	s_add_u32 s24, s0, 0xf4
	v_xor3_b32 v2, v31, v2, v7
	s_addc_u32 s25, s1, 0
	s_min_u32 s0, s26, 15
	s_cmp_gt_u32 s4, 1
	s_delay_alu instid0(VALU_DEP_2) | instskip(SKIP_3) | instid1(VALU_DEP_2)
	v_xor3_b32 v0, v32, v4, v0
	v_mad_u64_u32 v[4:5], null, 0xcd9e8d57, v2, 0
	s_cselect_b32 s4, -1, 0
	s_add_i32 s0, s0, 1
	v_mad_u64_u32 v[6:7], null, 0xd2511f53, v0, 0
	s_and_b32 s31, s0, 3
	s_cmp_lg_u32 s26, 2
	s_delay_alu instid0(VALU_DEP_2) | instskip(SKIP_3) | instid1(VALU_DEP_3)
	v_xor3_b32 v2, v34, v5, v3
	s_cselect_b32 s33, -1, 0
	s_and_b32 s34, s0, 28
	v_mov_b32_e32 v41, v16
	v_xor3_b32 v5, v36, v7, v1
	v_mad_u64_u32 v[0:1], null, 0xd2511f53, v2, 0
	s_cmp_lg_u32 s31, 0
	s_mov_b32 s30, 0
	s_delay_alu instid0(VALU_DEP_2) | instskip(SKIP_1) | instid1(VALU_DEP_2)
	v_mad_u64_u32 v[2:3], null, 0xcd9e8d57, v5, 0
	s_cselect_b32 s35, -1, 0
	v_xor3_b32 v1, v37, v1, v6
	s_delay_alu instid0(VALU_DEP_2) | instskip(NEXT) | instid1(VALU_DEP_2)
	v_xor3_b32 v3, v33, v3, v4
	v_mad_u64_u32 v[4:5], null, 0xcd9e8d57, v1, 0
	s_delay_alu instid0(VALU_DEP_2) | instskip(NEXT) | instid1(VALU_DEP_2)
	v_mad_u64_u32 v[6:7], null, 0xd2511f53, v3, 0
	v_xor3_b32 v1, v35, v5, v2
	s_delay_alu instid0(VALU_DEP_2) | instskip(NEXT) | instid1(VALU_DEP_2)
	v_xor3_b32 v0, v38, v7, v0
	v_mad_u64_u32 v[7:8], null, 0xd2511f53, v1, 0
	s_delay_alu instid0(VALU_DEP_2) | instskip(NEXT) | instid1(VALU_DEP_2)
	v_mad_u64_u32 v[1:2], null, 0xcd9e8d57, v0, 0
	v_mov_b32_e32 v3, v7
	s_delay_alu instid0(VALU_DEP_2) | instskip(NEXT) | instid1(VALU_DEP_4)
	v_xor3_b32 v0, v2, v4, v30
	v_xor3_b32 v2, v8, v6, v39
	s_branch .LBB41_9
.LBB41_7:                               ;   in Loop: Header=BB41_9 Depth=1
	s_or_b32 exec_lo, exec_lo, s0
	s_delay_alu instid0(VALU_DEP_1)
	v_add_nc_u32_e32 v0, s20, v8
	global_store_b16 v7, v0, s[12:13]
.LBB41_8:                               ;   in Loop: Header=BB41_9 Depth=1
	s_or_b32 exec_lo, exec_lo, s36
	v_add_co_u32 v15, vcc_lo, v15, s29
	v_add_co_ci_u32_e32 v16, vcc_lo, 0, v16, vcc_lo
	v_mov_b32_e32 v7, v17
	v_dual_mov_b32 v0, v4 :: v_dual_mov_b32 v1, v5
	s_delay_alu instid0(VALU_DEP_3) | instskip(NEXT) | instid1(VALU_DEP_3)
	v_cmp_le_i64_e32 vcc_lo, s[2:3], v[15:16]
	v_dual_mov_b32 v2, v6 :: v_dual_mov_b32 v3, v7
	s_waitcnt_vscnt null, 0x0
	s_barrier
	buffer_gl0_inv
	s_or_b32 s30, vcc_lo, s30
	s_delay_alu instid0(SALU_CYCLE_1)
	s_and_not1_b32 exec_lo, exec_lo, s30
	s_cbranch_execz .LBB41_56
.LBB41_9:                               ; =>This Loop Header: Depth=1
                                        ;     Child Loop BB41_24 Depth 2
                                        ;     Child Loop BB41_29 Depth 2
	;; [unrolled: 1-line block ×4, first 2 shown]
	v_add_co_u32 v19, vcc_lo, v19, 1
	s_delay_alu instid0(VALU_DEP_1) | instskip(SKIP_2) | instid1(VALU_DEP_1)
	v_cndmask_b32_e64 v4, 0, 1, vcc_lo
	v_add_co_ci_u32_e32 v20, vcc_lo, 0, v20, vcc_lo
	s_mov_b32 s0, exec_lo
	v_cmp_eq_u32_e32 vcc_lo, 0, v20
	s_delay_alu instid0(VALU_DEP_3) | instskip(NEXT) | instid1(VALU_DEP_1)
	v_cndmask_b32_e32 v4, 0, v4, vcc_lo
	v_add_nc_u32_e32 v40, v4, v40
	s_delay_alu instid0(VALU_DEP_1) | instskip(SKIP_2) | instid1(VALU_DEP_2)
	v_cmp_eq_u32_e32 vcc_lo, 0, v40
	v_mad_u64_u32 v[6:7], null, 0xcd9e8d57, v40, 0
	v_cndmask_b32_e32 v4, 0, v4, vcc_lo
	v_xor3_b32 v9, v7, v11, v20
	s_delay_alu instid0(VALU_DEP_2) | instskip(SKIP_1) | instid1(VALU_DEP_3)
	v_add_nc_u32_e32 v41, v4, v41
	v_mad_u64_u32 v[4:5], null, 0xd2511f53, v19, 0
	v_mad_u64_u32 v[7:8], null, 0xd2511f53, v9, 0
	s_delay_alu instid0(VALU_DEP_2) | instskip(NEXT) | instid1(VALU_DEP_2)
	v_xor_b32_e32 v5, v5, v12
	v_xor3_b32 v8, v21, v8, v4
	s_delay_alu instid0(VALU_DEP_2) | instskip(NEXT) | instid1(VALU_DEP_1)
	v_xor_b32_e32 v5, v41, v5
	v_mad_u64_u32 v[9:10], null, 0xcd9e8d57, v5, 0
	s_delay_alu instid0(VALU_DEP_3) | instskip(NEXT) | instid1(VALU_DEP_2)
	v_mad_u64_u32 v[4:5], null, 0xcd9e8d57, v8, 0
	v_xor3_b32 v6, v22, v10, v6
	s_delay_alu instid0(VALU_DEP_2) | instskip(NEXT) | instid1(VALU_DEP_2)
	v_xor3_b32 v8, v23, v5, v9
	v_mad_u64_u32 v[17:18], null, 0xd2511f53, v6, 0
	s_delay_alu instid0(VALU_DEP_2) | instskip(NEXT) | instid1(VALU_DEP_2)
	v_mad_u64_u32 v[5:6], null, 0xd2511f53, v8, 0
	v_xor3_b32 v9, v24, v18, v7
	s_delay_alu instid0(VALU_DEP_2) | instskip(NEXT) | instid1(VALU_DEP_2)
	v_xor3_b32 v6, v25, v6, v17
	v_mad_u64_u32 v[7:8], null, 0xcd9e8d57, v9, 0
	s_delay_alu instid0(VALU_DEP_1) | instskip(NEXT) | instid1(VALU_DEP_3)
	v_xor3_b32 v4, v26, v8, v4
	v_mad_u64_u32 v[8:9], null, 0xcd9e8d57, v6, 0
	s_delay_alu instid0(VALU_DEP_2) | instskip(NEXT) | instid1(VALU_DEP_2)
	v_mad_u64_u32 v[17:18], null, 0xd2511f53, v4, 0
	v_xor3_b32 v6, v27, v9, v7
	s_delay_alu instid0(VALU_DEP_2) | instskip(NEXT) | instid1(VALU_DEP_2)
	v_xor3_b32 v9, v28, v18, v5
	v_mad_u64_u32 v[4:5], null, 0xd2511f53, v6, 0
	s_delay_alu instid0(VALU_DEP_2) | instskip(NEXT) | instid1(VALU_DEP_2)
	v_mad_u64_u32 v[6:7], null, 0xcd9e8d57, v9, 0
	v_xor3_b32 v5, v31, v5, v17
	s_delay_alu instid0(VALU_DEP_2) | instskip(NEXT) | instid1(VALU_DEP_2)
	v_xor3_b32 v14, v32, v7, v8
	v_mad_u64_u32 v[7:8], null, 0xcd9e8d57, v5, 0
	s_delay_alu instid0(VALU_DEP_2) | instskip(NEXT) | instid1(VALU_DEP_2)
	v_mad_u64_u32 v[9:10], null, 0xd2511f53, v14, 0
	v_xor3_b32 v6, v34, v8, v6
	s_delay_alu instid0(VALU_DEP_2) | instskip(NEXT) | instid1(VALU_DEP_2)
	v_xor3_b32 v8, v36, v10, v4
	v_mad_u64_u32 v[4:5], null, 0xd2511f53, v6, 0
	s_delay_alu instid0(VALU_DEP_2) | instskip(NEXT) | instid1(VALU_DEP_2)
	v_mad_u64_u32 v[17:18], null, 0xcd9e8d57, v8, 0
	v_xor3_b32 v5, v37, v5, v9
	s_delay_alu instid0(VALU_DEP_2) | instskip(NEXT) | instid1(VALU_DEP_2)
	v_xor3_b32 v6, v33, v18, v7
	v_mad_u64_u32 v[7:8], null, 0xcd9e8d57, v5, 0
	s_delay_alu instid0(VALU_DEP_2) | instskip(NEXT) | instid1(VALU_DEP_2)
	v_mad_u64_u32 v[9:10], null, 0xd2511f53, v6, 0
	v_xor3_b32 v5, v35, v8, v17
	s_delay_alu instid0(VALU_DEP_2) | instskip(NEXT) | instid1(VALU_DEP_2)
	v_xor3_b32 v4, v38, v10, v4
	v_mad_u64_u32 v[17:18], null, 0xd2511f53, v5, 0
	s_delay_alu instid0(VALU_DEP_2) | instskip(NEXT) | instid1(VALU_DEP_2)
	v_mad_u64_u32 v[5:6], null, 0xcd9e8d57, v4, 0
	v_xor3_b32 v10, v18, v9, v39
	s_delay_alu instid0(VALU_DEP_2) | instskip(NEXT) | instid1(VALU_DEP_2)
	v_xor3_b32 v4, v6, v7, v30
	v_mov_b32_e32 v6, v10
	v_cmpx_lt_i32_e32 1, v29
	s_xor_b32 s0, exec_lo, s0
	s_cbranch_execnz .LBB41_12
; %bb.10:                               ;   in Loop: Header=BB41_9 Depth=1
	s_and_not1_saveexec_b32 s0, s0
	s_cbranch_execnz .LBB41_17
.LBB41_11:                              ;   in Loop: Header=BB41_9 Depth=1
	s_or_b32 exec_lo, exec_lo, s0
	s_delay_alu instid0(SALU_CYCLE_1)
	s_mov_b32 s36, exec_lo
	v_cmpx_gt_i64_e64 s[16:17], v[15:16]
	s_cbranch_execnz .LBB41_20
	s_branch .LBB41_38
.LBB41_12:                              ;   in Loop: Header=BB41_9 Depth=1
	s_mov_b32 s1, exec_lo
	v_cmpx_lt_i32_e32 2, v29
	s_xor_b32 s1, exec_lo, s1
; %bb.13:                               ;   in Loop: Header=BB41_9 Depth=1
	v_dual_mov_b32 v7, v3 :: v_dual_mov_b32 v8, v4
	v_mov_b32_e32 v9, v5
	s_delay_alu instid0(VALU_DEP_2) | instskip(NEXT) | instid1(VALU_DEP_2)
	v_dual_mov_b32 v0, v7 :: v_dual_mov_b32 v1, v8
	v_dual_mov_b32 v2, v9 :: v_dual_mov_b32 v3, v10
; %bb.14:                               ;   in Loop: Header=BB41_9 Depth=1
	s_and_not1_saveexec_b32 s1, s1
; %bb.15:                               ;   in Loop: Header=BB41_9 Depth=1
	s_delay_alu instid0(VALU_DEP_1)
	v_dual_mov_b32 v0, v2 :: v_dual_mov_b32 v1, v3
	v_dual_mov_b32 v2, v4 :: v_dual_mov_b32 v3, v5
; %bb.16:                               ;   in Loop: Header=BB41_9 Depth=1
	s_or_b32 exec_lo, exec_lo, s1
	s_and_not1_saveexec_b32 s0, s0
	s_cbranch_execz .LBB41_11
.LBB41_17:                              ;   in Loop: Header=BB41_9 Depth=1
	s_mov_b32 s1, exec_lo
	v_cmpx_eq_u32_e32 1, v29
; %bb.18:                               ;   in Loop: Header=BB41_9 Depth=1
	v_dual_mov_b32 v0, v1 :: v_dual_mov_b32 v1, v2
	v_dual_mov_b32 v2, v3 :: v_dual_mov_b32 v3, v4
; %bb.19:                               ;   in Loop: Header=BB41_9 Depth=1
	s_or_b32 exec_lo, exec_lo, s1
	s_delay_alu instid0(SALU_CYCLE_1) | instskip(NEXT) | instid1(SALU_CYCLE_1)
	s_or_b32 exec_lo, exec_lo, s0
	s_mov_b32 s36, exec_lo
	v_cmpx_gt_i64_e64 s[16:17], v[15:16]
	s_cbranch_execz .LBB41_38
.LBB41_20:                              ;   in Loop: Header=BB41_9 Depth=1
	s_and_not1_b32 vcc_lo, exec_lo, s11
	s_cbranch_vccnz .LBB41_26
; %bb.21:                               ;   in Loop: Header=BB41_9 Depth=1
	v_mov_b32_e32 v7, 0
	s_and_not1_b32 vcc_lo, exec_lo, s21
	s_cbranch_vccnz .LBB41_30
; %bb.22:                               ;   in Loop: Header=BB41_9 Depth=1
	s_and_not1_b32 vcc_lo, exec_lo, s33
	s_mov_b32 s0, 0
	s_cbranch_vccnz .LBB41_27
; %bb.23:                               ;   in Loop: Header=BB41_9 Depth=1
	v_dual_mov_b32 v7, 0 :: v_dual_mov_b32 v8, v15
	s_mov_b32 s37, 0
	s_mov_b64 s[0:1], s[18:19]
	s_mov_b64 s[26:27], s[24:25]
.LBB41_24:                              ;   Parent Loop BB41_9 Depth=1
                                        ; =>  This Inner Loop Header: Depth=2
	s_clause 0x1
	s_load_b256 s[40:47], s[0:1], 0x4
	s_load_b128 s[48:51], s[0:1], 0x24
	s_load_b128 s[52:55], s[26:27], 0x0
	s_add_u32 s0, s0, 48
	s_addc_u32 s1, s1, 0
	s_add_i32 s37, s37, 4
	s_add_u32 s26, s26, 16
	s_addc_u32 s27, s27, 0
	s_cmp_lg_u32 s34, s37
	s_waitcnt lgkmcnt(0)
	v_mul_hi_u32 v9, s41, v8
	s_delay_alu instid0(VALU_DEP_1) | instskip(NEXT) | instid1(VALU_DEP_1)
	v_add_nc_u32_e32 v9, v8, v9
	v_lshrrev_b32_e32 v9, s42, v9
	s_delay_alu instid0(VALU_DEP_1) | instskip(SKIP_1) | instid1(VALU_DEP_2)
	v_mul_hi_u32 v10, s44, v9
	v_mul_lo_u32 v42, v9, s40
	v_add_nc_u32_e32 v10, v9, v10
	s_delay_alu instid0(VALU_DEP_2) | instskip(NEXT) | instid1(VALU_DEP_2)
	v_sub_nc_u32_e32 v42, v8, v42
	v_lshrrev_b32_e32 v10, s45, v10
	s_delay_alu instid0(VALU_DEP_2) | instskip(NEXT) | instid1(VALU_DEP_2)
	v_mul_lo_u32 v42, v42, s52
	v_mul_hi_u32 v14, s47, v10
	v_mul_lo_u32 v43, v10, s43
	s_delay_alu instid0(VALU_DEP_2) | instskip(NEXT) | instid1(VALU_DEP_2)
	v_add_nc_u32_e32 v14, v10, v14
	v_sub_nc_u32_e32 v9, v9, v43
	s_delay_alu instid0(VALU_DEP_2) | instskip(NEXT) | instid1(VALU_DEP_2)
	v_lshrrev_b32_e32 v14, s48, v14
	v_mul_lo_u32 v9, v9, s53
	s_delay_alu instid0(VALU_DEP_2) | instskip(NEXT) | instid1(VALU_DEP_2)
	v_mul_hi_u32 v18, s50, v14
	v_add3_u32 v7, v42, v7, v9
	s_delay_alu instid0(VALU_DEP_2) | instskip(NEXT) | instid1(VALU_DEP_1)
	v_add_nc_u32_e32 v18, v14, v18
	v_lshrrev_b32_e32 v8, s51, v18
	v_mul_lo_u32 v18, v14, s46
	s_delay_alu instid0(VALU_DEP_2) | instskip(NEXT) | instid1(VALU_DEP_2)
	v_mul_lo_u32 v44, v8, s49
	v_sub_nc_u32_e32 v10, v10, v18
	s_delay_alu instid0(VALU_DEP_2) | instskip(NEXT) | instid1(VALU_DEP_2)
	v_sub_nc_u32_e32 v14, v14, v44
	v_mul_lo_u32 v10, v10, s54
	s_delay_alu instid0(VALU_DEP_2) | instskip(NEXT) | instid1(VALU_DEP_1)
	v_mul_lo_u32 v14, v14, s55
	v_add3_u32 v7, v10, v7, v14
	s_cbranch_scc1 .LBB41_24
; %bb.25:                               ;   in Loop: Header=BB41_9 Depth=1
	s_mov_b32 s0, s34
	s_and_not1_b32 vcc_lo, exec_lo, s35
	s_cbranch_vccz .LBB41_28
	s_branch .LBB41_30
.LBB41_26:                              ;   in Loop: Header=BB41_9 Depth=1
                                        ; implicit-def: $vgpr7
	s_branch .LBB41_31
.LBB41_27:                              ;   in Loop: Header=BB41_9 Depth=1
	v_mov_b32_e32 v8, v15
	s_and_not1_b32 vcc_lo, exec_lo, s35
	s_cbranch_vccnz .LBB41_30
.LBB41_28:                              ;   in Loop: Header=BB41_9 Depth=1
	s_lshl_b32 s1, s0, 2
	s_mul_i32 s26, s0, 12
	s_add_u32 s0, s24, s1
	s_addc_u32 s1, s25, 0
	s_add_u32 s26, s18, s26
	s_addc_u32 s27, s19, 0
	s_mov_b32 s37, s31
	.p2align	6
.LBB41_29:                              ;   Parent Loop BB41_9 Depth=1
                                        ; =>  This Inner Loop Header: Depth=2
	s_clause 0x1
	s_load_b64 s[38:39], s[26:27], 0x4
	s_load_b32 s40, s[26:27], 0xc
	s_add_u32 s26, s26, 12
	s_addc_u32 s27, s27, 0
	s_waitcnt lgkmcnt(0)
	v_mul_hi_u32 v9, s39, v8
	s_load_b32 s39, s[0:1], 0x0
	s_add_u32 s0, s0, 4
	s_addc_u32 s1, s1, 0
	s_add_i32 s37, s37, -1
	s_delay_alu instid0(SALU_CYCLE_1) | instskip(NEXT) | instid1(VALU_DEP_1)
	s_cmp_lg_u32 s37, 0
	v_add_nc_u32_e32 v9, v8, v9
	s_delay_alu instid0(VALU_DEP_1) | instskip(NEXT) | instid1(VALU_DEP_1)
	v_lshrrev_b32_e32 v14, s40, v9
	v_mul_lo_u32 v9, v14, s38
	s_delay_alu instid0(VALU_DEP_1) | instskip(SKIP_1) | instid1(VALU_DEP_1)
	v_sub_nc_u32_e32 v8, v8, v9
	s_waitcnt lgkmcnt(0)
	v_mad_u64_u32 v[9:10], null, v8, s39, v[7:8]
	s_delay_alu instid0(VALU_DEP_1)
	v_dual_mov_b32 v8, v14 :: v_dual_mov_b32 v7, v9
	s_cbranch_scc1 .LBB41_29
.LBB41_30:                              ;   in Loop: Header=BB41_9 Depth=1
	s_cbranch_execnz .LBB41_33
.LBB41_31:                              ;   in Loop: Header=BB41_9 Depth=1
	v_mul_hi_u32 v7, v15, s6
	s_and_not1_b32 vcc_lo, exec_lo, s4
	s_delay_alu instid0(VALU_DEP_1) | instskip(NEXT) | instid1(VALU_DEP_1)
	v_add_nc_u32_e32 v7, v7, v15
	v_lshrrev_b32_e32 v8, s7, v7
	s_delay_alu instid0(VALU_DEP_1) | instskip(NEXT) | instid1(VALU_DEP_1)
	v_mul_lo_u32 v7, v8, s5
	v_sub_nc_u32_e32 v7, v15, v7
	s_delay_alu instid0(VALU_DEP_1)
	v_mul_lo_u32 v7, v7, s22
	s_cbranch_vccnz .LBB41_33
; %bb.32:                               ;   in Loop: Header=BB41_9 Depth=1
	v_mul_hi_u32 v9, s9, v8
	s_delay_alu instid0(VALU_DEP_1) | instskip(NEXT) | instid1(VALU_DEP_1)
	v_add_nc_u32_e32 v9, v8, v9
	v_lshrrev_b32_e32 v9, s10, v9
	s_delay_alu instid0(VALU_DEP_1) | instskip(NEXT) | instid1(VALU_DEP_1)
	v_mul_lo_u32 v9, v9, s8
	v_sub_nc_u32_e32 v10, v8, v9
	s_delay_alu instid0(VALU_DEP_1) | instskip(NEXT) | instid1(VALU_DEP_1)
	v_mad_u64_u32 v[8:9], null, v10, s23, v[7:8]
	v_mov_b32_e32 v7, v8
.LBB41_33:                              ;   in Loop: Header=BB41_9 Depth=1
	v_or_b32_e32 v14, s15, v0
                                        ; implicit-def: $vgpr8_vgpr9
	s_mov_b32 s0, exec_lo
	s_delay_alu instid0(VALU_DEP_1)
	v_cmpx_ne_u64_e32 0, v[13:14]
	s_xor_b32 s1, exec_lo, s0
	s_cbranch_execz .LBB41_35
; %bb.34:                               ;   in Loop: Header=BB41_9 Depth=1
	v_cvt_f32_u32_e32 v8, s14
	v_cvt_f32_u32_e32 v9, s15
	s_sub_u32 s0, 0, s14
	s_subb_u32 s26, 0, s15
	s_delay_alu instid0(VALU_DEP_1) | instskip(NEXT) | instid1(VALU_DEP_1)
	v_fmac_f32_e32 v8, 0x4f800000, v9
	v_rcp_f32_e32 v8, v8
	s_waitcnt_depctr 0xfff
	v_mul_f32_e32 v8, 0x5f7ffffc, v8
	s_delay_alu instid0(VALU_DEP_1) | instskip(NEXT) | instid1(VALU_DEP_1)
	v_mul_f32_e32 v9, 0x2f800000, v8
	v_trunc_f32_e32 v9, v9
	s_delay_alu instid0(VALU_DEP_1) | instskip(SKIP_1) | instid1(VALU_DEP_2)
	v_fmac_f32_e32 v8, 0xcf800000, v9
	v_cvt_u32_f32_e32 v9, v9
	v_cvt_u32_f32_e32 v8, v8
	s_delay_alu instid0(VALU_DEP_2) | instskip(NEXT) | instid1(VALU_DEP_2)
	v_mul_lo_u32 v10, s0, v9
	v_mul_hi_u32 v14, s0, v8
	v_mul_lo_u32 v18, s26, v8
	s_delay_alu instid0(VALU_DEP_2) | instskip(SKIP_1) | instid1(VALU_DEP_2)
	v_add_nc_u32_e32 v10, v14, v10
	v_mul_lo_u32 v14, s0, v8
	v_add_nc_u32_e32 v10, v10, v18
	s_delay_alu instid0(VALU_DEP_2) | instskip(NEXT) | instid1(VALU_DEP_2)
	v_mul_hi_u32 v18, v8, v14
	v_mul_lo_u32 v42, v8, v10
	v_mul_hi_u32 v43, v8, v10
	v_mul_hi_u32 v44, v9, v14
	v_mul_lo_u32 v14, v9, v14
	v_mul_hi_u32 v45, v9, v10
	v_mul_lo_u32 v10, v9, v10
	v_add_co_u32 v18, vcc_lo, v18, v42
	v_add_co_ci_u32_e32 v42, vcc_lo, 0, v43, vcc_lo
	s_delay_alu instid0(VALU_DEP_2) | instskip(NEXT) | instid1(VALU_DEP_2)
	v_add_co_u32 v14, vcc_lo, v18, v14
	v_add_co_ci_u32_e32 v14, vcc_lo, v42, v44, vcc_lo
	v_add_co_ci_u32_e32 v18, vcc_lo, 0, v45, vcc_lo
	s_delay_alu instid0(VALU_DEP_2) | instskip(NEXT) | instid1(VALU_DEP_2)
	v_add_co_u32 v10, vcc_lo, v14, v10
	v_add_co_ci_u32_e32 v14, vcc_lo, 0, v18, vcc_lo
	s_delay_alu instid0(VALU_DEP_2) | instskip(NEXT) | instid1(VALU_DEP_2)
	v_add_co_u32 v8, vcc_lo, v8, v10
	v_add_co_ci_u32_e32 v9, vcc_lo, v9, v14, vcc_lo
	s_delay_alu instid0(VALU_DEP_2) | instskip(SKIP_1) | instid1(VALU_DEP_3)
	v_mul_hi_u32 v10, s0, v8
	v_mul_lo_u32 v18, s26, v8
	v_mul_lo_u32 v14, s0, v9
	s_delay_alu instid0(VALU_DEP_1) | instskip(SKIP_1) | instid1(VALU_DEP_2)
	v_add_nc_u32_e32 v10, v10, v14
	v_mul_lo_u32 v14, s0, v8
	v_add_nc_u32_e32 v10, v10, v18
	s_delay_alu instid0(VALU_DEP_2) | instskip(NEXT) | instid1(VALU_DEP_2)
	v_mul_hi_u32 v18, v8, v14
	v_mul_lo_u32 v42, v8, v10
	v_mul_hi_u32 v43, v8, v10
	v_mul_hi_u32 v44, v9, v14
	v_mul_lo_u32 v14, v9, v14
	v_mul_hi_u32 v45, v9, v10
	v_mul_lo_u32 v10, v9, v10
	v_add_co_u32 v18, vcc_lo, v18, v42
	v_add_co_ci_u32_e32 v42, vcc_lo, 0, v43, vcc_lo
	s_delay_alu instid0(VALU_DEP_2) | instskip(NEXT) | instid1(VALU_DEP_2)
	v_add_co_u32 v14, vcc_lo, v18, v14
	v_add_co_ci_u32_e32 v14, vcc_lo, v42, v44, vcc_lo
	v_add_co_ci_u32_e32 v18, vcc_lo, 0, v45, vcc_lo
	s_delay_alu instid0(VALU_DEP_2) | instskip(NEXT) | instid1(VALU_DEP_2)
	v_add_co_u32 v10, vcc_lo, v14, v10
	v_add_co_ci_u32_e32 v14, vcc_lo, 0, v18, vcc_lo
	s_delay_alu instid0(VALU_DEP_2) | instskip(NEXT) | instid1(VALU_DEP_2)
	v_add_co_u32 v10, vcc_lo, v8, v10
	v_add_co_ci_u32_e32 v14, vcc_lo, v9, v14, vcc_lo
	s_delay_alu instid0(VALU_DEP_2) | instskip(SKIP_1) | instid1(VALU_DEP_3)
	v_mul_hi_u32 v18, v1, v10
	v_mad_u64_u32 v[42:43], null, v0, v10, 0
	v_mad_u64_u32 v[8:9], null, v1, v14, 0
	;; [unrolled: 1-line block ×3, first 2 shown]
	s_delay_alu instid0(VALU_DEP_2) | instskip(NEXT) | instid1(VALU_DEP_3)
	v_add_co_u32 v8, vcc_lo, v18, v8
	v_add_co_ci_u32_e32 v9, vcc_lo, 0, v9, vcc_lo
	s_delay_alu instid0(VALU_DEP_2) | instskip(NEXT) | instid1(VALU_DEP_2)
	v_add_co_u32 v8, vcc_lo, v8, v42
	v_add_co_ci_u32_e32 v8, vcc_lo, v9, v43, vcc_lo
	v_add_co_ci_u32_e32 v9, vcc_lo, 0, v45, vcc_lo
	s_delay_alu instid0(VALU_DEP_2) | instskip(NEXT) | instid1(VALU_DEP_2)
	v_add_co_u32 v10, vcc_lo, v8, v44
	v_add_co_ci_u32_e32 v14, vcc_lo, 0, v9, vcc_lo
	s_delay_alu instid0(VALU_DEP_2) | instskip(SKIP_1) | instid1(VALU_DEP_3)
	v_mul_lo_u32 v18, s15, v10
	v_mad_u64_u32 v[8:9], null, s14, v10, 0
	v_mul_lo_u32 v10, s14, v14
	s_delay_alu instid0(VALU_DEP_2) | instskip(NEXT) | instid1(VALU_DEP_2)
	v_sub_co_u32 v8, vcc_lo, v1, v8
	v_add3_u32 v9, v9, v10, v18
	s_delay_alu instid0(VALU_DEP_1) | instskip(NEXT) | instid1(VALU_DEP_1)
	v_sub_nc_u32_e32 v10, v0, v9
	v_subrev_co_ci_u32_e64 v10, s0, s15, v10, vcc_lo
	s_delay_alu instid0(VALU_DEP_4) | instskip(SKIP_1) | instid1(VALU_DEP_3)
	v_sub_co_u32 v14, s0, v8, s14
	v_sub_co_ci_u32_e32 v0, vcc_lo, v0, v9, vcc_lo
	v_subrev_co_ci_u32_e64 v10, s0, 0, v10, s0
	s_delay_alu instid0(VALU_DEP_3) | instskip(SKIP_1) | instid1(VALU_DEP_3)
	v_cmp_le_u32_e32 vcc_lo, s14, v14
	v_cndmask_b32_e64 v9, 0, -1, vcc_lo
	v_cmp_le_u32_e32 vcc_lo, s15, v10
	v_cndmask_b32_e64 v18, 0, -1, vcc_lo
	;; [unrolled: 2-line block ×4, first 2 shown]
	v_cmp_eq_u32_e32 vcc_lo, s15, v10
	v_cndmask_b32_e32 v9, v18, v9, vcc_lo
	v_sub_co_u32 v10, vcc_lo, v14, s14
	v_cmp_eq_u32_e32 vcc_lo, s15, v0
	v_cndmask_b32_e32 v0, v43, v42, vcc_lo
	s_delay_alu instid0(VALU_DEP_4) | instskip(NEXT) | instid1(VALU_DEP_4)
	v_cmp_ne_u32_e32 vcc_lo, 0, v9
	v_cndmask_b32_e32 v9, v14, v10, vcc_lo
	s_delay_alu instid0(VALU_DEP_3) | instskip(NEXT) | instid1(VALU_DEP_2)
	v_cmp_ne_u32_e32 vcc_lo, 0, v0
	v_cndmask_b32_e32 v8, v8, v9, vcc_lo
.LBB41_35:                              ;   in Loop: Header=BB41_9 Depth=1
	s_and_not1_saveexec_b32 s0, s1
	s_cbranch_execz .LBB41_37
; %bb.36:                               ;   in Loop: Header=BB41_9 Depth=1
	v_cvt_f32_u32_e32 v0, s14
	s_sub_i32 s1, 0, s14
	s_delay_alu instid0(VALU_DEP_1) | instskip(SKIP_2) | instid1(VALU_DEP_1)
	v_rcp_iflag_f32_e32 v0, v0
	s_waitcnt_depctr 0xfff
	v_mul_f32_e32 v0, 0x4f7ffffe, v0
	v_cvt_u32_f32_e32 v0, v0
	s_delay_alu instid0(VALU_DEP_1) | instskip(NEXT) | instid1(VALU_DEP_1)
	v_mul_lo_u32 v8, s1, v0
	v_mul_hi_u32 v8, v0, v8
	s_delay_alu instid0(VALU_DEP_1) | instskip(NEXT) | instid1(VALU_DEP_1)
	v_add_nc_u32_e32 v0, v0, v8
	v_mul_hi_u32 v0, v1, v0
	s_delay_alu instid0(VALU_DEP_1) | instskip(NEXT) | instid1(VALU_DEP_1)
	v_mul_lo_u32 v0, v0, s14
	v_sub_nc_u32_e32 v0, v1, v0
	s_delay_alu instid0(VALU_DEP_1) | instskip(SKIP_1) | instid1(VALU_DEP_2)
	v_subrev_nc_u32_e32 v1, s14, v0
	v_cmp_le_u32_e32 vcc_lo, s14, v0
	v_cndmask_b32_e32 v0, v0, v1, vcc_lo
	s_delay_alu instid0(VALU_DEP_1) | instskip(SKIP_1) | instid1(VALU_DEP_2)
	v_subrev_nc_u32_e32 v1, s14, v0
	v_cmp_le_u32_e32 vcc_lo, s14, v0
	v_cndmask_b32_e32 v8, v0, v1, vcc_lo
.LBB41_37:                              ;   in Loop: Header=BB41_9 Depth=1
	s_or_b32 exec_lo, exec_lo, s0
	s_delay_alu instid0(VALU_DEP_1)
	v_add_nc_u32_e32 v0, s20, v8
	global_store_b16 v7, v0, s[12:13]
.LBB41_38:                              ;   in Loop: Header=BB41_9 Depth=1
	s_or_b32 exec_lo, exec_lo, s36
	v_add_co_u32 v0, vcc_lo, v15, s28
	v_add_co_ci_u32_e32 v1, vcc_lo, 0, v16, vcc_lo
	s_mov_b32 s36, exec_lo
	s_delay_alu instid0(VALU_DEP_1)
	v_cmpx_gt_i64_e64 s[16:17], v[0:1]
	s_cbranch_execz .LBB41_8
; %bb.39:                               ;   in Loop: Header=BB41_9 Depth=1
	s_and_not1_b32 vcc_lo, exec_lo, s11
	s_cbranch_vccnz .LBB41_45
; %bb.40:                               ;   in Loop: Header=BB41_9 Depth=1
	v_mov_b32_e32 v7, 0
	s_and_not1_b32 vcc_lo, exec_lo, s21
	s_cbranch_vccnz .LBB41_49
; %bb.41:                               ;   in Loop: Header=BB41_9 Depth=1
	s_and_not1_b32 vcc_lo, exec_lo, s33
	s_mov_b32 s0, 0
	s_cbranch_vccnz .LBB41_46
; %bb.42:                               ;   in Loop: Header=BB41_9 Depth=1
	v_mov_b32_e32 v7, 0
	v_mov_b32_e32 v1, v0
	s_mov_b32 s37, 0
	s_mov_b64 s[0:1], s[18:19]
	s_mov_b64 s[26:27], s[24:25]
.LBB41_43:                              ;   Parent Loop BB41_9 Depth=1
                                        ; =>  This Inner Loop Header: Depth=2
	s_clause 0x1
	s_load_b256 s[40:47], s[0:1], 0x4
	s_load_b128 s[48:51], s[0:1], 0x24
	s_load_b128 s[52:55], s[26:27], 0x0
	s_add_u32 s0, s0, 48
	s_addc_u32 s1, s1, 0
	s_add_i32 s37, s37, 4
	s_add_u32 s26, s26, 16
	s_addc_u32 s27, s27, 0
	s_cmp_eq_u32 s34, s37
	s_waitcnt lgkmcnt(0)
	v_mul_hi_u32 v8, s41, v1
	s_delay_alu instid0(VALU_DEP_1) | instskip(NEXT) | instid1(VALU_DEP_1)
	v_add_nc_u32_e32 v8, v1, v8
	v_lshrrev_b32_e32 v8, s42, v8
	s_delay_alu instid0(VALU_DEP_1) | instskip(SKIP_1) | instid1(VALU_DEP_2)
	v_mul_hi_u32 v9, s44, v8
	v_mul_lo_u32 v18, v8, s40
	v_add_nc_u32_e32 v9, v8, v9
	s_delay_alu instid0(VALU_DEP_2) | instskip(NEXT) | instid1(VALU_DEP_2)
	v_sub_nc_u32_e32 v18, v1, v18
	v_lshrrev_b32_e32 v9, s45, v9
	s_delay_alu instid0(VALU_DEP_2) | instskip(NEXT) | instid1(VALU_DEP_2)
	v_mul_lo_u32 v18, v18, s52
	v_mul_hi_u32 v10, s47, v9
	v_mul_lo_u32 v42, v9, s43
	s_delay_alu instid0(VALU_DEP_2) | instskip(NEXT) | instid1(VALU_DEP_2)
	v_add_nc_u32_e32 v10, v9, v10
	v_sub_nc_u32_e32 v8, v8, v42
	s_delay_alu instid0(VALU_DEP_2) | instskip(NEXT) | instid1(VALU_DEP_2)
	v_lshrrev_b32_e32 v10, s48, v10
	v_mul_lo_u32 v8, v8, s53
	s_delay_alu instid0(VALU_DEP_2) | instskip(NEXT) | instid1(VALU_DEP_2)
	v_mul_hi_u32 v14, s50, v10
	v_add3_u32 v7, v18, v7, v8
	s_delay_alu instid0(VALU_DEP_2) | instskip(NEXT) | instid1(VALU_DEP_1)
	v_add_nc_u32_e32 v14, v10, v14
	v_lshrrev_b32_e32 v1, s51, v14
	v_mul_lo_u32 v14, v10, s46
	s_delay_alu instid0(VALU_DEP_2) | instskip(NEXT) | instid1(VALU_DEP_2)
	v_mul_lo_u32 v43, v1, s49
	v_sub_nc_u32_e32 v9, v9, v14
	s_delay_alu instid0(VALU_DEP_2) | instskip(NEXT) | instid1(VALU_DEP_2)
	v_sub_nc_u32_e32 v10, v10, v43
	v_mul_lo_u32 v9, v9, s54
	s_delay_alu instid0(VALU_DEP_2) | instskip(NEXT) | instid1(VALU_DEP_1)
	v_mul_lo_u32 v10, v10, s55
	v_add3_u32 v7, v9, v7, v10
	s_cbranch_scc0 .LBB41_43
; %bb.44:                               ;   in Loop: Header=BB41_9 Depth=1
	s_mov_b32 s0, s34
	s_and_not1_b32 vcc_lo, exec_lo, s35
	s_cbranch_vccz .LBB41_47
	s_branch .LBB41_49
.LBB41_45:                              ;   in Loop: Header=BB41_9 Depth=1
                                        ; implicit-def: $vgpr7
	s_branch .LBB41_50
.LBB41_46:                              ;   in Loop: Header=BB41_9 Depth=1
	v_mov_b32_e32 v1, v0
	s_and_not1_b32 vcc_lo, exec_lo, s35
	s_cbranch_vccnz .LBB41_49
.LBB41_47:                              ;   in Loop: Header=BB41_9 Depth=1
	s_lshl_b32 s1, s0, 2
	s_mul_i32 s26, s0, 12
	s_add_u32 s0, s24, s1
	s_addc_u32 s1, s25, 0
	s_add_u32 s26, s18, s26
	s_addc_u32 s27, s19, 0
	s_mov_b32 s37, s31
	.p2align	6
.LBB41_48:                              ;   Parent Loop BB41_9 Depth=1
                                        ; =>  This Inner Loop Header: Depth=2
	s_clause 0x1
	s_load_b64 s[38:39], s[26:27], 0x4
	s_load_b32 s40, s[26:27], 0xc
	s_add_u32 s26, s26, 12
	s_addc_u32 s27, s27, 0
	s_waitcnt lgkmcnt(0)
	v_mul_hi_u32 v8, s39, v1
	s_load_b32 s39, s[0:1], 0x0
	s_add_u32 s0, s0, 4
	s_addc_u32 s1, s1, 0
	s_add_i32 s37, s37, -1
	s_delay_alu instid0(SALU_CYCLE_1) | instskip(NEXT) | instid1(VALU_DEP_1)
	s_cmp_lg_u32 s37, 0
	v_add_nc_u32_e32 v8, v1, v8
	s_delay_alu instid0(VALU_DEP_1) | instskip(NEXT) | instid1(VALU_DEP_1)
	v_lshrrev_b32_e32 v10, s40, v8
	v_mul_lo_u32 v8, v10, s38
	s_delay_alu instid0(VALU_DEP_1) | instskip(SKIP_1) | instid1(VALU_DEP_1)
	v_sub_nc_u32_e32 v1, v1, v8
	s_waitcnt lgkmcnt(0)
	v_mad_u64_u32 v[8:9], null, v1, s39, v[7:8]
	v_mov_b32_e32 v1, v10
	s_delay_alu instid0(VALU_DEP_2)
	v_mov_b32_e32 v7, v8
	s_cbranch_scc1 .LBB41_48
.LBB41_49:                              ;   in Loop: Header=BB41_9 Depth=1
	s_cbranch_execnz .LBB41_52
.LBB41_50:                              ;   in Loop: Header=BB41_9 Depth=1
	v_mul_hi_u32 v1, v0, s6
	s_and_not1_b32 vcc_lo, exec_lo, s4
	s_delay_alu instid0(VALU_DEP_1) | instskip(NEXT) | instid1(VALU_DEP_1)
	v_add_nc_u32_e32 v1, v1, v0
	v_lshrrev_b32_e32 v1, s7, v1
	s_delay_alu instid0(VALU_DEP_1) | instskip(NEXT) | instid1(VALU_DEP_1)
	v_mul_lo_u32 v7, v1, s5
	v_sub_nc_u32_e32 v0, v0, v7
	s_delay_alu instid0(VALU_DEP_1)
	v_mul_lo_u32 v7, v0, s22
	s_cbranch_vccnz .LBB41_52
; %bb.51:                               ;   in Loop: Header=BB41_9 Depth=1
	v_mul_hi_u32 v0, s9, v1
	s_delay_alu instid0(VALU_DEP_1) | instskip(NEXT) | instid1(VALU_DEP_1)
	v_add_nc_u32_e32 v0, v1, v0
	v_lshrrev_b32_e32 v0, s10, v0
	s_delay_alu instid0(VALU_DEP_1) | instskip(NEXT) | instid1(VALU_DEP_1)
	v_mul_lo_u32 v0, v0, s8
	v_sub_nc_u32_e32 v8, v1, v0
	s_delay_alu instid0(VALU_DEP_1) | instskip(NEXT) | instid1(VALU_DEP_1)
	v_mad_u64_u32 v[0:1], null, v8, s23, v[7:8]
	v_mov_b32_e32 v7, v0
.LBB41_52:                              ;   in Loop: Header=BB41_9 Depth=1
	v_or_b32_e32 v14, s15, v2
                                        ; implicit-def: $vgpr8_vgpr9
	s_mov_b32 s0, exec_lo
	s_delay_alu instid0(VALU_DEP_1)
	v_cmpx_ne_u64_e32 0, v[13:14]
	s_xor_b32 s1, exec_lo, s0
	s_cbranch_execz .LBB41_54
; %bb.53:                               ;   in Loop: Header=BB41_9 Depth=1
	v_cvt_f32_u32_e32 v0, s14
	v_cvt_f32_u32_e32 v1, s15
	s_sub_u32 s0, 0, s14
	s_subb_u32 s26, 0, s15
	s_delay_alu instid0(VALU_DEP_1) | instskip(NEXT) | instid1(VALU_DEP_1)
	v_fmac_f32_e32 v0, 0x4f800000, v1
	v_rcp_f32_e32 v0, v0
	s_waitcnt_depctr 0xfff
	v_mul_f32_e32 v0, 0x5f7ffffc, v0
	s_delay_alu instid0(VALU_DEP_1) | instskip(NEXT) | instid1(VALU_DEP_1)
	v_mul_f32_e32 v1, 0x2f800000, v0
	v_trunc_f32_e32 v1, v1
	s_delay_alu instid0(VALU_DEP_1) | instskip(SKIP_1) | instid1(VALU_DEP_2)
	v_fmac_f32_e32 v0, 0xcf800000, v1
	v_cvt_u32_f32_e32 v1, v1
	v_cvt_u32_f32_e32 v0, v0
	s_delay_alu instid0(VALU_DEP_2) | instskip(NEXT) | instid1(VALU_DEP_2)
	v_mul_lo_u32 v8, s0, v1
	v_mul_hi_u32 v9, s0, v0
	v_mul_lo_u32 v10, s26, v0
	s_delay_alu instid0(VALU_DEP_2) | instskip(SKIP_1) | instid1(VALU_DEP_2)
	v_add_nc_u32_e32 v8, v9, v8
	v_mul_lo_u32 v9, s0, v0
	v_add_nc_u32_e32 v8, v8, v10
	s_delay_alu instid0(VALU_DEP_2) | instskip(NEXT) | instid1(VALU_DEP_2)
	v_mul_hi_u32 v10, v0, v9
	v_mul_lo_u32 v14, v0, v8
	v_mul_hi_u32 v18, v0, v8
	v_mul_hi_u32 v42, v1, v9
	v_mul_lo_u32 v9, v1, v9
	v_mul_hi_u32 v43, v1, v8
	v_mul_lo_u32 v8, v1, v8
	v_add_co_u32 v10, vcc_lo, v10, v14
	v_add_co_ci_u32_e32 v14, vcc_lo, 0, v18, vcc_lo
	s_delay_alu instid0(VALU_DEP_2) | instskip(NEXT) | instid1(VALU_DEP_2)
	v_add_co_u32 v9, vcc_lo, v10, v9
	v_add_co_ci_u32_e32 v9, vcc_lo, v14, v42, vcc_lo
	v_add_co_ci_u32_e32 v10, vcc_lo, 0, v43, vcc_lo
	s_delay_alu instid0(VALU_DEP_2) | instskip(NEXT) | instid1(VALU_DEP_2)
	v_add_co_u32 v8, vcc_lo, v9, v8
	v_add_co_ci_u32_e32 v9, vcc_lo, 0, v10, vcc_lo
	s_delay_alu instid0(VALU_DEP_2) | instskip(NEXT) | instid1(VALU_DEP_2)
	v_add_co_u32 v0, vcc_lo, v0, v8
	v_add_co_ci_u32_e32 v1, vcc_lo, v1, v9, vcc_lo
	s_delay_alu instid0(VALU_DEP_2) | instskip(SKIP_1) | instid1(VALU_DEP_3)
	v_mul_hi_u32 v8, s0, v0
	v_mul_lo_u32 v10, s26, v0
	v_mul_lo_u32 v9, s0, v1
	s_delay_alu instid0(VALU_DEP_1) | instskip(SKIP_1) | instid1(VALU_DEP_2)
	v_add_nc_u32_e32 v8, v8, v9
	v_mul_lo_u32 v9, s0, v0
	v_add_nc_u32_e32 v8, v8, v10
	s_delay_alu instid0(VALU_DEP_2) | instskip(NEXT) | instid1(VALU_DEP_2)
	v_mul_hi_u32 v10, v0, v9
	v_mul_lo_u32 v14, v0, v8
	v_mul_hi_u32 v18, v0, v8
	v_mul_hi_u32 v42, v1, v9
	v_mul_lo_u32 v9, v1, v9
	v_mul_hi_u32 v43, v1, v8
	v_mul_lo_u32 v8, v1, v8
	v_add_co_u32 v10, vcc_lo, v10, v14
	v_add_co_ci_u32_e32 v14, vcc_lo, 0, v18, vcc_lo
	s_delay_alu instid0(VALU_DEP_2) | instskip(NEXT) | instid1(VALU_DEP_2)
	v_add_co_u32 v9, vcc_lo, v10, v9
	v_add_co_ci_u32_e32 v9, vcc_lo, v14, v42, vcc_lo
	v_add_co_ci_u32_e32 v10, vcc_lo, 0, v43, vcc_lo
	s_delay_alu instid0(VALU_DEP_2) | instskip(NEXT) | instid1(VALU_DEP_2)
	v_add_co_u32 v8, vcc_lo, v9, v8
	v_add_co_ci_u32_e32 v9, vcc_lo, 0, v10, vcc_lo
	s_delay_alu instid0(VALU_DEP_2) | instskip(NEXT) | instid1(VALU_DEP_2)
	v_add_co_u32 v10, vcc_lo, v0, v8
	v_add_co_ci_u32_e32 v14, vcc_lo, v1, v9, vcc_lo
	s_delay_alu instid0(VALU_DEP_2) | instskip(SKIP_1) | instid1(VALU_DEP_3)
	v_mul_hi_u32 v18, v3, v10
	v_mad_u64_u32 v[8:9], null, v2, v10, 0
	v_mad_u64_u32 v[0:1], null, v3, v14, 0
	;; [unrolled: 1-line block ×3, first 2 shown]
	s_delay_alu instid0(VALU_DEP_2) | instskip(NEXT) | instid1(VALU_DEP_3)
	v_add_co_u32 v0, vcc_lo, v18, v0
	v_add_co_ci_u32_e32 v1, vcc_lo, 0, v1, vcc_lo
	s_delay_alu instid0(VALU_DEP_2) | instskip(NEXT) | instid1(VALU_DEP_2)
	v_add_co_u32 v0, vcc_lo, v0, v8
	v_add_co_ci_u32_e32 v0, vcc_lo, v1, v9, vcc_lo
	v_add_co_ci_u32_e32 v1, vcc_lo, 0, v43, vcc_lo
	s_delay_alu instid0(VALU_DEP_2) | instskip(NEXT) | instid1(VALU_DEP_2)
	v_add_co_u32 v8, vcc_lo, v0, v42
	v_add_co_ci_u32_e32 v9, vcc_lo, 0, v1, vcc_lo
	s_delay_alu instid0(VALU_DEP_2) | instskip(SKIP_1) | instid1(VALU_DEP_3)
	v_mul_lo_u32 v10, s15, v8
	v_mad_u64_u32 v[0:1], null, s14, v8, 0
	v_mul_lo_u32 v8, s14, v9
	s_delay_alu instid0(VALU_DEP_2) | instskip(NEXT) | instid1(VALU_DEP_2)
	v_sub_co_u32 v0, vcc_lo, v3, v0
	v_add3_u32 v1, v1, v8, v10
	s_delay_alu instid0(VALU_DEP_1) | instskip(NEXT) | instid1(VALU_DEP_1)
	v_sub_nc_u32_e32 v8, v2, v1
	v_subrev_co_ci_u32_e64 v3, s0, s15, v8, vcc_lo
	s_delay_alu instid0(VALU_DEP_4) | instskip(SKIP_1) | instid1(VALU_DEP_3)
	v_sub_co_u32 v8, s0, v0, s14
	v_sub_co_ci_u32_e32 v1, vcc_lo, v2, v1, vcc_lo
	v_subrev_co_ci_u32_e64 v3, s0, 0, v3, s0
	s_delay_alu instid0(VALU_DEP_3) | instskip(SKIP_1) | instid1(VALU_DEP_3)
	v_cmp_le_u32_e32 vcc_lo, s14, v8
	v_cndmask_b32_e64 v2, 0, -1, vcc_lo
	v_cmp_le_u32_e32 vcc_lo, s15, v3
	v_cndmask_b32_e64 v9, 0, -1, vcc_lo
	;; [unrolled: 2-line block ×4, first 2 shown]
	v_cmp_eq_u32_e32 vcc_lo, s15, v3
	v_cndmask_b32_e32 v2, v9, v2, vcc_lo
	v_sub_co_u32 v3, vcc_lo, v8, s14
	v_cmp_eq_u32_e32 vcc_lo, s15, v1
	v_cndmask_b32_e32 v1, v14, v10, vcc_lo
	s_delay_alu instid0(VALU_DEP_4) | instskip(NEXT) | instid1(VALU_DEP_4)
	v_cmp_ne_u32_e32 vcc_lo, 0, v2
	v_cndmask_b32_e32 v2, v8, v3, vcc_lo
	s_delay_alu instid0(VALU_DEP_3) | instskip(NEXT) | instid1(VALU_DEP_2)
	v_cmp_ne_u32_e32 vcc_lo, 0, v1
	v_cndmask_b32_e32 v8, v0, v2, vcc_lo
                                        ; implicit-def: $vgpr0_vgpr1_vgpr2_vgpr3
.LBB41_54:                              ;   in Loop: Header=BB41_9 Depth=1
	s_and_not1_saveexec_b32 s0, s1
	s_cbranch_execz .LBB41_7
; %bb.55:                               ;   in Loop: Header=BB41_9 Depth=1
	v_cvt_f32_u32_e32 v0, s14
	s_sub_i32 s1, 0, s14
	s_delay_alu instid0(VALU_DEP_1) | instskip(SKIP_2) | instid1(VALU_DEP_1)
	v_rcp_iflag_f32_e32 v0, v0
	s_waitcnt_depctr 0xfff
	v_mul_f32_e32 v0, 0x4f7ffffe, v0
	v_cvt_u32_f32_e32 v0, v0
	s_delay_alu instid0(VALU_DEP_1) | instskip(NEXT) | instid1(VALU_DEP_1)
	v_mul_lo_u32 v1, s1, v0
	v_mul_hi_u32 v1, v0, v1
	s_delay_alu instid0(VALU_DEP_1) | instskip(NEXT) | instid1(VALU_DEP_1)
	v_add_nc_u32_e32 v0, v0, v1
	v_mul_hi_u32 v0, v3, v0
	s_delay_alu instid0(VALU_DEP_1) | instskip(NEXT) | instid1(VALU_DEP_1)
	v_mul_lo_u32 v0, v0, s14
	v_sub_nc_u32_e32 v0, v3, v0
	s_delay_alu instid0(VALU_DEP_1) | instskip(SKIP_1) | instid1(VALU_DEP_2)
	v_subrev_nc_u32_e32 v1, s14, v0
	v_cmp_le_u32_e32 vcc_lo, s14, v0
	v_cndmask_b32_e32 v0, v0, v1, vcc_lo
	s_delay_alu instid0(VALU_DEP_1) | instskip(SKIP_1) | instid1(VALU_DEP_2)
	v_subrev_nc_u32_e32 v1, s14, v0
	v_cmp_le_u32_e32 vcc_lo, s14, v0
	v_cndmask_b32_e32 v8, v0, v1, vcc_lo
	s_branch .LBB41_7
.LBB41_56:
	s_endpgm
.LBB41_57:
                                        ; implicit-def: $sgpr2_sgpr3
	s_branch .LBB41_4
	.section	.rodata,"a",@progbits
	.p2align	6, 0x0
	.amdhsa_kernel _ZN2at6native12_GLOBAL__N_143distribution_elementwise_grid_stride_kernelImLi2EZZZNS0_9templates4cuda21random_from_to_kernelIPNS_17CUDAGeneratorImplEEEvRNS_18TensorIteratorBaseEmlT_ENKUlvE_clEvENKUlvE9_clEvEUlP25hiprandStatePhilox4_32_10E_ZNS1_27distribution_nullary_kernelItm15HIP_vector_typeIyLj2EES7_SF_ZZZNS5_IS7_EEvS9_mlSA_ENKSB_clEvENKSC_clEvEUlmE_EEvS9_T2_RKT3_T4_EUlimE0_EEvlNS_15PhiloxCudaStateET1_SK_
		.amdhsa_group_segment_fixed_size 0
		.amdhsa_private_segment_fixed_size 0
		.amdhsa_kernarg_size 592
		.amdhsa_user_sgpr_count 15
		.amdhsa_user_sgpr_dispatch_ptr 0
		.amdhsa_user_sgpr_queue_ptr 0
		.amdhsa_user_sgpr_kernarg_segment_ptr 1
		.amdhsa_user_sgpr_dispatch_id 0
		.amdhsa_user_sgpr_private_segment_size 0
		.amdhsa_wavefront_size32 1
		.amdhsa_uses_dynamic_stack 0
		.amdhsa_enable_private_segment 0
		.amdhsa_system_sgpr_workgroup_id_x 1
		.amdhsa_system_sgpr_workgroup_id_y 0
		.amdhsa_system_sgpr_workgroup_id_z 0
		.amdhsa_system_sgpr_workgroup_info 0
		.amdhsa_system_vgpr_workitem_id 0
		.amdhsa_next_free_vgpr 46
		.amdhsa_next_free_sgpr 56
		.amdhsa_reserve_vcc 1
		.amdhsa_float_round_mode_32 0
		.amdhsa_float_round_mode_16_64 0
		.amdhsa_float_denorm_mode_32 3
		.amdhsa_float_denorm_mode_16_64 3
		.amdhsa_dx10_clamp 1
		.amdhsa_ieee_mode 1
		.amdhsa_fp16_overflow 0
		.amdhsa_workgroup_processor_mode 1
		.amdhsa_memory_ordered 1
		.amdhsa_forward_progress 0
		.amdhsa_shared_vgpr_count 0
		.amdhsa_exception_fp_ieee_invalid_op 0
		.amdhsa_exception_fp_denorm_src 0
		.amdhsa_exception_fp_ieee_div_zero 0
		.amdhsa_exception_fp_ieee_overflow 0
		.amdhsa_exception_fp_ieee_underflow 0
		.amdhsa_exception_fp_ieee_inexact 0
		.amdhsa_exception_int_div_zero 0
	.end_amdhsa_kernel
	.section	.text._ZN2at6native12_GLOBAL__N_143distribution_elementwise_grid_stride_kernelImLi2EZZZNS0_9templates4cuda21random_from_to_kernelIPNS_17CUDAGeneratorImplEEEvRNS_18TensorIteratorBaseEmlT_ENKUlvE_clEvENKUlvE9_clEvEUlP25hiprandStatePhilox4_32_10E_ZNS1_27distribution_nullary_kernelItm15HIP_vector_typeIyLj2EES7_SF_ZZZNS5_IS7_EEvS9_mlSA_ENKSB_clEvENKSC_clEvEUlmE_EEvS9_T2_RKT3_T4_EUlimE0_EEvlNS_15PhiloxCudaStateET1_SK_,"axG",@progbits,_ZN2at6native12_GLOBAL__N_143distribution_elementwise_grid_stride_kernelImLi2EZZZNS0_9templates4cuda21random_from_to_kernelIPNS_17CUDAGeneratorImplEEEvRNS_18TensorIteratorBaseEmlT_ENKUlvE_clEvENKUlvE9_clEvEUlP25hiprandStatePhilox4_32_10E_ZNS1_27distribution_nullary_kernelItm15HIP_vector_typeIyLj2EES7_SF_ZZZNS5_IS7_EEvS9_mlSA_ENKSB_clEvENKSC_clEvEUlmE_EEvS9_T2_RKT3_T4_EUlimE0_EEvlNS_15PhiloxCudaStateET1_SK_,comdat
.Lfunc_end41:
	.size	_ZN2at6native12_GLOBAL__N_143distribution_elementwise_grid_stride_kernelImLi2EZZZNS0_9templates4cuda21random_from_to_kernelIPNS_17CUDAGeneratorImplEEEvRNS_18TensorIteratorBaseEmlT_ENKUlvE_clEvENKUlvE9_clEvEUlP25hiprandStatePhilox4_32_10E_ZNS1_27distribution_nullary_kernelItm15HIP_vector_typeIyLj2EES7_SF_ZZZNS5_IS7_EEvS9_mlSA_ENKSB_clEvENKSC_clEvEUlmE_EEvS9_T2_RKT3_T4_EUlimE0_EEvlNS_15PhiloxCudaStateET1_SK_, .Lfunc_end41-_ZN2at6native12_GLOBAL__N_143distribution_elementwise_grid_stride_kernelImLi2EZZZNS0_9templates4cuda21random_from_to_kernelIPNS_17CUDAGeneratorImplEEEvRNS_18TensorIteratorBaseEmlT_ENKUlvE_clEvENKUlvE9_clEvEUlP25hiprandStatePhilox4_32_10E_ZNS1_27distribution_nullary_kernelItm15HIP_vector_typeIyLj2EES7_SF_ZZZNS5_IS7_EEvS9_mlSA_ENKSB_clEvENKSC_clEvEUlmE_EEvS9_T2_RKT3_T4_EUlimE0_EEvlNS_15PhiloxCudaStateET1_SK_
                                        ; -- End function
	.section	.AMDGPU.csdata,"",@progbits
; Kernel info:
; codeLenInByte = 5544
; NumSgprs: 58
; NumVgprs: 46
; ScratchSize: 0
; MemoryBound: 0
; FloatMode: 240
; IeeeMode: 1
; LDSByteSize: 0 bytes/workgroup (compile time only)
; SGPRBlocks: 7
; VGPRBlocks: 5
; NumSGPRsForWavesPerEU: 58
; NumVGPRsForWavesPerEU: 46
; Occupancy: 16
; WaveLimiterHint : 1
; COMPUTE_PGM_RSRC2:SCRATCH_EN: 0
; COMPUTE_PGM_RSRC2:USER_SGPR: 15
; COMPUTE_PGM_RSRC2:TRAP_HANDLER: 0
; COMPUTE_PGM_RSRC2:TGID_X_EN: 1
; COMPUTE_PGM_RSRC2:TGID_Y_EN: 0
; COMPUTE_PGM_RSRC2:TGID_Z_EN: 0
; COMPUTE_PGM_RSRC2:TIDIG_COMP_CNT: 0
	.section	.text._ZN2at6native12_GLOBAL__N_143distribution_elementwise_grid_stride_kernelIjLi4EZZZNS0_9templates4cuda21random_from_to_kernelIPNS_17CUDAGeneratorImplEEEvRNS_18TensorIteratorBaseEmlT_ENKUlvE_clEvENKUlvE9_clEvEUlP25hiprandStatePhilox4_32_10E0_ZNS1_27distribution_nullary_kernelItj15HIP_vector_typeIjLj4EES7_SF_ZZZNS5_IS7_EEvS9_mlSA_ENKSB_clEvENKSC_clEvEUljE_EEvS9_T2_RKT3_T4_EUlijE_EEvlNS_15PhiloxCudaStateET1_SK_,"axG",@progbits,_ZN2at6native12_GLOBAL__N_143distribution_elementwise_grid_stride_kernelIjLi4EZZZNS0_9templates4cuda21random_from_to_kernelIPNS_17CUDAGeneratorImplEEEvRNS_18TensorIteratorBaseEmlT_ENKUlvE_clEvENKUlvE9_clEvEUlP25hiprandStatePhilox4_32_10E0_ZNS1_27distribution_nullary_kernelItj15HIP_vector_typeIjLj4EES7_SF_ZZZNS5_IS7_EEvS9_mlSA_ENKSB_clEvENKSC_clEvEUljE_EEvS9_T2_RKT3_T4_EUlijE_EEvlNS_15PhiloxCudaStateET1_SK_,comdat
	.globl	_ZN2at6native12_GLOBAL__N_143distribution_elementwise_grid_stride_kernelIjLi4EZZZNS0_9templates4cuda21random_from_to_kernelIPNS_17CUDAGeneratorImplEEEvRNS_18TensorIteratorBaseEmlT_ENKUlvE_clEvENKUlvE9_clEvEUlP25hiprandStatePhilox4_32_10E0_ZNS1_27distribution_nullary_kernelItj15HIP_vector_typeIjLj4EES7_SF_ZZZNS5_IS7_EEvS9_mlSA_ENKSB_clEvENKSC_clEvEUljE_EEvS9_T2_RKT3_T4_EUlijE_EEvlNS_15PhiloxCudaStateET1_SK_ ; -- Begin function _ZN2at6native12_GLOBAL__N_143distribution_elementwise_grid_stride_kernelIjLi4EZZZNS0_9templates4cuda21random_from_to_kernelIPNS_17CUDAGeneratorImplEEEvRNS_18TensorIteratorBaseEmlT_ENKUlvE_clEvENKUlvE9_clEvEUlP25hiprandStatePhilox4_32_10E0_ZNS1_27distribution_nullary_kernelItj15HIP_vector_typeIjLj4EES7_SF_ZZZNS5_IS7_EEvS9_mlSA_ENKSB_clEvENKSC_clEvEUljE_EEvS9_T2_RKT3_T4_EUlijE_EEvlNS_15PhiloxCudaStateET1_SK_
	.p2align	8
	.type	_ZN2at6native12_GLOBAL__N_143distribution_elementwise_grid_stride_kernelIjLi4EZZZNS0_9templates4cuda21random_from_to_kernelIPNS_17CUDAGeneratorImplEEEvRNS_18TensorIteratorBaseEmlT_ENKUlvE_clEvENKUlvE9_clEvEUlP25hiprandStatePhilox4_32_10E0_ZNS1_27distribution_nullary_kernelItj15HIP_vector_typeIjLj4EES7_SF_ZZZNS5_IS7_EEvS9_mlSA_ENKSB_clEvENKSC_clEvEUljE_EEvS9_T2_RKT3_T4_EUlijE_EEvlNS_15PhiloxCudaStateET1_SK_,@function
_ZN2at6native12_GLOBAL__N_143distribution_elementwise_grid_stride_kernelIjLi4EZZZNS0_9templates4cuda21random_from_to_kernelIPNS_17CUDAGeneratorImplEEEvRNS_18TensorIteratorBaseEmlT_ENKUlvE_clEvENKUlvE9_clEvEUlP25hiprandStatePhilox4_32_10E0_ZNS1_27distribution_nullary_kernelItj15HIP_vector_typeIjLj4EES7_SF_ZZZNS5_IS7_EEvS9_mlSA_ENKSB_clEvENKSC_clEvEUljE_EEvS9_T2_RKT3_T4_EUlijE_EEvlNS_15PhiloxCudaStateET1_SK_: ; @_ZN2at6native12_GLOBAL__N_143distribution_elementwise_grid_stride_kernelIjLi4EZZZNS0_9templates4cuda21random_from_to_kernelIPNS_17CUDAGeneratorImplEEEvRNS_18TensorIteratorBaseEmlT_ENKUlvE_clEvENKUlvE9_clEvEUlP25hiprandStatePhilox4_32_10E0_ZNS1_27distribution_nullary_kernelItj15HIP_vector_typeIjLj4EES7_SF_ZZZNS5_IS7_EEvS9_mlSA_ENKSB_clEvENKSC_clEvEUljE_EEvS9_T2_RKT3_T4_EUlijE_EEvlNS_15PhiloxCudaStateET1_SK_
; %bb.0:
	s_clause 0x2
	s_load_b64 s[8:9], s[0:1], 0x10
	s_load_b128 s[4:7], s[0:1], 0x0
	s_load_b32 s2, s[0:1], 0x20
	s_waitcnt lgkmcnt(0)
	v_dual_mov_b32 v2, s8 :: v_dual_mov_b32 v3, s9
	v_dual_mov_b32 v14, s7 :: v_dual_mov_b32 v13, s6
	s_bitcmp0_b32 s2, 0
	s_mov_b32 s2, 0
	s_cbranch_scc1 .LBB42_2
; %bb.1:
	v_dual_mov_b32 v1, s8 :: v_dual_mov_b32 v2, s9
	v_dual_mov_b32 v4, s6 :: v_dual_mov_b32 v5, s7
	s_load_b64 s[6:7], s[0:1], 0x18
	flat_load_b64 v[2:3], v[1:2]
	flat_load_b64 v[13:14], v[4:5]
	s_waitcnt vmcnt(1) lgkmcnt(0)
	v_add_co_u32 v2, vcc_lo, v2, s6
	v_add_co_ci_u32_e32 v3, vcc_lo, s7, v3, vcc_lo
.LBB42_2:
	s_clause 0x1
	s_load_b32 s3, s[0:1], 0x5c
	s_load_b32 s14, s[0:1], 0x50
	s_waitcnt lgkmcnt(0)
	s_and_b32 s13, s3, 0xffff
	s_add_u32 s6, s4, -1
	s_mul_i32 s10, s14, s13
	s_addc_u32 s3, s5, -1
	s_lshl_b32 s11, s10, 2
	s_cmp_lg_u64 s[2:3], 0
	s_cbranch_scc0 .LBB42_35
; %bb.3:
	v_cvt_f32_ubyte0_e32 v1, 0
	v_cvt_f32_u32_e32 v4, s11
	s_sub_u32 s8, 0, s11
	s_subb_u32 s9, 0, 0
	s_delay_alu instid0(VALU_DEP_1) | instskip(NEXT) | instid1(VALU_DEP_1)
	v_fmamk_f32 v1, v1, 0x4f800000, v4
	v_rcp_f32_e32 v1, v1
	s_waitcnt_depctr 0xfff
	v_mul_f32_e32 v1, 0x5f7ffffc, v1
	s_delay_alu instid0(VALU_DEP_1) | instskip(NEXT) | instid1(VALU_DEP_1)
	v_mul_f32_e32 v4, 0x2f800000, v1
	v_trunc_f32_e32 v4, v4
	s_delay_alu instid0(VALU_DEP_1) | instskip(SKIP_1) | instid1(VALU_DEP_2)
	v_fmamk_f32 v1, v4, 0xcf800000, v1
	v_cvt_u32_f32_e32 v4, v4
	v_cvt_u32_f32_e32 v1, v1
	s_delay_alu instid0(VALU_DEP_2) | instskip(NEXT) | instid1(VALU_DEP_2)
	v_readfirstlane_b32 s2, v4
	v_readfirstlane_b32 s7, v1
	s_delay_alu instid0(VALU_DEP_2) | instskip(NEXT) | instid1(VALU_DEP_1)
	s_mul_i32 s12, s8, s2
	s_mul_hi_u32 s17, s8, s7
	s_mul_i32 s16, s9, s7
	s_add_i32 s12, s17, s12
	s_mul_i32 s18, s8, s7
	s_add_i32 s12, s12, s16
	s_mul_hi_u32 s17, s7, s18
	s_mul_hi_u32 s19, s2, s18
	s_mul_i32 s16, s2, s18
	s_mul_hi_u32 s18, s7, s12
	s_mul_i32 s7, s7, s12
	s_mul_hi_u32 s20, s2, s12
	s_add_u32 s7, s17, s7
	s_addc_u32 s17, 0, s18
	s_add_u32 s7, s7, s16
	s_mul_i32 s12, s2, s12
	s_addc_u32 s7, s17, s19
	s_addc_u32 s16, s20, 0
	s_add_u32 s7, s7, s12
	s_addc_u32 s12, 0, s16
	v_add_co_u32 v1, s7, v1, s7
	s_delay_alu instid0(VALU_DEP_1) | instskip(SKIP_1) | instid1(VALU_DEP_1)
	s_cmp_lg_u32 s7, 0
	s_addc_u32 s2, s2, s12
	v_readfirstlane_b32 s7, v1
	s_mul_i32 s12, s8, s2
	s_delay_alu instid0(VALU_DEP_1)
	s_mul_hi_u32 s16, s8, s7
	s_mul_i32 s9, s9, s7
	s_add_i32 s12, s16, s12
	s_mul_i32 s8, s8, s7
	s_add_i32 s12, s12, s9
	s_mul_hi_u32 s16, s2, s8
	s_mul_i32 s17, s2, s8
	s_mul_hi_u32 s8, s7, s8
	s_mul_hi_u32 s18, s7, s12
	s_mul_i32 s7, s7, s12
	s_mul_hi_u32 s9, s2, s12
	s_add_u32 s7, s8, s7
	s_addc_u32 s8, 0, s18
	s_add_u32 s7, s7, s17
	s_mul_i32 s12, s2, s12
	s_addc_u32 s7, s8, s16
	s_addc_u32 s8, s9, 0
	s_add_u32 s7, s7, s12
	s_addc_u32 s8, 0, s8
	v_add_co_u32 v1, s7, v1, s7
	s_delay_alu instid0(VALU_DEP_1) | instskip(SKIP_2) | instid1(VALU_DEP_1)
	s_cmp_lg_u32 s7, 0
	s_addc_u32 s7, s2, s8
	s_ashr_i32 s8, s3, 31
	v_readfirstlane_b32 s12, v1
	s_add_u32 s2, s6, s8
	s_mov_b32 s9, s8
	s_addc_u32 s3, s3, s8
	s_delay_alu instid0(SALU_CYCLE_1) | instskip(NEXT) | instid1(SALU_CYCLE_1)
	s_xor_b64 s[2:3], s[2:3], s[8:9]
	s_mul_i32 s17, s2, s7
	s_mul_hi_u32 s18, s2, s12
	s_mul_hi_u32 s16, s2, s7
	s_mul_hi_u32 s20, s3, s12
	s_mul_i32 s12, s3, s12
	s_add_u32 s17, s18, s17
	s_addc_u32 s16, 0, s16
	s_mul_hi_u32 s19, s3, s7
	s_add_u32 s12, s17, s12
	s_mul_i32 s7, s3, s7
	s_addc_u32 s12, s16, s20
	s_addc_u32 s16, s19, 0
	s_add_u32 s7, s12, s7
	s_addc_u32 s12, 0, s16
	s_mul_i32 s17, s11, s7
	s_add_u32 s16, s7, 1
	v_sub_co_u32 v1, s2, s2, s17
	s_mul_hi_u32 s17, s11, s7
	s_addc_u32 s18, s12, 0
	s_mul_i32 s19, s11, s12
	s_delay_alu instid0(VALU_DEP_1)
	v_sub_co_u32 v4, s20, v1, s11
	s_add_u32 s21, s7, 2
	s_addc_u32 s22, s12, 0
	s_add_i32 s17, s17, s19
	s_cmp_lg_u32 s2, 0
	v_readfirstlane_b32 s2, v4
	s_subb_u32 s3, s3, s17
	s_cmp_lg_u32 s20, 0
	s_subb_u32 s17, s3, 0
	s_delay_alu instid0(VALU_DEP_1) | instskip(SKIP_4) | instid1(SALU_CYCLE_1)
	s_cmp_ge_u32 s2, s11
	s_cselect_b32 s2, -1, 0
	s_cmp_eq_u32 s17, 0
	v_readfirstlane_b32 s17, v1
	s_cselect_b32 s2, s2, -1
	s_cmp_lg_u32 s2, 0
	s_cselect_b32 s2, s21, s16
	s_cselect_b32 s16, s22, s18
	s_cmp_ge_u32 s17, s11
	s_cselect_b32 s17, -1, 0
	s_cmp_eq_u32 s3, 0
	s_cselect_b32 s3, s17, -1
	s_delay_alu instid0(SALU_CYCLE_1) | instskip(SKIP_2) | instid1(SALU_CYCLE_1)
	s_cmp_lg_u32 s3, 0
	s_cselect_b32 s3, s16, s12
	s_cselect_b32 s2, s2, s7
	s_xor_b64 s[2:3], s[2:3], s[8:9]
	s_delay_alu instid0(SALU_CYCLE_1)
	s_sub_u32 s2, s2, s8
	s_subb_u32 s3, s3, s8
	s_cbranch_execnz .LBB42_5
.LBB42_4:
	v_cvt_f32_u32_e32 v1, s11
	s_sub_i32 s3, 0, s11
	s_delay_alu instid0(VALU_DEP_1) | instskip(SKIP_2) | instid1(VALU_DEP_1)
	v_rcp_iflag_f32_e32 v1, v1
	s_waitcnt_depctr 0xfff
	v_mul_f32_e32 v1, 0x4f7ffffe, v1
	v_cvt_u32_f32_e32 v1, v1
	s_delay_alu instid0(VALU_DEP_1) | instskip(NEXT) | instid1(VALU_DEP_1)
	v_readfirstlane_b32 s2, v1
	s_mul_i32 s3, s3, s2
	s_delay_alu instid0(SALU_CYCLE_1) | instskip(NEXT) | instid1(SALU_CYCLE_1)
	s_mul_hi_u32 s3, s2, s3
	s_add_i32 s2, s2, s3
	s_delay_alu instid0(SALU_CYCLE_1) | instskip(NEXT) | instid1(SALU_CYCLE_1)
	s_mul_hi_u32 s2, s6, s2
	s_mul_i32 s3, s2, s11
	s_delay_alu instid0(SALU_CYCLE_1)
	s_sub_i32 s3, s6, s3
	s_add_i32 s6, s2, 1
	s_sub_i32 s7, s3, s11
	s_cmp_ge_u32 s3, s11
	s_cselect_b32 s2, s6, s2
	s_cselect_b32 s3, s7, s3
	s_add_i32 s6, s2, 1
	s_cmp_ge_u32 s3, s11
	s_mov_b32 s3, 0
	s_cselect_b32 s2, s6, s2
.LBB42_5:
	v_mov_b32_e32 v1, 0
	s_add_u32 s2, s2, 1
	s_addc_u32 s3, s3, 0
	s_mul_hi_u32 s6, s10, s2
	s_mul_i32 s3, s10, s3
	v_mad_u64_u32 v[15:16], null, s13, s15, v[0:1]
	s_mul_hi_u32 s7, s14, s13
	s_add_i32 s3, s6, s3
	s_mul_i32 s7, s7, s2
	s_mul_i32 s2, s10, s2
	s_add_i32 s3, s3, s7
	s_delay_alu instid0(SALU_CYCLE_1)
	s_lshl_b64 s[6:7], s[2:3], 2
	s_mov_b32 s2, exec_lo
	v_cmpx_gt_i64_e64 s[6:7], v[15:16]
	s_cbranch_execz .LBB42_34
; %bb.6:
	v_alignbit_b32 v19, v3, v2, 2
	v_mad_u64_u32 v[6:7], null, 0xcd9e8d57, v15, 0
	v_lshrrev_b32_e32 v20, 2, v3
	s_waitcnt vmcnt(0)
	v_dual_mov_b32 v11, v14 :: v_dual_add_nc_u32 v32, 0x8ff34781, v13
	v_mad_u64_u32 v[4:5], null, 0xd2511f53, v19, 0
	v_add_co_u32 v22, null, 0x9e3779b9, v13
	s_delay_alu instid0(VALU_DEP_3) | instskip(SKIP_1) | instid1(VALU_DEP_4)
	v_add_co_u32 v21, null, 0xbb67ae85, v11
	v_add_co_u32 v23, null, 0x3c6ef372, v13
	v_xor_b32_e32 v3, v5, v14
	v_xor3_b32 v5, v13, v7, v20
	v_add_co_u32 v24, null, 0x76cf5d0a, v11
	v_add_co_u32 v25, null, 0x32370b8f, v11
	s_delay_alu instid0(VALU_DEP_4) | instskip(NEXT) | instid1(VALU_DEP_4)
	v_xor_b32_e32 v3, v3, v16
	v_mad_u64_u32 v[7:8], null, 0xd2511f53, v5, 0
	v_add_co_u32 v26, null, 0xdaa66d2b, v13
	s_delay_alu instid0(VALU_DEP_3) | instskip(SKIP_1) | instid1(VALU_DEP_4)
	v_mad_u64_u32 v[9:10], null, 0xcd9e8d57, v3, 0
	v_add_co_u32 v27, null, 0x78dde6e4, v13
	v_xor3_b32 v5, v21, v8, v4
	v_add_co_u32 v28, null, 0xed9eba14, v11
	v_add_co_u32 v29, null, 0xa9066899, v11
	v_xor3_b32 v8, v22, v10, v6
	s_delay_alu instid0(VALU_DEP_4) | instskip(SKIP_1) | instid1(VALU_DEP_3)
	v_mad_u64_u32 v[3:4], null, 0xcd9e8d57, v5, 0
	v_add_co_u32 v30, null, 0x1715609d, v13
	v_mad_u64_u32 v[5:6], null, 0xd2511f53, v8, 0
	v_and_b32_e32 v31, 3, v2
	v_add_co_u32 v35, null, 0xb54cda56, v13
	v_xor3_b32 v4, v23, v4, v9
	v_add_co_u32 v36, null, 0x646e171e, v11
	v_xor3_b32 v10, v24, v6, v7
	v_add_co_u32 v34, null, 0x5384540f, v13
	s_delay_alu instid0(VALU_DEP_4) | instskip(NEXT) | instid1(VALU_DEP_3)
	v_mad_u64_u32 v[6:7], null, 0xd2511f53, v4, 0
	v_mad_u64_u32 v[8:9], null, 0xcd9e8d57, v10, 0
	v_add_co_u32 v38, null, 0x1fd5c5a3, v11
	s_clause 0x1
	s_load_b64 s[8:9], s[0:1], 0x30
	s_load_b32 s16, s[0:1], 0x38
	v_add_co_u32 v37, null, 0xf1bbcdc8, v13
	s_delay_alu instid0(VALU_DEP_4) | instskip(NEXT) | instid1(VALU_DEP_4)
	v_xor3_b32 v5, v25, v7, v5
	v_xor3_b32 v7, v26, v9, v3
	v_add_co_u32 v40, null, 0xdb3d7428, v11
	s_load_b128 s[0:3], s[0:1], 0x40
	s_delay_alu instid0(VALU_DEP_3) | instskip(NEXT) | instid1(VALU_DEP_3)
	v_mad_u64_u32 v[3:4], null, 0xcd9e8d57, v5, 0
	v_mad_u64_u32 v[9:10], null, 0xd2511f53, v7, 0
	s_mul_i32 s17, s14, 3
	s_lshl_b32 s18, s14, 1
	s_add_i32 s19, s15, s14
	s_add_i32 s17, s15, s17
	s_delay_alu instid0(VALU_DEP_2) | instskip(SKIP_1) | instid1(VALU_DEP_3)
	v_xor3_b32 v7, v27, v4, v8
	v_mad_u64_u32 v[11:12], null, s19, s13, v[0:1]
	v_xor3_b32 v8, v28, v10, v6
	v_mad_u64_u32 v[17:18], null, s17, s13, v[0:1]
	s_delay_alu instid0(VALU_DEP_4) | instskip(NEXT) | instid1(VALU_DEP_3)
	v_mad_u64_u32 v[4:5], null, 0xd2511f53, v7, 0
	v_mad_u64_u32 v[6:7], null, 0xcd9e8d57, v8, 0
	v_add_nc_u32_e32 v33, 0x96a522ad, v14
	s_waitcnt lgkmcnt(0)
	v_mul_lo_u32 v44, s16, v11
	v_mul_lo_u32 v42, s16, v17
	s_mul_i32 s14, s14, s16
	v_xor3_b32 v5, v29, v5, v9
	v_mov_b32_e32 v39, v15
	v_xor3_b32 v9, v30, v7, v3
	v_mov_b32_e32 v45, v16
	s_mul_i32 s14, s14, s13
	v_mad_u64_u32 v[2:3], null, 0xcd9e8d57, v5, 0
	s_delay_alu instid0(VALU_DEP_3) | instskip(SKIP_3) | instid1(VALU_DEP_2)
	v_mad_u64_u32 v[7:8], null, 0xd2511f53, v9, 0
	s_mov_b32 s3, 0
	s_lshl_b32 s12, s10, 1
	s_lshl_b32 s14, s14, 2
	v_xor3_b32 v9, v35, v3, v6
	v_mad_u64_u32 v[5:6], null, s15, s13, v[0:1]
	s_delay_alu instid0(VALU_DEP_3) | instskip(SKIP_1) | instid1(VALU_DEP_3)
	v_xor3_b32 v10, v36, v8, v4
	s_add_i32 s15, s15, s18
	v_mad_u64_u32 v[3:4], null, 0xd2511f53, v9, 0
	s_delay_alu instid0(VALU_DEP_2) | instskip(NEXT) | instid1(VALU_DEP_4)
	v_mad_u64_u32 v[8:9], null, 0xcd9e8d57, v10, 0
	v_mul_lo_u32 v41, s16, v5
	s_delay_alu instid0(VALU_DEP_3) | instskip(NEXT) | instid1(VALU_DEP_3)
	v_xor3_b32 v4, v38, v4, v7
	v_xor3_b32 v2, v34, v9, v2
	s_delay_alu instid0(VALU_DEP_2) | instskip(NEXT) | instid1(VALU_DEP_2)
	v_mad_u64_u32 v[6:7], null, 0xcd9e8d57, v4, 0
	v_mad_u64_u32 v[9:10], null, 0xd2511f53, v2, 0
	s_delay_alu instid0(VALU_DEP_2) | instskip(NEXT) | instid1(VALU_DEP_2)
	v_xor3_b32 v4, v37, v7, v8
	v_xor3_b32 v10, v40, v10, v3
	v_mad_u64_u32 v[2:3], null, s15, s13, v[0:1]
	s_delay_alu instid0(VALU_DEP_3) | instskip(NEXT) | instid1(VALU_DEP_3)
	v_mad_u64_u32 v[7:8], null, 0xd2511f53, v4, 0
	v_mad_u64_u32 v[3:4], null, 0xcd9e8d57, v10, 0
	s_mul_i32 s13, s10, 3
	s_mov_b32 s15, 0
	s_delay_alu instid0(VALU_DEP_3) | instskip(NEXT) | instid1(VALU_DEP_3)
	v_mul_lo_u32 v43, s16, v2
	v_mov_b32_e32 v5, v7
	s_delay_alu instid0(VALU_DEP_3)
	v_xor3_b32 v2, v4, v6, v32
	v_xor3_b32 v4, v8, v9, v33
	s_branch .LBB42_9
.LBB42_7:                               ;   in Loop: Header=BB42_9 Depth=1
	s_or_b32 exec_lo, exec_lo, s17
	v_add_nc_u32_e32 v2, s15, v42
	s_delay_alu instid0(VALU_DEP_2) | instskip(NEXT) | instid1(VALU_DEP_2)
	v_add_nc_u32_e32 v0, s2, v0
	v_ashrrev_i32_e32 v3, 31, v2
	v_add_co_u32 v2, vcc_lo, s8, v2
	s_delay_alu instid0(VALU_DEP_2)
	v_add_co_ci_u32_e32 v3, vcc_lo, s9, v3, vcc_lo
	global_store_b16 v[2:3], v0, off
.LBB42_8:                               ;   in Loop: Header=BB42_9 Depth=1
	s_or_b32 exec_lo, exec_lo, s16
	v_add_co_u32 v15, vcc_lo, v15, s11
	v_add_co_ci_u32_e32 v16, vcc_lo, 0, v16, vcc_lo
	v_mov_b32_e32 v9, v17
	v_dual_mov_b32 v2, v6 :: v_dual_mov_b32 v3, v7
	s_delay_alu instid0(VALU_DEP_3) | instskip(NEXT) | instid1(VALU_DEP_3)
	v_cmp_le_i64_e32 vcc_lo, s[6:7], v[15:16]
	v_dual_mov_b32 v4, v8 :: v_dual_mov_b32 v5, v9
	s_add_i32 s15, s15, s14
	s_waitcnt_vscnt null, 0x0
	s_barrier
	s_or_b32 s3, vcc_lo, s3
	buffer_gl0_inv
	s_and_not1_b32 exec_lo, exec_lo, s3
	s_cbranch_execz .LBB42_34
.LBB42_9:                               ; =>This Inner Loop Header: Depth=1
	v_add_co_u32 v19, vcc_lo, v19, 1
	s_delay_alu instid0(VALU_DEP_1) | instskip(SKIP_1) | instid1(VALU_DEP_3)
	v_cndmask_b32_e64 v0, 0, 1, vcc_lo
	v_add_co_ci_u32_e32 v20, vcc_lo, 0, v20, vcc_lo
	v_mad_u64_u32 v[6:7], null, 0xd2511f53, v19, 0
	s_mov_b32 s16, exec_lo
	s_delay_alu instid0(VALU_DEP_2) | instskip(SKIP_1) | instid1(VALU_DEP_1)
	v_cmp_eq_u32_e32 vcc_lo, 0, v20
	v_cndmask_b32_e32 v0, 0, v0, vcc_lo
	v_add_nc_u32_e32 v39, v0, v39
	s_delay_alu instid0(VALU_DEP_1) | instskip(SKIP_2) | instid1(VALU_DEP_2)
	v_cmp_eq_u32_e32 vcc_lo, 0, v39
	v_cndmask_b32_e32 v0, 0, v0, vcc_lo
	v_mad_u64_u32 v[8:9], null, 0xcd9e8d57, v39, 0
	v_add_nc_u32_e32 v45, v0, v45
	v_xor_b32_e32 v0, v7, v14
	s_delay_alu instid0(VALU_DEP_3) | instskip(NEXT) | instid1(VALU_DEP_2)
	v_xor3_b32 v7, v9, v13, v20
	v_xor_b32_e32 v0, v45, v0
	s_delay_alu instid0(VALU_DEP_2) | instskip(NEXT) | instid1(VALU_DEP_2)
	v_mad_u64_u32 v[9:10], null, 0xd2511f53, v7, 0
	v_mad_u64_u32 v[11:12], null, 0xcd9e8d57, v0, 0
	s_delay_alu instid0(VALU_DEP_2) | instskip(NEXT) | instid1(VALU_DEP_2)
	v_xor3_b32 v0, v21, v10, v6
	v_xor3_b32 v8, v22, v12, v8
	s_delay_alu instid0(VALU_DEP_2) | instskip(NEXT) | instid1(VALU_DEP_2)
	v_mad_u64_u32 v[6:7], null, 0xcd9e8d57, v0, 0
	v_mad_u64_u32 v[17:18], null, 0xd2511f53, v8, 0
	s_delay_alu instid0(VALU_DEP_2) | instskip(NEXT) | instid1(VALU_DEP_2)
	v_xor3_b32 v0, v23, v7, v11
	v_xor3_b32 v11, v24, v18, v9
	s_delay_alu instid0(VALU_DEP_2) | instskip(NEXT) | instid1(VALU_DEP_2)
	v_mad_u64_u32 v[7:8], null, 0xd2511f53, v0, 0
	v_mad_u64_u32 v[9:10], null, 0xcd9e8d57, v11, 0
	s_delay_alu instid0(VALU_DEP_2) | instskip(NEXT) | instid1(VALU_DEP_2)
	v_xor3_b32 v0, v25, v8, v17
	v_xor3_b32 v6, v26, v10, v6
	s_delay_alu instid0(VALU_DEP_2) | instskip(NEXT) | instid1(VALU_DEP_2)
	v_mad_u64_u32 v[10:11], null, 0xcd9e8d57, v0, 0
	v_mad_u64_u32 v[17:18], null, 0xd2511f53, v6, 0
	s_delay_alu instid0(VALU_DEP_2) | instskip(NEXT) | instid1(VALU_DEP_2)
	v_xor3_b32 v0, v27, v11, v9
	v_xor3_b32 v11, v28, v18, v7
	s_delay_alu instid0(VALU_DEP_2) | instskip(NEXT) | instid1(VALU_DEP_2)
	v_mad_u64_u32 v[6:7], null, 0xd2511f53, v0, 0
	v_mad_u64_u32 v[8:9], null, 0xcd9e8d57, v11, 0
	s_delay_alu instid0(VALU_DEP_2) | instskip(NEXT) | instid1(VALU_DEP_2)
	v_xor3_b32 v0, v29, v7, v17
	v_xor3_b32 v7, v30, v9, v10
	s_delay_alu instid0(VALU_DEP_2) | instskip(NEXT) | instid1(VALU_DEP_2)
	v_mad_u64_u32 v[9:10], null, 0xcd9e8d57, v0, 0
	v_mad_u64_u32 v[11:12], null, 0xd2511f53, v7, 0
	s_delay_alu instid0(VALU_DEP_2) | instskip(NEXT) | instid1(VALU_DEP_2)
	v_xor3_b32 v0, v35, v10, v8
	v_xor3_b32 v8, v36, v12, v6
	s_delay_alu instid0(VALU_DEP_2) | instskip(NEXT) | instid1(VALU_DEP_2)
	v_mad_u64_u32 v[6:7], null, 0xd2511f53, v0, 0
	v_mad_u64_u32 v[17:18], null, 0xcd9e8d57, v8, 0
	s_delay_alu instid0(VALU_DEP_2) | instskip(NEXT) | instid1(VALU_DEP_2)
	v_xor3_b32 v0, v38, v7, v11
	v_xor3_b32 v7, v34, v18, v9
	s_delay_alu instid0(VALU_DEP_2) | instskip(NEXT) | instid1(VALU_DEP_2)
	v_mad_u64_u32 v[9:10], null, 0xcd9e8d57, v0, 0
	v_mad_u64_u32 v[11:12], null, 0xd2511f53, v7, 0
	s_delay_alu instid0(VALU_DEP_2) | instskip(NEXT) | instid1(VALU_DEP_2)
	v_xor3_b32 v0, v37, v10, v17
	v_xor3_b32 v6, v40, v12, v6
	s_delay_alu instid0(VALU_DEP_2) | instskip(NEXT) | instid1(VALU_DEP_2)
	v_mad_u64_u32 v[17:18], null, 0xd2511f53, v0, 0
	v_mad_u64_u32 v[7:8], null, 0xcd9e8d57, v6, 0
	s_delay_alu instid0(VALU_DEP_2) | instskip(NEXT) | instid1(VALU_DEP_2)
	v_xor3_b32 v12, v18, v11, v33
	v_xor3_b32 v6, v8, v9, v32
	s_delay_alu instid0(VALU_DEP_2)
	v_mov_b32_e32 v8, v12
	v_cmpx_lt_i32_e32 1, v31
	s_xor_b32 s16, exec_lo, s16
	s_cbranch_execnz .LBB42_12
; %bb.10:                               ;   in Loop: Header=BB42_9 Depth=1
	s_and_not1_saveexec_b32 s16, s16
	s_cbranch_execnz .LBB42_17
.LBB42_11:                              ;   in Loop: Header=BB42_9 Depth=1
	s_or_b32 exec_lo, exec_lo, s16
	s_delay_alu instid0(SALU_CYCLE_1)
	s_mov_b32 s16, exec_lo
	v_cmpx_gt_i64_e64 s[4:5], v[15:16]
	s_cbranch_execnz .LBB42_20
	s_branch .LBB42_23
.LBB42_12:                              ;   in Loop: Header=BB42_9 Depth=1
	s_mov_b32 s17, exec_lo
	v_cmpx_lt_i32_e32 2, v31
	s_xor_b32 s17, exec_lo, s17
; %bb.13:                               ;   in Loop: Header=BB42_9 Depth=1
	v_dual_mov_b32 v9, v5 :: v_dual_mov_b32 v10, v6
	v_mov_b32_e32 v11, v7
	s_delay_alu instid0(VALU_DEP_2) | instskip(NEXT) | instid1(VALU_DEP_2)
	v_dual_mov_b32 v2, v9 :: v_dual_mov_b32 v3, v10
	v_dual_mov_b32 v4, v11 :: v_dual_mov_b32 v5, v12
; %bb.14:                               ;   in Loop: Header=BB42_9 Depth=1
	s_and_not1_saveexec_b32 s17, s17
; %bb.15:                               ;   in Loop: Header=BB42_9 Depth=1
	s_delay_alu instid0(VALU_DEP_1)
	v_dual_mov_b32 v2, v4 :: v_dual_mov_b32 v3, v5
	v_dual_mov_b32 v4, v6 :: v_dual_mov_b32 v5, v7
; %bb.16:                               ;   in Loop: Header=BB42_9 Depth=1
	s_or_b32 exec_lo, exec_lo, s17
	s_and_not1_saveexec_b32 s16, s16
	s_cbranch_execz .LBB42_11
.LBB42_17:                              ;   in Loop: Header=BB42_9 Depth=1
	s_mov_b32 s17, exec_lo
	v_cmpx_eq_u32_e32 1, v31
; %bb.18:                               ;   in Loop: Header=BB42_9 Depth=1
	v_dual_mov_b32 v2, v3 :: v_dual_mov_b32 v3, v4
	v_dual_mov_b32 v4, v5 :: v_dual_mov_b32 v5, v6
; %bb.19:                               ;   in Loop: Header=BB42_9 Depth=1
	s_or_b32 exec_lo, exec_lo, s17
	s_delay_alu instid0(SALU_CYCLE_1) | instskip(NEXT) | instid1(SALU_CYCLE_1)
	s_or_b32 exec_lo, exec_lo, s16
	s_mov_b32 s16, exec_lo
	v_cmpx_gt_i64_e64 s[4:5], v[15:16]
	s_cbranch_execz .LBB42_23
.LBB42_20:                              ;   in Loop: Header=BB42_9 Depth=1
	v_mov_b32_e32 v0, v2
	s_mov_b32 s17, exec_lo
	s_delay_alu instid0(VALU_DEP_1)
	v_cmpx_le_u64_e64 s[0:1], v[0:1]
	s_cbranch_execz .LBB42_22
; %bb.21:                               ;   in Loop: Header=BB42_9 Depth=1
	v_cvt_f32_u32_e32 v2, s0
	s_sub_i32 s18, 0, s0
	s_delay_alu instid0(VALU_DEP_1) | instskip(SKIP_2) | instid1(VALU_DEP_1)
	v_rcp_iflag_f32_e32 v2, v2
	s_waitcnt_depctr 0xfff
	v_mul_f32_e32 v2, 0x4f7ffffe, v2
	v_cvt_u32_f32_e32 v2, v2
	s_delay_alu instid0(VALU_DEP_1) | instskip(NEXT) | instid1(VALU_DEP_1)
	v_mul_lo_u32 v9, s18, v2
	v_mul_hi_u32 v9, v2, v9
	s_delay_alu instid0(VALU_DEP_1) | instskip(NEXT) | instid1(VALU_DEP_1)
	v_add_nc_u32_e32 v2, v2, v9
	v_mul_hi_u32 v2, v0, v2
	s_delay_alu instid0(VALU_DEP_1) | instskip(NEXT) | instid1(VALU_DEP_1)
	v_mul_lo_u32 v2, v2, s0
	v_sub_nc_u32_e32 v0, v0, v2
	s_delay_alu instid0(VALU_DEP_1) | instskip(SKIP_1) | instid1(VALU_DEP_2)
	v_subrev_nc_u32_e32 v2, s0, v0
	v_cmp_le_u32_e32 vcc_lo, s0, v0
	v_cndmask_b32_e32 v0, v0, v2, vcc_lo
	s_delay_alu instid0(VALU_DEP_1) | instskip(SKIP_1) | instid1(VALU_DEP_2)
	v_subrev_nc_u32_e32 v2, s0, v0
	v_cmp_le_u32_e32 vcc_lo, s0, v0
	v_cndmask_b32_e32 v0, v0, v2, vcc_lo
.LBB42_22:                              ;   in Loop: Header=BB42_9 Depth=1
	s_or_b32 exec_lo, exec_lo, s17
	v_add_nc_u32_e32 v2, s15, v41
	s_delay_alu instid0(VALU_DEP_2) | instskip(NEXT) | instid1(VALU_DEP_2)
	v_add_nc_u32_e32 v0, s2, v0
	v_ashrrev_i32_e32 v10, 31, v2
	v_add_co_u32 v9, vcc_lo, s8, v2
	s_delay_alu instid0(VALU_DEP_2)
	v_add_co_ci_u32_e32 v10, vcc_lo, s9, v10, vcc_lo
	global_store_b16 v[9:10], v0, off
.LBB42_23:                              ;   in Loop: Header=BB42_9 Depth=1
	s_or_b32 exec_lo, exec_lo, s16
	v_add_co_u32 v9, vcc_lo, s10, v15
	v_add_co_ci_u32_e32 v10, vcc_lo, 0, v16, vcc_lo
	s_mov_b32 s16, exec_lo
	s_delay_alu instid0(VALU_DEP_1)
	v_cmpx_gt_i64_e64 s[4:5], v[9:10]
	s_cbranch_execz .LBB42_27
; %bb.24:                               ;   in Loop: Header=BB42_9 Depth=1
	v_mov_b32_e32 v0, v3
	s_mov_b32 s17, exec_lo
	s_delay_alu instid0(VALU_DEP_1)
	v_cmpx_le_u64_e64 s[0:1], v[0:1]
	s_cbranch_execz .LBB42_26
; %bb.25:                               ;   in Loop: Header=BB42_9 Depth=1
	v_cvt_f32_u32_e32 v2, s0
	s_sub_i32 s18, 0, s0
	s_delay_alu instid0(VALU_DEP_1) | instskip(SKIP_2) | instid1(VALU_DEP_1)
	v_rcp_iflag_f32_e32 v2, v2
	s_waitcnt_depctr 0xfff
	v_mul_f32_e32 v2, 0x4f7ffffe, v2
	v_cvt_u32_f32_e32 v2, v2
	s_delay_alu instid0(VALU_DEP_1) | instskip(NEXT) | instid1(VALU_DEP_1)
	v_mul_lo_u32 v3, s18, v2
	v_mul_hi_u32 v3, v2, v3
	s_delay_alu instid0(VALU_DEP_1) | instskip(NEXT) | instid1(VALU_DEP_1)
	v_add_nc_u32_e32 v2, v2, v3
	v_mul_hi_u32 v2, v0, v2
	s_delay_alu instid0(VALU_DEP_1) | instskip(NEXT) | instid1(VALU_DEP_1)
	v_mul_lo_u32 v2, v2, s0
	v_sub_nc_u32_e32 v0, v0, v2
	s_delay_alu instid0(VALU_DEP_1) | instskip(SKIP_1) | instid1(VALU_DEP_2)
	v_subrev_nc_u32_e32 v2, s0, v0
	v_cmp_le_u32_e32 vcc_lo, s0, v0
	v_cndmask_b32_e32 v0, v0, v2, vcc_lo
	s_delay_alu instid0(VALU_DEP_1) | instskip(SKIP_1) | instid1(VALU_DEP_2)
	v_subrev_nc_u32_e32 v2, s0, v0
	v_cmp_le_u32_e32 vcc_lo, s0, v0
	v_cndmask_b32_e32 v0, v0, v2, vcc_lo
.LBB42_26:                              ;   in Loop: Header=BB42_9 Depth=1
	s_or_b32 exec_lo, exec_lo, s17
	v_add_nc_u32_e32 v2, s15, v44
	s_delay_alu instid0(VALU_DEP_2) | instskip(NEXT) | instid1(VALU_DEP_2)
	v_add_nc_u32_e32 v0, s2, v0
	v_ashrrev_i32_e32 v3, 31, v2
	v_add_co_u32 v2, vcc_lo, s8, v2
	s_delay_alu instid0(VALU_DEP_2)
	v_add_co_ci_u32_e32 v3, vcc_lo, s9, v3, vcc_lo
	global_store_b16 v[2:3], v0, off
.LBB42_27:                              ;   in Loop: Header=BB42_9 Depth=1
	s_or_b32 exec_lo, exec_lo, s16
	v_add_co_u32 v2, vcc_lo, s12, v15
	v_add_co_ci_u32_e32 v3, vcc_lo, 0, v16, vcc_lo
	s_mov_b32 s16, exec_lo
	s_delay_alu instid0(VALU_DEP_1)
	v_cmpx_gt_i64_e64 s[4:5], v[2:3]
	s_cbranch_execz .LBB42_31
; %bb.28:                               ;   in Loop: Header=BB42_9 Depth=1
	v_mov_b32_e32 v0, v4
	s_mov_b32 s17, exec_lo
	s_delay_alu instid0(VALU_DEP_1)
	v_cmpx_le_u64_e64 s[0:1], v[0:1]
	s_cbranch_execz .LBB42_30
; %bb.29:                               ;   in Loop: Header=BB42_9 Depth=1
	v_cvt_f32_u32_e32 v2, s0
	s_sub_i32 s18, 0, s0
	s_delay_alu instid0(VALU_DEP_1) | instskip(SKIP_2) | instid1(VALU_DEP_1)
	v_rcp_iflag_f32_e32 v2, v2
	s_waitcnt_depctr 0xfff
	v_mul_f32_e32 v2, 0x4f7ffffe, v2
	v_cvt_u32_f32_e32 v2, v2
	s_delay_alu instid0(VALU_DEP_1) | instskip(NEXT) | instid1(VALU_DEP_1)
	v_mul_lo_u32 v3, s18, v2
	v_mul_hi_u32 v3, v2, v3
	s_delay_alu instid0(VALU_DEP_1) | instskip(NEXT) | instid1(VALU_DEP_1)
	v_add_nc_u32_e32 v2, v2, v3
	v_mul_hi_u32 v2, v0, v2
	s_delay_alu instid0(VALU_DEP_1) | instskip(NEXT) | instid1(VALU_DEP_1)
	v_mul_lo_u32 v2, v2, s0
	v_sub_nc_u32_e32 v0, v0, v2
	s_delay_alu instid0(VALU_DEP_1) | instskip(SKIP_1) | instid1(VALU_DEP_2)
	v_subrev_nc_u32_e32 v2, s0, v0
	v_cmp_le_u32_e32 vcc_lo, s0, v0
	v_cndmask_b32_e32 v0, v0, v2, vcc_lo
	s_delay_alu instid0(VALU_DEP_1) | instskip(SKIP_1) | instid1(VALU_DEP_2)
	v_subrev_nc_u32_e32 v2, s0, v0
	v_cmp_le_u32_e32 vcc_lo, s0, v0
	v_cndmask_b32_e32 v0, v0, v2, vcc_lo
.LBB42_30:                              ;   in Loop: Header=BB42_9 Depth=1
	s_or_b32 exec_lo, exec_lo, s17
	v_add_nc_u32_e32 v2, s15, v43
	s_delay_alu instid0(VALU_DEP_2) | instskip(NEXT) | instid1(VALU_DEP_2)
	v_add_nc_u32_e32 v0, s2, v0
	v_ashrrev_i32_e32 v3, 31, v2
	v_add_co_u32 v2, vcc_lo, s8, v2
	s_delay_alu instid0(VALU_DEP_2)
	v_add_co_ci_u32_e32 v3, vcc_lo, s9, v3, vcc_lo
	global_store_b16 v[2:3], v0, off
.LBB42_31:                              ;   in Loop: Header=BB42_9 Depth=1
	s_or_b32 exec_lo, exec_lo, s16
	v_add_co_u32 v2, vcc_lo, s13, v15
	v_add_co_ci_u32_e32 v3, vcc_lo, 0, v16, vcc_lo
	s_mov_b32 s16, exec_lo
	s_delay_alu instid0(VALU_DEP_1)
	v_cmpx_gt_i64_e64 s[4:5], v[2:3]
	s_cbranch_execz .LBB42_8
; %bb.32:                               ;   in Loop: Header=BB42_9 Depth=1
	v_mov_b32_e32 v0, v5
	s_mov_b32 s17, exec_lo
	s_delay_alu instid0(VALU_DEP_1)
	v_cmpx_le_u64_e64 s[0:1], v[0:1]
	s_cbranch_execz .LBB42_7
; %bb.33:                               ;   in Loop: Header=BB42_9 Depth=1
	v_cvt_f32_u32_e32 v2, s0
	s_sub_i32 s18, 0, s0
	s_delay_alu instid0(VALU_DEP_1) | instskip(SKIP_2) | instid1(VALU_DEP_1)
	v_rcp_iflag_f32_e32 v2, v2
	s_waitcnt_depctr 0xfff
	v_mul_f32_e32 v2, 0x4f7ffffe, v2
	v_cvt_u32_f32_e32 v2, v2
	s_delay_alu instid0(VALU_DEP_1) | instskip(NEXT) | instid1(VALU_DEP_1)
	v_mul_lo_u32 v3, s18, v2
	v_mul_hi_u32 v3, v2, v3
	s_delay_alu instid0(VALU_DEP_1) | instskip(NEXT) | instid1(VALU_DEP_1)
	v_add_nc_u32_e32 v2, v2, v3
	v_mul_hi_u32 v2, v0, v2
	s_delay_alu instid0(VALU_DEP_1) | instskip(NEXT) | instid1(VALU_DEP_1)
	v_mul_lo_u32 v2, v2, s0
	v_sub_nc_u32_e32 v0, v0, v2
	s_delay_alu instid0(VALU_DEP_1) | instskip(SKIP_1) | instid1(VALU_DEP_2)
	v_subrev_nc_u32_e32 v2, s0, v0
	v_cmp_le_u32_e32 vcc_lo, s0, v0
	v_cndmask_b32_e32 v0, v0, v2, vcc_lo
	s_delay_alu instid0(VALU_DEP_1) | instskip(SKIP_1) | instid1(VALU_DEP_2)
	v_subrev_nc_u32_e32 v2, s0, v0
	v_cmp_le_u32_e32 vcc_lo, s0, v0
	v_cndmask_b32_e32 v0, v0, v2, vcc_lo
	s_branch .LBB42_7
.LBB42_34:
	s_endpgm
.LBB42_35:
                                        ; implicit-def: $sgpr2_sgpr3
	s_branch .LBB42_4
	.section	.rodata,"a",@progbits
	.p2align	6, 0x0
	.amdhsa_kernel _ZN2at6native12_GLOBAL__N_143distribution_elementwise_grid_stride_kernelIjLi4EZZZNS0_9templates4cuda21random_from_to_kernelIPNS_17CUDAGeneratorImplEEEvRNS_18TensorIteratorBaseEmlT_ENKUlvE_clEvENKUlvE9_clEvEUlP25hiprandStatePhilox4_32_10E0_ZNS1_27distribution_nullary_kernelItj15HIP_vector_typeIjLj4EES7_SF_ZZZNS5_IS7_EEvS9_mlSA_ENKSB_clEvENKSC_clEvEUljE_EEvS9_T2_RKT3_T4_EUlijE_EEvlNS_15PhiloxCudaStateET1_SK_
		.amdhsa_group_segment_fixed_size 0
		.amdhsa_private_segment_fixed_size 0
		.amdhsa_kernarg_size 336
		.amdhsa_user_sgpr_count 15
		.amdhsa_user_sgpr_dispatch_ptr 0
		.amdhsa_user_sgpr_queue_ptr 0
		.amdhsa_user_sgpr_kernarg_segment_ptr 1
		.amdhsa_user_sgpr_dispatch_id 0
		.amdhsa_user_sgpr_private_segment_size 0
		.amdhsa_wavefront_size32 1
		.amdhsa_uses_dynamic_stack 0
		.amdhsa_enable_private_segment 0
		.amdhsa_system_sgpr_workgroup_id_x 1
		.amdhsa_system_sgpr_workgroup_id_y 0
		.amdhsa_system_sgpr_workgroup_id_z 0
		.amdhsa_system_sgpr_workgroup_info 0
		.amdhsa_system_vgpr_workitem_id 0
		.amdhsa_next_free_vgpr 46
		.amdhsa_next_free_sgpr 23
		.amdhsa_reserve_vcc 1
		.amdhsa_float_round_mode_32 0
		.amdhsa_float_round_mode_16_64 0
		.amdhsa_float_denorm_mode_32 3
		.amdhsa_float_denorm_mode_16_64 3
		.amdhsa_dx10_clamp 1
		.amdhsa_ieee_mode 1
		.amdhsa_fp16_overflow 0
		.amdhsa_workgroup_processor_mode 1
		.amdhsa_memory_ordered 1
		.amdhsa_forward_progress 0
		.amdhsa_shared_vgpr_count 0
		.amdhsa_exception_fp_ieee_invalid_op 0
		.amdhsa_exception_fp_denorm_src 0
		.amdhsa_exception_fp_ieee_div_zero 0
		.amdhsa_exception_fp_ieee_overflow 0
		.amdhsa_exception_fp_ieee_underflow 0
		.amdhsa_exception_fp_ieee_inexact 0
		.amdhsa_exception_int_div_zero 0
	.end_amdhsa_kernel
	.section	.text._ZN2at6native12_GLOBAL__N_143distribution_elementwise_grid_stride_kernelIjLi4EZZZNS0_9templates4cuda21random_from_to_kernelIPNS_17CUDAGeneratorImplEEEvRNS_18TensorIteratorBaseEmlT_ENKUlvE_clEvENKUlvE9_clEvEUlP25hiprandStatePhilox4_32_10E0_ZNS1_27distribution_nullary_kernelItj15HIP_vector_typeIjLj4EES7_SF_ZZZNS5_IS7_EEvS9_mlSA_ENKSB_clEvENKSC_clEvEUljE_EEvS9_T2_RKT3_T4_EUlijE_EEvlNS_15PhiloxCudaStateET1_SK_,"axG",@progbits,_ZN2at6native12_GLOBAL__N_143distribution_elementwise_grid_stride_kernelIjLi4EZZZNS0_9templates4cuda21random_from_to_kernelIPNS_17CUDAGeneratorImplEEEvRNS_18TensorIteratorBaseEmlT_ENKUlvE_clEvENKUlvE9_clEvEUlP25hiprandStatePhilox4_32_10E0_ZNS1_27distribution_nullary_kernelItj15HIP_vector_typeIjLj4EES7_SF_ZZZNS5_IS7_EEvS9_mlSA_ENKSB_clEvENKSC_clEvEUljE_EEvS9_T2_RKT3_T4_EUlijE_EEvlNS_15PhiloxCudaStateET1_SK_,comdat
.Lfunc_end42:
	.size	_ZN2at6native12_GLOBAL__N_143distribution_elementwise_grid_stride_kernelIjLi4EZZZNS0_9templates4cuda21random_from_to_kernelIPNS_17CUDAGeneratorImplEEEvRNS_18TensorIteratorBaseEmlT_ENKUlvE_clEvENKUlvE9_clEvEUlP25hiprandStatePhilox4_32_10E0_ZNS1_27distribution_nullary_kernelItj15HIP_vector_typeIjLj4EES7_SF_ZZZNS5_IS7_EEvS9_mlSA_ENKSB_clEvENKSC_clEvEUljE_EEvS9_T2_RKT3_T4_EUlijE_EEvlNS_15PhiloxCudaStateET1_SK_, .Lfunc_end42-_ZN2at6native12_GLOBAL__N_143distribution_elementwise_grid_stride_kernelIjLi4EZZZNS0_9templates4cuda21random_from_to_kernelIPNS_17CUDAGeneratorImplEEEvRNS_18TensorIteratorBaseEmlT_ENKUlvE_clEvENKUlvE9_clEvEUlP25hiprandStatePhilox4_32_10E0_ZNS1_27distribution_nullary_kernelItj15HIP_vector_typeIjLj4EES7_SF_ZZZNS5_IS7_EEvS9_mlSA_ENKSB_clEvENKSC_clEvEUljE_EEvS9_T2_RKT3_T4_EUlijE_EEvlNS_15PhiloxCudaStateET1_SK_
                                        ; -- End function
	.section	.AMDGPU.csdata,"",@progbits
; Kernel info:
; codeLenInByte = 3424
; NumSgprs: 25
; NumVgprs: 46
; ScratchSize: 0
; MemoryBound: 0
; FloatMode: 240
; IeeeMode: 1
; LDSByteSize: 0 bytes/workgroup (compile time only)
; SGPRBlocks: 3
; VGPRBlocks: 5
; NumSGPRsForWavesPerEU: 25
; NumVGPRsForWavesPerEU: 46
; Occupancy: 16
; WaveLimiterHint : 0
; COMPUTE_PGM_RSRC2:SCRATCH_EN: 0
; COMPUTE_PGM_RSRC2:USER_SGPR: 15
; COMPUTE_PGM_RSRC2:TRAP_HANDLER: 0
; COMPUTE_PGM_RSRC2:TGID_X_EN: 1
; COMPUTE_PGM_RSRC2:TGID_Y_EN: 0
; COMPUTE_PGM_RSRC2:TGID_Z_EN: 0
; COMPUTE_PGM_RSRC2:TIDIG_COMP_CNT: 0
	.section	.text._ZN2at6native12_GLOBAL__N_143distribution_elementwise_grid_stride_kernelIjLi4EZZZNS0_9templates4cuda21random_from_to_kernelIPNS_17CUDAGeneratorImplEEEvRNS_18TensorIteratorBaseEmlT_ENKUlvE_clEvENKUlvE9_clEvEUlP25hiprandStatePhilox4_32_10E0_ZNS1_27distribution_nullary_kernelItj15HIP_vector_typeIjLj4EES7_SF_ZZZNS5_IS7_EEvS9_mlSA_ENKSB_clEvENKSC_clEvEUljE_EEvS9_T2_RKT3_T4_EUlijE0_EEvlNS_15PhiloxCudaStateET1_SK_,"axG",@progbits,_ZN2at6native12_GLOBAL__N_143distribution_elementwise_grid_stride_kernelIjLi4EZZZNS0_9templates4cuda21random_from_to_kernelIPNS_17CUDAGeneratorImplEEEvRNS_18TensorIteratorBaseEmlT_ENKUlvE_clEvENKUlvE9_clEvEUlP25hiprandStatePhilox4_32_10E0_ZNS1_27distribution_nullary_kernelItj15HIP_vector_typeIjLj4EES7_SF_ZZZNS5_IS7_EEvS9_mlSA_ENKSB_clEvENKSC_clEvEUljE_EEvS9_T2_RKT3_T4_EUlijE0_EEvlNS_15PhiloxCudaStateET1_SK_,comdat
	.globl	_ZN2at6native12_GLOBAL__N_143distribution_elementwise_grid_stride_kernelIjLi4EZZZNS0_9templates4cuda21random_from_to_kernelIPNS_17CUDAGeneratorImplEEEvRNS_18TensorIteratorBaseEmlT_ENKUlvE_clEvENKUlvE9_clEvEUlP25hiprandStatePhilox4_32_10E0_ZNS1_27distribution_nullary_kernelItj15HIP_vector_typeIjLj4EES7_SF_ZZZNS5_IS7_EEvS9_mlSA_ENKSB_clEvENKSC_clEvEUljE_EEvS9_T2_RKT3_T4_EUlijE0_EEvlNS_15PhiloxCudaStateET1_SK_ ; -- Begin function _ZN2at6native12_GLOBAL__N_143distribution_elementwise_grid_stride_kernelIjLi4EZZZNS0_9templates4cuda21random_from_to_kernelIPNS_17CUDAGeneratorImplEEEvRNS_18TensorIteratorBaseEmlT_ENKUlvE_clEvENKUlvE9_clEvEUlP25hiprandStatePhilox4_32_10E0_ZNS1_27distribution_nullary_kernelItj15HIP_vector_typeIjLj4EES7_SF_ZZZNS5_IS7_EEvS9_mlSA_ENKSB_clEvENKSC_clEvEUljE_EEvS9_T2_RKT3_T4_EUlijE0_EEvlNS_15PhiloxCudaStateET1_SK_
	.p2align	8
	.type	_ZN2at6native12_GLOBAL__N_143distribution_elementwise_grid_stride_kernelIjLi4EZZZNS0_9templates4cuda21random_from_to_kernelIPNS_17CUDAGeneratorImplEEEvRNS_18TensorIteratorBaseEmlT_ENKUlvE_clEvENKUlvE9_clEvEUlP25hiprandStatePhilox4_32_10E0_ZNS1_27distribution_nullary_kernelItj15HIP_vector_typeIjLj4EES7_SF_ZZZNS5_IS7_EEvS9_mlSA_ENKSB_clEvENKSC_clEvEUljE_EEvS9_T2_RKT3_T4_EUlijE0_EEvlNS_15PhiloxCudaStateET1_SK_,@function
_ZN2at6native12_GLOBAL__N_143distribution_elementwise_grid_stride_kernelIjLi4EZZZNS0_9templates4cuda21random_from_to_kernelIPNS_17CUDAGeneratorImplEEEvRNS_18TensorIteratorBaseEmlT_ENKUlvE_clEvENKUlvE9_clEvEUlP25hiprandStatePhilox4_32_10E0_ZNS1_27distribution_nullary_kernelItj15HIP_vector_typeIjLj4EES7_SF_ZZZNS5_IS7_EEvS9_mlSA_ENKSB_clEvENKSC_clEvEUljE_EEvS9_T2_RKT3_T4_EUlijE0_EEvlNS_15PhiloxCudaStateET1_SK_: ; @_ZN2at6native12_GLOBAL__N_143distribution_elementwise_grid_stride_kernelIjLi4EZZZNS0_9templates4cuda21random_from_to_kernelIPNS_17CUDAGeneratorImplEEEvRNS_18TensorIteratorBaseEmlT_ENKUlvE_clEvENKUlvE9_clEvEUlP25hiprandStatePhilox4_32_10E0_ZNS1_27distribution_nullary_kernelItj15HIP_vector_typeIjLj4EES7_SF_ZZZNS5_IS7_EEvS9_mlSA_ENKSB_clEvENKSC_clEvEUljE_EEvS9_T2_RKT3_T4_EUlijE0_EEvlNS_15PhiloxCudaStateET1_SK_
; %bb.0:
	s_clause 0x2
	s_load_b64 s[4:5], s[0:1], 0x10
	s_load_b128 s[16:19], s[0:1], 0x0
	s_load_b32 s2, s[0:1], 0x20
	s_waitcnt lgkmcnt(0)
	v_dual_mov_b32 v2, s4 :: v_dual_mov_b32 v3, s5
	v_dual_mov_b32 v13, s18 :: v_dual_mov_b32 v14, s19
	s_bitcmp0_b32 s2, 0
	s_mov_b32 s2, 0
	s_cbranch_scc1 .LBB43_2
; %bb.1:
	v_dual_mov_b32 v1, s4 :: v_dual_mov_b32 v2, s5
	v_dual_mov_b32 v4, s18 :: v_dual_mov_b32 v5, s19
	s_load_b64 s[4:5], s[0:1], 0x18
	flat_load_b64 v[2:3], v[1:2]
	flat_load_b64 v[13:14], v[4:5]
	s_waitcnt vmcnt(1) lgkmcnt(0)
	v_add_co_u32 v2, vcc_lo, v2, s4
	v_add_co_ci_u32_e32 v3, vcc_lo, s5, v3, vcc_lo
.LBB43_2:
	s_clause 0x1
	s_load_b32 s3, s[0:1], 0x15c
	s_load_b32 s4, s[0:1], 0x150
	s_waitcnt lgkmcnt(0)
	s_and_b32 s5, s3, 0xffff
	s_add_u32 s6, s16, -1
	s_mul_i32 s28, s4, s5
	s_addc_u32 s3, s17, -1
	s_lshl_b32 s29, s28, 2
	s_cmp_lg_u64 s[2:3], 0
	s_cbranch_scc0 .LBB43_87
; %bb.3:
	v_cvt_f32_ubyte0_e32 v1, 0
	v_cvt_f32_u32_e32 v4, s29
	s_sub_u32 s8, 0, s29
	s_subb_u32 s9, 0, 0
	s_delay_alu instid0(VALU_DEP_1) | instskip(NEXT) | instid1(VALU_DEP_1)
	v_fmamk_f32 v1, v1, 0x4f800000, v4
	v_rcp_f32_e32 v1, v1
	s_waitcnt_depctr 0xfff
	v_mul_f32_e32 v1, 0x5f7ffffc, v1
	s_delay_alu instid0(VALU_DEP_1) | instskip(NEXT) | instid1(VALU_DEP_1)
	v_mul_f32_e32 v4, 0x2f800000, v1
	v_trunc_f32_e32 v4, v4
	s_delay_alu instid0(VALU_DEP_1) | instskip(SKIP_1) | instid1(VALU_DEP_2)
	v_fmamk_f32 v1, v4, 0xcf800000, v1
	v_cvt_u32_f32_e32 v4, v4
	v_cvt_u32_f32_e32 v1, v1
	s_delay_alu instid0(VALU_DEP_2) | instskip(NEXT) | instid1(VALU_DEP_2)
	v_readfirstlane_b32 s2, v4
	v_readfirstlane_b32 s7, v1
	s_delay_alu instid0(VALU_DEP_2) | instskip(NEXT) | instid1(VALU_DEP_1)
	s_mul_i32 s10, s8, s2
	s_mul_hi_u32 s12, s8, s7
	s_mul_i32 s11, s9, s7
	s_add_i32 s10, s12, s10
	s_mul_i32 s13, s8, s7
	s_add_i32 s10, s10, s11
	s_mul_hi_u32 s12, s7, s13
	s_mul_hi_u32 s14, s2, s13
	s_mul_i32 s11, s2, s13
	s_mul_hi_u32 s13, s7, s10
	s_mul_i32 s7, s7, s10
	s_mul_hi_u32 s18, s2, s10
	s_add_u32 s7, s12, s7
	s_addc_u32 s12, 0, s13
	s_add_u32 s7, s7, s11
	s_mul_i32 s10, s2, s10
	s_addc_u32 s7, s12, s14
	s_addc_u32 s11, s18, 0
	s_add_u32 s7, s7, s10
	s_addc_u32 s10, 0, s11
	v_add_co_u32 v1, s7, v1, s7
	s_delay_alu instid0(VALU_DEP_1) | instskip(SKIP_1) | instid1(VALU_DEP_1)
	s_cmp_lg_u32 s7, 0
	s_addc_u32 s2, s2, s10
	v_readfirstlane_b32 s7, v1
	s_mul_i32 s10, s8, s2
	s_delay_alu instid0(VALU_DEP_1)
	s_mul_hi_u32 s11, s8, s7
	s_mul_i32 s9, s9, s7
	s_add_i32 s10, s11, s10
	s_mul_i32 s8, s8, s7
	s_add_i32 s10, s10, s9
	s_mul_hi_u32 s11, s2, s8
	s_mul_i32 s12, s2, s8
	s_mul_hi_u32 s8, s7, s8
	s_mul_hi_u32 s13, s7, s10
	s_mul_i32 s7, s7, s10
	s_mul_hi_u32 s9, s2, s10
	s_add_u32 s7, s8, s7
	s_addc_u32 s8, 0, s13
	s_add_u32 s7, s7, s12
	s_mul_i32 s10, s2, s10
	s_addc_u32 s7, s8, s11
	s_addc_u32 s8, s9, 0
	s_add_u32 s7, s7, s10
	s_addc_u32 s8, 0, s8
	v_add_co_u32 v1, s7, v1, s7
	s_delay_alu instid0(VALU_DEP_1) | instskip(SKIP_2) | instid1(VALU_DEP_1)
	s_cmp_lg_u32 s7, 0
	s_addc_u32 s7, s2, s8
	s_ashr_i32 s8, s3, 31
	v_readfirstlane_b32 s10, v1
	s_add_u32 s2, s6, s8
	s_mov_b32 s9, s8
	s_addc_u32 s3, s3, s8
	s_delay_alu instid0(SALU_CYCLE_1) | instskip(NEXT) | instid1(SALU_CYCLE_1)
	s_xor_b64 s[2:3], s[2:3], s[8:9]
	s_mul_i32 s12, s2, s7
	s_mul_hi_u32 s13, s2, s10
	s_mul_hi_u32 s11, s2, s7
	s_mul_hi_u32 s18, s3, s10
	s_mul_i32 s10, s3, s10
	s_add_u32 s12, s13, s12
	s_addc_u32 s11, 0, s11
	s_mul_hi_u32 s14, s3, s7
	s_add_u32 s10, s12, s10
	s_mul_i32 s7, s3, s7
	s_addc_u32 s10, s11, s18
	s_addc_u32 s11, s14, 0
	s_add_u32 s7, s10, s7
	s_addc_u32 s10, 0, s11
	s_mul_i32 s12, s29, s7
	s_add_u32 s11, s7, 1
	v_sub_co_u32 v1, s2, s2, s12
	s_mul_hi_u32 s12, s29, s7
	s_addc_u32 s13, s10, 0
	s_mul_i32 s14, s29, s10
	s_delay_alu instid0(VALU_DEP_1)
	v_sub_co_u32 v4, s18, v1, s29
	s_add_u32 s19, s7, 2
	s_addc_u32 s20, s10, 0
	s_add_i32 s12, s12, s14
	s_cmp_lg_u32 s2, 0
	v_readfirstlane_b32 s2, v4
	s_subb_u32 s3, s3, s12
	s_cmp_lg_u32 s18, 0
	s_subb_u32 s12, s3, 0
	s_delay_alu instid0(VALU_DEP_1) | instskip(SKIP_4) | instid1(SALU_CYCLE_1)
	s_cmp_ge_u32 s2, s29
	s_cselect_b32 s2, -1, 0
	s_cmp_eq_u32 s12, 0
	v_readfirstlane_b32 s12, v1
	s_cselect_b32 s2, s2, -1
	s_cmp_lg_u32 s2, 0
	s_cselect_b32 s2, s19, s11
	s_cselect_b32 s11, s20, s13
	s_cmp_ge_u32 s12, s29
	s_cselect_b32 s12, -1, 0
	s_cmp_eq_u32 s3, 0
	s_cselect_b32 s3, s12, -1
	s_delay_alu instid0(SALU_CYCLE_1) | instskip(SKIP_2) | instid1(SALU_CYCLE_1)
	s_cmp_lg_u32 s3, 0
	s_cselect_b32 s3, s11, s10
	s_cselect_b32 s2, s2, s7
	s_xor_b64 s[2:3], s[2:3], s[8:9]
	s_delay_alu instid0(SALU_CYCLE_1)
	s_sub_u32 s2, s2, s8
	s_subb_u32 s3, s3, s8
	s_cbranch_execnz .LBB43_5
.LBB43_4:
	v_cvt_f32_u32_e32 v1, s29
	s_sub_i32 s3, 0, s29
	s_delay_alu instid0(VALU_DEP_1) | instskip(SKIP_2) | instid1(VALU_DEP_1)
	v_rcp_iflag_f32_e32 v1, v1
	s_waitcnt_depctr 0xfff
	v_mul_f32_e32 v1, 0x4f7ffffe, v1
	v_cvt_u32_f32_e32 v1, v1
	s_delay_alu instid0(VALU_DEP_1) | instskip(NEXT) | instid1(VALU_DEP_1)
	v_readfirstlane_b32 s2, v1
	s_mul_i32 s3, s3, s2
	s_delay_alu instid0(SALU_CYCLE_1) | instskip(NEXT) | instid1(SALU_CYCLE_1)
	s_mul_hi_u32 s3, s2, s3
	s_add_i32 s2, s2, s3
	s_delay_alu instid0(SALU_CYCLE_1) | instskip(NEXT) | instid1(SALU_CYCLE_1)
	s_mul_hi_u32 s2, s6, s2
	s_mul_i32 s3, s2, s29
	s_delay_alu instid0(SALU_CYCLE_1)
	s_sub_i32 s3, s6, s3
	s_add_i32 s6, s2, 1
	s_sub_i32 s7, s3, s29
	s_cmp_ge_u32 s3, s29
	s_cselect_b32 s2, s6, s2
	s_cselect_b32 s3, s7, s3
	s_add_i32 s6, s2, 1
	s_cmp_ge_u32 s3, s29
	s_mov_b32 s3, 0
	s_cselect_b32 s2, s6, s2
.LBB43_5:
	v_mov_b32_e32 v1, 0
	s_add_u32 s2, s2, 1
	s_addc_u32 s3, s3, 0
	s_mul_hi_u32 s6, s28, s2
	s_mul_i32 s3, s28, s3
	v_mad_u64_u32 v[15:16], null, s5, s15, v[0:1]
	s_mul_hi_u32 s4, s4, s5
	s_add_i32 s3, s6, s3
	s_mul_i32 s4, s4, s2
	s_mul_i32 s2, s28, s2
	s_add_i32 s3, s3, s4
	s_mov_b32 s4, exec_lo
	s_lshl_b64 s[2:3], s[2:3], 2
	s_delay_alu instid0(SALU_CYCLE_1)
	v_cmpx_gt_i64_e64 s[2:3], v[15:16]
	s_cbranch_execz .LBB43_86
; %bb.6:
	v_alignbit_b32 v19, v3, v2, 2
	v_mad_u64_u32 v[6:7], null, 0xcd9e8d57, v15, 0
	v_lshrrev_b32_e32 v20, 2, v3
	s_waitcnt vmcnt(0)
	v_dual_mov_b32 v11, v14 :: v_dual_add_nc_u32 v28, 0x8ff34781, v13
	v_mad_u64_u32 v[4:5], null, 0xd2511f53, v19, 0
	v_add_co_u32 v22, null, 0x9e3779b9, v13
	v_xor3_b32 v3, v13, v7, v20
	s_delay_alu instid0(VALU_DEP_4) | instskip(SKIP_2) | instid1(VALU_DEP_4)
	v_add_co_u32 v21, null, 0xbb67ae85, v11
	v_add_co_u32 v23, null, 0x3c6ef372, v13
	v_xor_b32_e32 v0, v5, v14
	v_mad_u64_u32 v[7:8], null, 0xd2511f53, v3, 0
	v_add_co_u32 v24, null, 0x76cf5d0a, v11
	s_delay_alu instid0(VALU_DEP_3) | instskip(SKIP_2) | instid1(VALU_DEP_3)
	v_xor_b32_e32 v0, v0, v16
	v_add_co_u32 v25, null, 0x32370b8f, v11
	v_add_co_u32 v26, null, 0xdaa66d2b, v13
	v_mad_u64_u32 v[9:10], null, 0xcd9e8d57, v0, 0
	v_xor3_b32 v0, v21, v8, v4
	v_dual_mov_b32 v38, v15 :: v_dual_and_b32 v27, 3, v2
	v_add_co_u32 v29, null, 0x78dde6e4, v13
	s_delay_alu instid0(VALU_DEP_3) | instskip(SKIP_3) | instid1(VALU_DEP_3)
	v_mad_u64_u32 v[3:4], null, 0xcd9e8d57, v0, 0
	v_xor3_b32 v8, v22, v10, v6
	v_add_co_u32 v31, null, 0xed9eba14, v11
	v_add_co_u32 v33, null, 0xa9066899, v11
	v_mad_u64_u32 v[5:6], null, 0xd2511f53, v8, 0
	v_xor3_b32 v0, v23, v4, v9
	v_add_co_u32 v34, null, 0x1715609d, v13
	v_add_co_u32 v35, null, 0xb54cda56, v13
	;; [unrolled: 1-line block ×3, first 2 shown]
	v_xor3_b32 v4, v24, v6, v7
	v_mad_u64_u32 v[6:7], null, 0xd2511f53, v0, 0
	s_load_b256 s[4:11], s[0:1], 0x30
	v_add_co_u32 v32, null, 0x5384540f, v13
	s_delay_alu instid0(VALU_DEP_3) | instskip(SKIP_1) | instid1(VALU_DEP_4)
	v_mad_u64_u32 v[8:9], null, 0xcd9e8d57, v4, 0
	v_add_co_u32 v39, null, 0x1fd5c5a3, v11
	v_xor3_b32 v0, v25, v7, v5
	v_add_co_u32 v36, null, 0xf1bbcdc8, v13
	v_add_co_u32 v40, null, 0xdb3d7428, v11
	v_xor3_b32 v7, v26, v9, v3
	s_delay_alu instid0(VALU_DEP_4) | instskip(SKIP_2) | instid1(VALU_DEP_2)
	v_mad_u64_u32 v[2:3], null, 0xcd9e8d57, v0, 0
	s_add_u32 s18, s0, 48
	s_load_b64 s[20:21], s[0:1], 0x148
	v_mad_u64_u32 v[4:5], null, 0xd2511f53, v7, 0
	s_clause 0x1
	s_load_b64 s[22:23], s[0:1], 0xf4
	s_load_b128 s[12:15], s[0:1], 0x138
	s_addc_u32 s19, s1, 0
	v_xor3_b32 v0, v29, v3, v8
	s_waitcnt lgkmcnt(0)
	s_add_i32 s24, s4, -1
	v_mov_b32_e32 v41, v16
	s_cmp_gt_u32 s24, 1
	v_xor3_b32 v3, v31, v5, v6
	v_mad_u64_u32 v[5:6], null, 0xd2511f53, v0, 0
	s_cselect_b32 s11, -1, 0
	s_cmp_lg_u32 s4, 0
	s_delay_alu instid0(VALU_DEP_2) | instskip(SKIP_2) | instid1(VALU_DEP_2)
	v_mad_u64_u32 v[7:8], null, 0xcd9e8d57, v3, 0
	s_cselect_b32 s21, -1, 0
	s_add_u32 s0, s0, 0xf4
	v_xor3_b32 v0, v33, v6, v4
	s_addc_u32 s1, s1, 0
	s_min_u32 s25, s24, 15
	s_cmp_gt_u32 s4, 1
	s_delay_alu instid0(VALU_DEP_2) | instskip(SKIP_3) | instid1(VALU_DEP_2)
	v_xor3_b32 v4, v34, v8, v2
	v_mad_u64_u32 v[2:3], null, 0xcd9e8d57, v0, 0
	s_cselect_b32 s4, -1, 0
	s_add_i32 s25, s25, 1
	v_mad_u64_u32 v[8:9], null, 0xd2511f53, v4, 0
	s_lshl_b32 s31, s28, 1
	s_and_b32 s33, s25, 3
	s_delay_alu instid0(VALU_DEP_2) | instskip(SKIP_3) | instid1(VALU_DEP_2)
	v_xor3_b32 v0, v35, v3, v7
	s_cmp_lg_u32 s24, 2
	s_mov_b32 s30, 0
	s_cselect_b32 s34, -1, 0
	v_xor3_b32 v7, v37, v9, v5
	v_mad_u64_u32 v[3:4], null, 0xd2511f53, v0, 0
	s_and_b32 s35, s25, 28
	s_cmp_lg_u32 s33, 0
	s_delay_alu instid0(VALU_DEP_2) | instskip(SKIP_2) | instid1(VALU_DEP_2)
	v_mad_u64_u32 v[5:6], null, 0xcd9e8d57, v7, 0
	s_mul_i32 s36, s28, 3
	s_cselect_b32 s37, -1, 0
	v_xor3_b32 v0, v39, v4, v8
	s_delay_alu instid0(VALU_DEP_2) | instskip(NEXT) | instid1(VALU_DEP_2)
	v_xor3_b32 v2, v32, v6, v2
	v_mad_u64_u32 v[6:7], null, 0xcd9e8d57, v0, 0
	s_delay_alu instid0(VALU_DEP_2) | instskip(NEXT) | instid1(VALU_DEP_2)
	v_mad_u64_u32 v[8:9], null, 0xd2511f53, v2, 0
	v_xor3_b32 v0, v36, v7, v5
	s_delay_alu instid0(VALU_DEP_2) | instskip(NEXT) | instid1(VALU_DEP_2)
	v_xor3_b32 v2, v40, v9, v3
	v_mad_u64_u32 v[9:10], null, 0xd2511f53, v0, 0
	v_add_nc_u32_e32 v30, 0x96a522ad, v14
	s_delay_alu instid0(VALU_DEP_3) | instskip(NEXT) | instid1(VALU_DEP_3)
	v_mad_u64_u32 v[3:4], null, 0xcd9e8d57, v2, 0
	v_mov_b32_e32 v5, v9
	s_delay_alu instid0(VALU_DEP_2) | instskip(NEXT) | instid1(VALU_DEP_4)
	v_xor3_b32 v2, v4, v6, v28
	v_xor3_b32 v4, v10, v8, v30
	s_branch .LBB43_9
.LBB43_7:                               ;   in Loop: Header=BB43_9 Depth=1
	s_or_b32 exec_lo, exec_lo, s24
	s_delay_alu instid0(VALU_DEP_1)
	v_add_nc_u32_e32 v0, s20, v0
	global_store_b16 v2, v0, s[12:13]
.LBB43_8:                               ;   in Loop: Header=BB43_9 Depth=1
	s_or_b32 exec_lo, exec_lo, s38
	v_add_co_u32 v15, vcc_lo, v15, s29
	v_add_co_ci_u32_e32 v16, vcc_lo, 0, v16, vcc_lo
	v_mov_b32_e32 v9, v17
	v_dual_mov_b32 v2, v6 :: v_dual_mov_b32 v3, v7
	s_delay_alu instid0(VALU_DEP_3) | instskip(NEXT) | instid1(VALU_DEP_3)
	v_cmp_le_i64_e32 vcc_lo, s[2:3], v[15:16]
	v_dual_mov_b32 v4, v8 :: v_dual_mov_b32 v5, v9
	s_waitcnt_vscnt null, 0x0
	s_barrier
	buffer_gl0_inv
	s_or_b32 s30, vcc_lo, s30
	s_delay_alu instid0(SALU_CYCLE_1)
	s_and_not1_b32 exec_lo, exec_lo, s30
	s_cbranch_execz .LBB43_86
.LBB43_9:                               ; =>This Loop Header: Depth=1
                                        ;     Child Loop BB43_24 Depth 2
                                        ;     Child Loop BB43_29 Depth 2
	;; [unrolled: 1-line block ×8, first 2 shown]
	v_add_co_u32 v19, vcc_lo, v19, 1
	s_delay_alu instid0(VALU_DEP_1) | instskip(SKIP_1) | instid1(VALU_DEP_3)
	v_cndmask_b32_e64 v0, 0, 1, vcc_lo
	v_add_co_ci_u32_e32 v20, vcc_lo, 0, v20, vcc_lo
	v_mad_u64_u32 v[6:7], null, 0xd2511f53, v19, 0
	s_mov_b32 s24, exec_lo
	s_delay_alu instid0(VALU_DEP_2) | instskip(SKIP_1) | instid1(VALU_DEP_1)
	v_cmp_eq_u32_e32 vcc_lo, 0, v20
	v_cndmask_b32_e32 v0, 0, v0, vcc_lo
	v_add_nc_u32_e32 v38, v0, v38
	s_delay_alu instid0(VALU_DEP_1) | instskip(SKIP_2) | instid1(VALU_DEP_1)
	v_cmp_eq_u32_e32 vcc_lo, 0, v38
	v_mad_u64_u32 v[8:9], null, 0xcd9e8d57, v38, 0
	v_cndmask_b32_e32 v0, 0, v0, vcc_lo
	v_add_nc_u32_e32 v41, v0, v41
	v_xor_b32_e32 v0, v7, v14
	s_delay_alu instid0(VALU_DEP_4) | instskip(NEXT) | instid1(VALU_DEP_2)
	v_xor3_b32 v7, v9, v13, v20
	v_xor_b32_e32 v0, v41, v0
	s_delay_alu instid0(VALU_DEP_2) | instskip(NEXT) | instid1(VALU_DEP_2)
	v_mad_u64_u32 v[9:10], null, 0xd2511f53, v7, 0
	v_mad_u64_u32 v[11:12], null, 0xcd9e8d57, v0, 0
	s_delay_alu instid0(VALU_DEP_2) | instskip(NEXT) | instid1(VALU_DEP_2)
	v_xor3_b32 v0, v21, v10, v6
	v_xor3_b32 v8, v22, v12, v8
	s_delay_alu instid0(VALU_DEP_2) | instskip(NEXT) | instid1(VALU_DEP_2)
	v_mad_u64_u32 v[6:7], null, 0xcd9e8d57, v0, 0
	v_mad_u64_u32 v[17:18], null, 0xd2511f53, v8, 0
	s_delay_alu instid0(VALU_DEP_2) | instskip(NEXT) | instid1(VALU_DEP_2)
	v_xor3_b32 v0, v23, v7, v11
	v_xor3_b32 v11, v24, v18, v9
	;; [unrolled: 6-line block ×9, first 2 shown]
	s_delay_alu instid0(VALU_DEP_2)
	v_mov_b32_e32 v8, v12
	v_cmpx_lt_i32_e32 1, v27
	s_xor_b32 s24, exec_lo, s24
	s_cbranch_execnz .LBB43_12
; %bb.10:                               ;   in Loop: Header=BB43_9 Depth=1
	s_and_not1_saveexec_b32 s24, s24
	s_cbranch_execnz .LBB43_17
.LBB43_11:                              ;   in Loop: Header=BB43_9 Depth=1
	s_or_b32 exec_lo, exec_lo, s24
	s_delay_alu instid0(SALU_CYCLE_1)
	s_mov_b32 s38, exec_lo
	v_cmpx_gt_i64_e64 s[16:17], v[15:16]
	s_cbranch_execnz .LBB43_20
	s_branch .LBB43_36
.LBB43_12:                              ;   in Loop: Header=BB43_9 Depth=1
	s_mov_b32 s25, exec_lo
	v_cmpx_lt_i32_e32 2, v27
	s_xor_b32 s25, exec_lo, s25
; %bb.13:                               ;   in Loop: Header=BB43_9 Depth=1
	v_dual_mov_b32 v9, v5 :: v_dual_mov_b32 v10, v6
	v_mov_b32_e32 v11, v7
	s_delay_alu instid0(VALU_DEP_2) | instskip(NEXT) | instid1(VALU_DEP_2)
	v_dual_mov_b32 v2, v9 :: v_dual_mov_b32 v3, v10
	v_dual_mov_b32 v4, v11 :: v_dual_mov_b32 v5, v12
; %bb.14:                               ;   in Loop: Header=BB43_9 Depth=1
	s_and_not1_saveexec_b32 s25, s25
; %bb.15:                               ;   in Loop: Header=BB43_9 Depth=1
	s_delay_alu instid0(VALU_DEP_1)
	v_dual_mov_b32 v2, v4 :: v_dual_mov_b32 v3, v5
	v_dual_mov_b32 v4, v6 :: v_dual_mov_b32 v5, v7
; %bb.16:                               ;   in Loop: Header=BB43_9 Depth=1
	s_or_b32 exec_lo, exec_lo, s25
	s_and_not1_saveexec_b32 s24, s24
	s_cbranch_execz .LBB43_11
.LBB43_17:                              ;   in Loop: Header=BB43_9 Depth=1
	s_mov_b32 s25, exec_lo
	v_cmpx_eq_u32_e32 1, v27
; %bb.18:                               ;   in Loop: Header=BB43_9 Depth=1
	v_dual_mov_b32 v2, v3 :: v_dual_mov_b32 v3, v4
	v_dual_mov_b32 v4, v5 :: v_dual_mov_b32 v5, v6
; %bb.19:                               ;   in Loop: Header=BB43_9 Depth=1
	s_or_b32 exec_lo, exec_lo, s25
	s_delay_alu instid0(SALU_CYCLE_1) | instskip(NEXT) | instid1(SALU_CYCLE_1)
	s_or_b32 exec_lo, exec_lo, s24
	s_mov_b32 s38, exec_lo
	v_cmpx_gt_i64_e64 s[16:17], v[15:16]
	s_cbranch_execz .LBB43_36
.LBB43_20:                              ;   in Loop: Header=BB43_9 Depth=1
	s_and_not1_b32 vcc_lo, exec_lo, s11
	s_cbranch_vccnz .LBB43_26
; %bb.21:                               ;   in Loop: Header=BB43_9 Depth=1
	v_mov_b32_e32 v9, 0
	s_and_not1_b32 vcc_lo, exec_lo, s21
	s_cbranch_vccnz .LBB43_30
; %bb.22:                               ;   in Loop: Header=BB43_9 Depth=1
	s_and_not1_b32 vcc_lo, exec_lo, s34
	s_mov_b32 s24, 0
	s_cbranch_vccnz .LBB43_27
; %bb.23:                               ;   in Loop: Header=BB43_9 Depth=1
	v_dual_mov_b32 v9, 0 :: v_dual_mov_b32 v0, v15
	s_mov_b32 s39, 0
	s_mov_b64 s[24:25], s[18:19]
	s_mov_b64 s[26:27], s[0:1]
.LBB43_24:                              ;   Parent Loop BB43_9 Depth=1
                                        ; =>  This Inner Loop Header: Depth=2
	s_clause 0x1
	s_load_b256 s[40:47], s[24:25], 0x4
	s_load_b128 s[48:51], s[24:25], 0x24
	s_load_b128 s[52:55], s[26:27], 0x0
	s_add_u32 s24, s24, 48
	s_addc_u32 s25, s25, 0
	s_add_i32 s39, s39, 4
	s_add_u32 s26, s26, 16
	s_addc_u32 s27, s27, 0
	s_cmp_lg_u32 s35, s39
	s_waitcnt lgkmcnt(0)
	v_mul_hi_u32 v10, s41, v0
	s_delay_alu instid0(VALU_DEP_1) | instskip(NEXT) | instid1(VALU_DEP_1)
	v_add_nc_u32_e32 v10, v0, v10
	v_lshrrev_b32_e32 v10, s42, v10
	s_delay_alu instid0(VALU_DEP_1) | instskip(SKIP_1) | instid1(VALU_DEP_2)
	v_mul_hi_u32 v11, s44, v10
	v_mul_lo_u32 v42, v10, s40
	v_add_nc_u32_e32 v11, v10, v11
	s_delay_alu instid0(VALU_DEP_2) | instskip(NEXT) | instid1(VALU_DEP_2)
	v_sub_nc_u32_e32 v42, v0, v42
	v_lshrrev_b32_e32 v11, s45, v11
	s_delay_alu instid0(VALU_DEP_2) | instskip(NEXT) | instid1(VALU_DEP_2)
	v_mul_lo_u32 v42, v42, s52
	v_mul_hi_u32 v12, s47, v11
	v_mul_lo_u32 v43, v11, s43
	s_delay_alu instid0(VALU_DEP_2) | instskip(NEXT) | instid1(VALU_DEP_2)
	v_add_nc_u32_e32 v12, v11, v12
	v_sub_nc_u32_e32 v10, v10, v43
	s_delay_alu instid0(VALU_DEP_2) | instskip(NEXT) | instid1(VALU_DEP_2)
	v_lshrrev_b32_e32 v12, s48, v12
	v_mul_lo_u32 v10, v10, s53
	s_delay_alu instid0(VALU_DEP_2) | instskip(NEXT) | instid1(VALU_DEP_2)
	v_mul_hi_u32 v18, s50, v12
	v_add3_u32 v9, v42, v9, v10
	s_delay_alu instid0(VALU_DEP_2) | instskip(NEXT) | instid1(VALU_DEP_1)
	v_add_nc_u32_e32 v18, v12, v18
	v_lshrrev_b32_e32 v0, s51, v18
	v_mul_lo_u32 v18, v12, s46
	s_delay_alu instid0(VALU_DEP_2) | instskip(NEXT) | instid1(VALU_DEP_2)
	v_mul_lo_u32 v44, v0, s49
	v_sub_nc_u32_e32 v11, v11, v18
	s_delay_alu instid0(VALU_DEP_2) | instskip(NEXT) | instid1(VALU_DEP_2)
	v_sub_nc_u32_e32 v12, v12, v44
	v_mul_lo_u32 v11, v11, s54
	s_delay_alu instid0(VALU_DEP_2) | instskip(NEXT) | instid1(VALU_DEP_1)
	v_mul_lo_u32 v12, v12, s55
	v_add3_u32 v9, v11, v9, v12
	s_cbranch_scc1 .LBB43_24
; %bb.25:                               ;   in Loop: Header=BB43_9 Depth=1
	s_mov_b32 s24, s35
	s_and_not1_b32 vcc_lo, exec_lo, s37
	s_cbranch_vccz .LBB43_28
	s_branch .LBB43_30
.LBB43_26:                              ;   in Loop: Header=BB43_9 Depth=1
                                        ; implicit-def: $vgpr9
	s_branch .LBB43_31
.LBB43_27:                              ;   in Loop: Header=BB43_9 Depth=1
	v_mov_b32_e32 v0, v15
	s_and_not1_b32 vcc_lo, exec_lo, s37
	s_cbranch_vccnz .LBB43_30
.LBB43_28:                              ;   in Loop: Header=BB43_9 Depth=1
	s_lshl_b32 s25, s24, 2
	s_mul_i32 s26, s24, 12
	s_add_u32 s24, s0, s25
	s_addc_u32 s25, s1, 0
	s_add_u32 s26, s18, s26
	s_addc_u32 s27, s19, 0
	s_mov_b32 s39, s33
	.p2align	6
.LBB43_29:                              ;   Parent Loop BB43_9 Depth=1
                                        ; =>  This Inner Loop Header: Depth=2
	s_clause 0x1
	s_load_b64 s[40:41], s[26:27], 0x4
	s_load_b32 s42, s[26:27], 0xc
	s_add_u32 s26, s26, 12
	s_addc_u32 s27, s27, 0
	s_waitcnt lgkmcnt(0)
	v_mul_hi_u32 v10, s41, v0
	s_load_b32 s41, s[24:25], 0x0
	s_add_u32 s24, s24, 4
	s_addc_u32 s25, s25, 0
	s_add_i32 s39, s39, -1
	s_delay_alu instid0(SALU_CYCLE_1) | instskip(NEXT) | instid1(VALU_DEP_1)
	s_cmp_lg_u32 s39, 0
	v_add_nc_u32_e32 v10, v0, v10
	s_delay_alu instid0(VALU_DEP_1) | instskip(NEXT) | instid1(VALU_DEP_1)
	v_lshrrev_b32_e32 v12, s42, v10
	v_mul_lo_u32 v10, v12, s40
	s_delay_alu instid0(VALU_DEP_1) | instskip(SKIP_1) | instid1(VALU_DEP_1)
	v_sub_nc_u32_e32 v0, v0, v10
	s_waitcnt lgkmcnt(0)
	v_mad_u64_u32 v[10:11], null, v0, s41, v[9:10]
	s_delay_alu instid0(VALU_DEP_1)
	v_dual_mov_b32 v0, v12 :: v_dual_mov_b32 v9, v10
	s_cbranch_scc1 .LBB43_29
.LBB43_30:                              ;   in Loop: Header=BB43_9 Depth=1
	s_cbranch_execnz .LBB43_33
.LBB43_31:                              ;   in Loop: Header=BB43_9 Depth=1
	v_mul_hi_u32 v0, v15, s6
	s_and_not1_b32 vcc_lo, exec_lo, s4
	s_delay_alu instid0(VALU_DEP_1) | instskip(NEXT) | instid1(VALU_DEP_1)
	v_add_nc_u32_e32 v0, v0, v15
	v_lshrrev_b32_e32 v0, s7, v0
	s_delay_alu instid0(VALU_DEP_1) | instskip(NEXT) | instid1(VALU_DEP_1)
	v_mul_lo_u32 v9, v0, s5
	v_sub_nc_u32_e32 v9, v15, v9
	s_delay_alu instid0(VALU_DEP_1)
	v_mul_lo_u32 v9, v9, s22
	s_cbranch_vccnz .LBB43_33
; %bb.32:                               ;   in Loop: Header=BB43_9 Depth=1
	v_mul_hi_u32 v10, s9, v0
	s_delay_alu instid0(VALU_DEP_1) | instskip(NEXT) | instid1(VALU_DEP_1)
	v_add_nc_u32_e32 v10, v0, v10
	v_lshrrev_b32_e32 v10, s10, v10
	s_delay_alu instid0(VALU_DEP_1) | instskip(NEXT) | instid1(VALU_DEP_1)
	v_mul_lo_u32 v10, v10, s8
	v_sub_nc_u32_e32 v0, v0, v10
	s_delay_alu instid0(VALU_DEP_1) | instskip(NEXT) | instid1(VALU_DEP_1)
	v_mad_u64_u32 v[10:11], null, v0, s23, v[9:10]
	v_mov_b32_e32 v9, v10
.LBB43_33:                              ;   in Loop: Header=BB43_9 Depth=1
	v_mov_b32_e32 v0, v2
	s_mov_b32 s24, exec_lo
	s_delay_alu instid0(VALU_DEP_1)
	v_cmpx_le_u64_e64 s[14:15], v[0:1]
	s_cbranch_execz .LBB43_35
; %bb.34:                               ;   in Loop: Header=BB43_9 Depth=1
	v_cvt_f32_u32_e32 v2, s14
	s_sub_i32 s25, 0, s14
	s_delay_alu instid0(VALU_DEP_1) | instskip(SKIP_2) | instid1(VALU_DEP_1)
	v_rcp_iflag_f32_e32 v2, v2
	s_waitcnt_depctr 0xfff
	v_mul_f32_e32 v2, 0x4f7ffffe, v2
	v_cvt_u32_f32_e32 v2, v2
	s_delay_alu instid0(VALU_DEP_1) | instskip(NEXT) | instid1(VALU_DEP_1)
	v_mul_lo_u32 v10, s25, v2
	v_mul_hi_u32 v10, v2, v10
	s_delay_alu instid0(VALU_DEP_1) | instskip(NEXT) | instid1(VALU_DEP_1)
	v_add_nc_u32_e32 v2, v2, v10
	v_mul_hi_u32 v2, v0, v2
	s_delay_alu instid0(VALU_DEP_1) | instskip(NEXT) | instid1(VALU_DEP_1)
	v_mul_lo_u32 v2, v2, s14
	v_sub_nc_u32_e32 v0, v0, v2
	s_delay_alu instid0(VALU_DEP_1) | instskip(SKIP_1) | instid1(VALU_DEP_2)
	v_subrev_nc_u32_e32 v2, s14, v0
	v_cmp_le_u32_e32 vcc_lo, s14, v0
	v_cndmask_b32_e32 v0, v0, v2, vcc_lo
	s_delay_alu instid0(VALU_DEP_1) | instskip(SKIP_1) | instid1(VALU_DEP_2)
	v_subrev_nc_u32_e32 v2, s14, v0
	v_cmp_le_u32_e32 vcc_lo, s14, v0
	v_cndmask_b32_e32 v0, v0, v2, vcc_lo
.LBB43_35:                              ;   in Loop: Header=BB43_9 Depth=1
	s_or_b32 exec_lo, exec_lo, s24
	s_delay_alu instid0(VALU_DEP_1)
	v_add_nc_u32_e32 v0, s20, v0
	global_store_b16 v9, v0, s[12:13]
.LBB43_36:                              ;   in Loop: Header=BB43_9 Depth=1
	s_or_b32 exec_lo, exec_lo, s38
	v_add_co_u32 v9, vcc_lo, v15, s28
	v_add_co_ci_u32_e32 v10, vcc_lo, 0, v16, vcc_lo
	s_mov_b32 s38, exec_lo
	s_delay_alu instid0(VALU_DEP_1)
	v_cmpx_gt_i64_e64 s[16:17], v[9:10]
	s_cbranch_execz .LBB43_53
; %bb.37:                               ;   in Loop: Header=BB43_9 Depth=1
	s_and_not1_b32 vcc_lo, exec_lo, s11
	s_cbranch_vccnz .LBB43_43
; %bb.38:                               ;   in Loop: Header=BB43_9 Depth=1
	v_mov_b32_e32 v2, 0
	s_and_not1_b32 vcc_lo, exec_lo, s21
	s_cbranch_vccnz .LBB43_47
; %bb.39:                               ;   in Loop: Header=BB43_9 Depth=1
	s_and_not1_b32 vcc_lo, exec_lo, s34
	s_mov_b32 s24, 0
	s_cbranch_vccnz .LBB43_44
; %bb.40:                               ;   in Loop: Header=BB43_9 Depth=1
	v_mov_b32_e32 v2, 0
	v_mov_b32_e32 v0, v9
	s_mov_b32 s39, 0
	s_mov_b64 s[24:25], s[18:19]
	s_mov_b64 s[26:27], s[0:1]
.LBB43_41:                              ;   Parent Loop BB43_9 Depth=1
                                        ; =>  This Inner Loop Header: Depth=2
	s_clause 0x1
	s_load_b256 s[40:47], s[24:25], 0x4
	s_load_b128 s[48:51], s[24:25], 0x24
	s_load_b128 s[52:55], s[26:27], 0x0
	s_add_u32 s24, s24, 48
	s_addc_u32 s25, s25, 0
	s_add_i32 s39, s39, 4
	s_add_u32 s26, s26, 16
	s_addc_u32 s27, s27, 0
	s_cmp_eq_u32 s35, s39
	s_waitcnt lgkmcnt(0)
	v_mul_hi_u32 v10, s41, v0
	s_delay_alu instid0(VALU_DEP_1) | instskip(NEXT) | instid1(VALU_DEP_1)
	v_add_nc_u32_e32 v10, v0, v10
	v_lshrrev_b32_e32 v10, s42, v10
	s_delay_alu instid0(VALU_DEP_1) | instskip(SKIP_1) | instid1(VALU_DEP_2)
	v_mul_hi_u32 v11, s44, v10
	v_mul_lo_u32 v42, v10, s40
	v_add_nc_u32_e32 v11, v10, v11
	s_delay_alu instid0(VALU_DEP_2) | instskip(NEXT) | instid1(VALU_DEP_2)
	v_sub_nc_u32_e32 v42, v0, v42
	v_lshrrev_b32_e32 v11, s45, v11
	s_delay_alu instid0(VALU_DEP_2) | instskip(NEXT) | instid1(VALU_DEP_2)
	v_mul_lo_u32 v42, v42, s52
	v_mul_hi_u32 v12, s47, v11
	v_mul_lo_u32 v43, v11, s43
	s_delay_alu instid0(VALU_DEP_2) | instskip(NEXT) | instid1(VALU_DEP_2)
	v_add_nc_u32_e32 v12, v11, v12
	v_sub_nc_u32_e32 v10, v10, v43
	s_delay_alu instid0(VALU_DEP_2) | instskip(NEXT) | instid1(VALU_DEP_2)
	v_lshrrev_b32_e32 v12, s48, v12
	v_mul_lo_u32 v10, v10, s53
	s_delay_alu instid0(VALU_DEP_2) | instskip(NEXT) | instid1(VALU_DEP_2)
	v_mul_hi_u32 v18, s50, v12
	v_add3_u32 v2, v42, v2, v10
	s_delay_alu instid0(VALU_DEP_2) | instskip(NEXT) | instid1(VALU_DEP_1)
	v_add_nc_u32_e32 v18, v12, v18
	v_lshrrev_b32_e32 v0, s51, v18
	v_mul_lo_u32 v18, v12, s46
	s_delay_alu instid0(VALU_DEP_2) | instskip(NEXT) | instid1(VALU_DEP_2)
	v_mul_lo_u32 v44, v0, s49
	v_sub_nc_u32_e32 v11, v11, v18
	s_delay_alu instid0(VALU_DEP_2) | instskip(NEXT) | instid1(VALU_DEP_2)
	v_sub_nc_u32_e32 v12, v12, v44
	v_mul_lo_u32 v11, v11, s54
	s_delay_alu instid0(VALU_DEP_2) | instskip(NEXT) | instid1(VALU_DEP_1)
	v_mul_lo_u32 v12, v12, s55
	v_add3_u32 v2, v11, v2, v12
	s_cbranch_scc0 .LBB43_41
; %bb.42:                               ;   in Loop: Header=BB43_9 Depth=1
	s_mov_b32 s24, s35
	s_and_not1_b32 vcc_lo, exec_lo, s37
	s_cbranch_vccz .LBB43_45
	s_branch .LBB43_47
.LBB43_43:                              ;   in Loop: Header=BB43_9 Depth=1
                                        ; implicit-def: $vgpr2
	s_branch .LBB43_48
.LBB43_44:                              ;   in Loop: Header=BB43_9 Depth=1
	v_mov_b32_e32 v0, v9
	s_and_not1_b32 vcc_lo, exec_lo, s37
	s_cbranch_vccnz .LBB43_47
.LBB43_45:                              ;   in Loop: Header=BB43_9 Depth=1
	s_lshl_b32 s25, s24, 2
	s_mul_i32 s26, s24, 12
	s_add_u32 s24, s0, s25
	s_addc_u32 s25, s1, 0
	s_add_u32 s26, s18, s26
	s_addc_u32 s27, s19, 0
	s_mov_b32 s39, s33
	.p2align	6
.LBB43_46:                              ;   Parent Loop BB43_9 Depth=1
                                        ; =>  This Inner Loop Header: Depth=2
	s_clause 0x1
	s_load_b64 s[40:41], s[26:27], 0x4
	s_load_b32 s42, s[26:27], 0xc
	s_add_u32 s26, s26, 12
	s_addc_u32 s27, s27, 0
	s_waitcnt lgkmcnt(0)
	v_mul_hi_u32 v10, s41, v0
	s_load_b32 s41, s[24:25], 0x0
	s_add_u32 s24, s24, 4
	s_addc_u32 s25, s25, 0
	s_add_i32 s39, s39, -1
	s_delay_alu instid0(SALU_CYCLE_1) | instskip(NEXT) | instid1(VALU_DEP_1)
	s_cmp_lg_u32 s39, 0
	v_add_nc_u32_e32 v10, v0, v10
	s_delay_alu instid0(VALU_DEP_1) | instskip(NEXT) | instid1(VALU_DEP_1)
	v_lshrrev_b32_e32 v12, s42, v10
	v_mul_lo_u32 v10, v12, s40
	s_delay_alu instid0(VALU_DEP_1) | instskip(SKIP_1) | instid1(VALU_DEP_1)
	v_sub_nc_u32_e32 v0, v0, v10
	s_waitcnt lgkmcnt(0)
	v_mad_u64_u32 v[10:11], null, v0, s41, v[2:3]
	v_mov_b32_e32 v0, v12
	s_delay_alu instid0(VALU_DEP_2)
	v_mov_b32_e32 v2, v10
	s_cbranch_scc1 .LBB43_46
.LBB43_47:                              ;   in Loop: Header=BB43_9 Depth=1
	s_cbranch_execnz .LBB43_50
.LBB43_48:                              ;   in Loop: Header=BB43_9 Depth=1
	v_mul_hi_u32 v0, v9, s6
	s_and_not1_b32 vcc_lo, exec_lo, s4
	s_delay_alu instid0(VALU_DEP_1) | instskip(NEXT) | instid1(VALU_DEP_1)
	v_add_nc_u32_e32 v0, v0, v9
	v_lshrrev_b32_e32 v0, s7, v0
	s_delay_alu instid0(VALU_DEP_1) | instskip(NEXT) | instid1(VALU_DEP_1)
	v_mul_lo_u32 v2, v0, s5
	v_sub_nc_u32_e32 v2, v9, v2
	s_delay_alu instid0(VALU_DEP_1)
	v_mul_lo_u32 v2, v2, s22
	s_cbranch_vccnz .LBB43_50
; %bb.49:                               ;   in Loop: Header=BB43_9 Depth=1
	v_mul_hi_u32 v9, s9, v0
	s_delay_alu instid0(VALU_DEP_1) | instskip(NEXT) | instid1(VALU_DEP_1)
	v_add_nc_u32_e32 v9, v0, v9
	v_lshrrev_b32_e32 v9, s10, v9
	s_delay_alu instid0(VALU_DEP_1) | instskip(NEXT) | instid1(VALU_DEP_1)
	v_mul_lo_u32 v9, v9, s8
	v_sub_nc_u32_e32 v0, v0, v9
	s_delay_alu instid0(VALU_DEP_1) | instskip(NEXT) | instid1(VALU_DEP_1)
	v_mad_u64_u32 v[9:10], null, v0, s23, v[2:3]
	v_mov_b32_e32 v2, v9
.LBB43_50:                              ;   in Loop: Header=BB43_9 Depth=1
	v_mov_b32_e32 v0, v3
	s_mov_b32 s24, exec_lo
	s_delay_alu instid0(VALU_DEP_1)
	v_cmpx_le_u64_e64 s[14:15], v[0:1]
	s_cbranch_execz .LBB43_52
; %bb.51:                               ;   in Loop: Header=BB43_9 Depth=1
	v_cvt_f32_u32_e32 v3, s14
	s_sub_i32 s25, 0, s14
	s_delay_alu instid0(VALU_DEP_1) | instskip(SKIP_2) | instid1(VALU_DEP_1)
	v_rcp_iflag_f32_e32 v3, v3
	s_waitcnt_depctr 0xfff
	v_mul_f32_e32 v3, 0x4f7ffffe, v3
	v_cvt_u32_f32_e32 v3, v3
	s_delay_alu instid0(VALU_DEP_1) | instskip(NEXT) | instid1(VALU_DEP_1)
	v_mul_lo_u32 v9, s25, v3
	v_mul_hi_u32 v9, v3, v9
	s_delay_alu instid0(VALU_DEP_1) | instskip(NEXT) | instid1(VALU_DEP_1)
	v_add_nc_u32_e32 v3, v3, v9
	v_mul_hi_u32 v3, v0, v3
	s_delay_alu instid0(VALU_DEP_1) | instskip(NEXT) | instid1(VALU_DEP_1)
	v_mul_lo_u32 v3, v3, s14
	v_sub_nc_u32_e32 v0, v0, v3
	s_delay_alu instid0(VALU_DEP_1) | instskip(SKIP_1) | instid1(VALU_DEP_2)
	v_subrev_nc_u32_e32 v3, s14, v0
	v_cmp_le_u32_e32 vcc_lo, s14, v0
	v_cndmask_b32_e32 v0, v0, v3, vcc_lo
	s_delay_alu instid0(VALU_DEP_1) | instskip(SKIP_1) | instid1(VALU_DEP_2)
	v_subrev_nc_u32_e32 v3, s14, v0
	v_cmp_le_u32_e32 vcc_lo, s14, v0
	v_cndmask_b32_e32 v0, v0, v3, vcc_lo
.LBB43_52:                              ;   in Loop: Header=BB43_9 Depth=1
	s_or_b32 exec_lo, exec_lo, s24
	s_delay_alu instid0(VALU_DEP_1)
	v_add_nc_u32_e32 v0, s20, v0
	global_store_b16 v2, v0, s[12:13]
.LBB43_53:                              ;   in Loop: Header=BB43_9 Depth=1
	s_or_b32 exec_lo, exec_lo, s38
	v_add_co_u32 v9, vcc_lo, v15, s31
	v_add_co_ci_u32_e32 v10, vcc_lo, 0, v16, vcc_lo
	s_mov_b32 s38, exec_lo
	s_delay_alu instid0(VALU_DEP_1)
	v_cmpx_gt_i64_e64 s[16:17], v[9:10]
	s_cbranch_execz .LBB43_70
; %bb.54:                               ;   in Loop: Header=BB43_9 Depth=1
	s_and_not1_b32 vcc_lo, exec_lo, s11
	s_cbranch_vccnz .LBB43_60
; %bb.55:                               ;   in Loop: Header=BB43_9 Depth=1
	v_mov_b32_e32 v2, 0
	s_and_not1_b32 vcc_lo, exec_lo, s21
	s_cbranch_vccnz .LBB43_64
; %bb.56:                               ;   in Loop: Header=BB43_9 Depth=1
	s_and_not1_b32 vcc_lo, exec_lo, s34
	s_mov_b32 s24, 0
	s_cbranch_vccnz .LBB43_61
; %bb.57:                               ;   in Loop: Header=BB43_9 Depth=1
	v_mov_b32_e32 v2, 0
	v_mov_b32_e32 v0, v9
	s_mov_b32 s39, 0
	s_mov_b64 s[24:25], s[18:19]
	s_mov_b64 s[26:27], s[0:1]
.LBB43_58:                              ;   Parent Loop BB43_9 Depth=1
                                        ; =>  This Inner Loop Header: Depth=2
	s_clause 0x1
	s_load_b256 s[40:47], s[24:25], 0x4
	s_load_b128 s[48:51], s[24:25], 0x24
	s_load_b128 s[52:55], s[26:27], 0x0
	s_add_u32 s24, s24, 48
	s_addc_u32 s25, s25, 0
	s_add_i32 s39, s39, 4
	s_add_u32 s26, s26, 16
	s_addc_u32 s27, s27, 0
	s_cmp_eq_u32 s35, s39
	s_waitcnt lgkmcnt(0)
	v_mul_hi_u32 v3, s41, v0
	s_delay_alu instid0(VALU_DEP_1) | instskip(NEXT) | instid1(VALU_DEP_1)
	v_add_nc_u32_e32 v3, v0, v3
	v_lshrrev_b32_e32 v3, s42, v3
	s_delay_alu instid0(VALU_DEP_1) | instskip(SKIP_1) | instid1(VALU_DEP_2)
	v_mul_hi_u32 v10, s44, v3
	v_mul_lo_u32 v18, v3, s40
	v_add_nc_u32_e32 v10, v3, v10
	s_delay_alu instid0(VALU_DEP_2) | instskip(NEXT) | instid1(VALU_DEP_2)
	v_sub_nc_u32_e32 v18, v0, v18
	v_lshrrev_b32_e32 v10, s45, v10
	s_delay_alu instid0(VALU_DEP_2) | instskip(NEXT) | instid1(VALU_DEP_2)
	v_mul_lo_u32 v18, v18, s52
	v_mul_hi_u32 v11, s47, v10
	v_mul_lo_u32 v42, v10, s43
	s_delay_alu instid0(VALU_DEP_2) | instskip(NEXT) | instid1(VALU_DEP_2)
	v_add_nc_u32_e32 v11, v10, v11
	v_sub_nc_u32_e32 v3, v3, v42
	s_delay_alu instid0(VALU_DEP_2) | instskip(NEXT) | instid1(VALU_DEP_2)
	v_lshrrev_b32_e32 v11, s48, v11
	v_mul_lo_u32 v3, v3, s53
	s_delay_alu instid0(VALU_DEP_2) | instskip(NEXT) | instid1(VALU_DEP_2)
	v_mul_hi_u32 v12, s50, v11
	v_add3_u32 v2, v18, v2, v3
	s_delay_alu instid0(VALU_DEP_2) | instskip(NEXT) | instid1(VALU_DEP_1)
	v_add_nc_u32_e32 v12, v11, v12
	v_lshrrev_b32_e32 v0, s51, v12
	v_mul_lo_u32 v12, v11, s46
	s_delay_alu instid0(VALU_DEP_2) | instskip(NEXT) | instid1(VALU_DEP_2)
	v_mul_lo_u32 v43, v0, s49
	v_sub_nc_u32_e32 v10, v10, v12
	s_delay_alu instid0(VALU_DEP_2) | instskip(NEXT) | instid1(VALU_DEP_2)
	v_sub_nc_u32_e32 v11, v11, v43
	v_mul_lo_u32 v10, v10, s54
	s_delay_alu instid0(VALU_DEP_2) | instskip(NEXT) | instid1(VALU_DEP_1)
	v_mul_lo_u32 v11, v11, s55
	v_add3_u32 v2, v10, v2, v11
	s_cbranch_scc0 .LBB43_58
; %bb.59:                               ;   in Loop: Header=BB43_9 Depth=1
	s_mov_b32 s24, s35
	s_and_not1_b32 vcc_lo, exec_lo, s37
	s_cbranch_vccz .LBB43_62
	s_branch .LBB43_64
.LBB43_60:                              ;   in Loop: Header=BB43_9 Depth=1
                                        ; implicit-def: $vgpr2
	s_branch .LBB43_65
.LBB43_61:                              ;   in Loop: Header=BB43_9 Depth=1
	v_mov_b32_e32 v0, v9
	s_and_not1_b32 vcc_lo, exec_lo, s37
	s_cbranch_vccnz .LBB43_64
.LBB43_62:                              ;   in Loop: Header=BB43_9 Depth=1
	s_lshl_b32 s25, s24, 2
	s_mul_i32 s26, s24, 12
	s_add_u32 s24, s0, s25
	s_addc_u32 s25, s1, 0
	s_add_u32 s26, s18, s26
	s_addc_u32 s27, s19, 0
	s_mov_b32 s39, s33
	.p2align	6
.LBB43_63:                              ;   Parent Loop BB43_9 Depth=1
                                        ; =>  This Inner Loop Header: Depth=2
	s_clause 0x1
	s_load_b64 s[40:41], s[26:27], 0x4
	s_load_b32 s42, s[26:27], 0xc
	s_add_u32 s26, s26, 12
	s_addc_u32 s27, s27, 0
	s_waitcnt lgkmcnt(0)
	v_mul_hi_u32 v3, s41, v0
	s_load_b32 s41, s[24:25], 0x0
	s_add_u32 s24, s24, 4
	s_addc_u32 s25, s25, 0
	s_add_i32 s39, s39, -1
	s_delay_alu instid0(SALU_CYCLE_1) | instskip(NEXT) | instid1(VALU_DEP_1)
	s_cmp_lg_u32 s39, 0
	v_add_nc_u32_e32 v3, v0, v3
	s_delay_alu instid0(VALU_DEP_1) | instskip(NEXT) | instid1(VALU_DEP_1)
	v_lshrrev_b32_e32 v3, s42, v3
	v_mul_lo_u32 v10, v3, s40
	s_delay_alu instid0(VALU_DEP_1) | instskip(SKIP_1) | instid1(VALU_DEP_1)
	v_sub_nc_u32_e32 v0, v0, v10
	s_waitcnt lgkmcnt(0)
	v_mad_u64_u32 v[10:11], null, v0, s41, v[2:3]
	v_mov_b32_e32 v0, v3
	s_delay_alu instid0(VALU_DEP_2)
	v_mov_b32_e32 v2, v10
	s_cbranch_scc1 .LBB43_63
.LBB43_64:                              ;   in Loop: Header=BB43_9 Depth=1
	s_cbranch_execnz .LBB43_67
.LBB43_65:                              ;   in Loop: Header=BB43_9 Depth=1
	v_mul_hi_u32 v0, v9, s6
	s_and_not1_b32 vcc_lo, exec_lo, s4
	s_delay_alu instid0(VALU_DEP_1) | instskip(NEXT) | instid1(VALU_DEP_1)
	v_add_nc_u32_e32 v0, v0, v9
	v_lshrrev_b32_e32 v0, s7, v0
	s_delay_alu instid0(VALU_DEP_1) | instskip(NEXT) | instid1(VALU_DEP_1)
	v_mul_lo_u32 v2, v0, s5
	v_sub_nc_u32_e32 v2, v9, v2
	s_delay_alu instid0(VALU_DEP_1)
	v_mul_lo_u32 v2, v2, s22
	s_cbranch_vccnz .LBB43_67
; %bb.66:                               ;   in Loop: Header=BB43_9 Depth=1
	v_mul_hi_u32 v3, s9, v0
	s_delay_alu instid0(VALU_DEP_1) | instskip(NEXT) | instid1(VALU_DEP_1)
	v_add_nc_u32_e32 v3, v0, v3
	v_lshrrev_b32_e32 v3, s10, v3
	s_delay_alu instid0(VALU_DEP_1) | instskip(NEXT) | instid1(VALU_DEP_1)
	v_mul_lo_u32 v3, v3, s8
	v_sub_nc_u32_e32 v0, v0, v3
	s_delay_alu instid0(VALU_DEP_1) | instskip(NEXT) | instid1(VALU_DEP_1)
	v_mad_u64_u32 v[9:10], null, v0, s23, v[2:3]
	v_mov_b32_e32 v2, v9
.LBB43_67:                              ;   in Loop: Header=BB43_9 Depth=1
	v_mov_b32_e32 v0, v4
	s_mov_b32 s24, exec_lo
	s_delay_alu instid0(VALU_DEP_1)
	v_cmpx_le_u64_e64 s[14:15], v[0:1]
	s_cbranch_execz .LBB43_69
; %bb.68:                               ;   in Loop: Header=BB43_9 Depth=1
	v_cvt_f32_u32_e32 v3, s14
	s_sub_i32 s25, 0, s14
	s_delay_alu instid0(VALU_DEP_1) | instskip(SKIP_2) | instid1(VALU_DEP_1)
	v_rcp_iflag_f32_e32 v3, v3
	s_waitcnt_depctr 0xfff
	v_mul_f32_e32 v3, 0x4f7ffffe, v3
	v_cvt_u32_f32_e32 v3, v3
	s_delay_alu instid0(VALU_DEP_1) | instskip(NEXT) | instid1(VALU_DEP_1)
	v_mul_lo_u32 v4, s25, v3
	v_mul_hi_u32 v4, v3, v4
	s_delay_alu instid0(VALU_DEP_1) | instskip(NEXT) | instid1(VALU_DEP_1)
	v_add_nc_u32_e32 v3, v3, v4
	v_mul_hi_u32 v3, v0, v3
	s_delay_alu instid0(VALU_DEP_1) | instskip(NEXT) | instid1(VALU_DEP_1)
	v_mul_lo_u32 v3, v3, s14
	v_sub_nc_u32_e32 v0, v0, v3
	s_delay_alu instid0(VALU_DEP_1) | instskip(SKIP_1) | instid1(VALU_DEP_2)
	v_subrev_nc_u32_e32 v3, s14, v0
	v_cmp_le_u32_e32 vcc_lo, s14, v0
	v_cndmask_b32_e32 v0, v0, v3, vcc_lo
	s_delay_alu instid0(VALU_DEP_1) | instskip(SKIP_1) | instid1(VALU_DEP_2)
	v_subrev_nc_u32_e32 v3, s14, v0
	v_cmp_le_u32_e32 vcc_lo, s14, v0
	v_cndmask_b32_e32 v0, v0, v3, vcc_lo
.LBB43_69:                              ;   in Loop: Header=BB43_9 Depth=1
	s_or_b32 exec_lo, exec_lo, s24
	s_delay_alu instid0(VALU_DEP_1)
	v_add_nc_u32_e32 v0, s20, v0
	global_store_b16 v2, v0, s[12:13]
.LBB43_70:                              ;   in Loop: Header=BB43_9 Depth=1
	s_or_b32 exec_lo, exec_lo, s38
	v_add_co_u32 v3, vcc_lo, v15, s36
	v_add_co_ci_u32_e32 v4, vcc_lo, 0, v16, vcc_lo
	s_mov_b32 s38, exec_lo
	s_delay_alu instid0(VALU_DEP_1)
	v_cmpx_gt_i64_e64 s[16:17], v[3:4]
	s_cbranch_execz .LBB43_8
; %bb.71:                               ;   in Loop: Header=BB43_9 Depth=1
	s_and_not1_b32 vcc_lo, exec_lo, s11
	s_cbranch_vccnz .LBB43_77
; %bb.72:                               ;   in Loop: Header=BB43_9 Depth=1
	v_mov_b32_e32 v2, 0
	s_and_not1_b32 vcc_lo, exec_lo, s21
	s_cbranch_vccnz .LBB43_81
; %bb.73:                               ;   in Loop: Header=BB43_9 Depth=1
	s_and_not1_b32 vcc_lo, exec_lo, s34
	s_mov_b32 s24, 0
	s_cbranch_vccnz .LBB43_78
; %bb.74:                               ;   in Loop: Header=BB43_9 Depth=1
	v_mov_b32_e32 v2, 0
	v_mov_b32_e32 v0, v3
	s_mov_b32 s39, 0
	s_mov_b64 s[24:25], s[18:19]
	s_mov_b64 s[26:27], s[0:1]
.LBB43_75:                              ;   Parent Loop BB43_9 Depth=1
                                        ; =>  This Inner Loop Header: Depth=2
	s_clause 0x1
	s_load_b256 s[40:47], s[24:25], 0x4
	s_load_b128 s[48:51], s[24:25], 0x24
	s_load_b128 s[52:55], s[26:27], 0x0
	s_add_u32 s24, s24, 48
	s_addc_u32 s25, s25, 0
	s_add_i32 s39, s39, 4
	s_add_u32 s26, s26, 16
	s_addc_u32 s27, s27, 0
	s_cmp_eq_u32 s35, s39
	s_waitcnt lgkmcnt(0)
	v_mul_hi_u32 v4, s41, v0
	s_delay_alu instid0(VALU_DEP_1) | instskip(NEXT) | instid1(VALU_DEP_1)
	v_add_nc_u32_e32 v4, v0, v4
	v_lshrrev_b32_e32 v4, s42, v4
	s_delay_alu instid0(VALU_DEP_1) | instskip(SKIP_1) | instid1(VALU_DEP_2)
	v_mul_hi_u32 v9, s44, v4
	v_mul_lo_u32 v12, v4, s40
	v_add_nc_u32_e32 v9, v4, v9
	s_delay_alu instid0(VALU_DEP_2) | instskip(NEXT) | instid1(VALU_DEP_2)
	v_sub_nc_u32_e32 v12, v0, v12
	v_lshrrev_b32_e32 v9, s45, v9
	s_delay_alu instid0(VALU_DEP_2) | instskip(NEXT) | instid1(VALU_DEP_2)
	v_mul_lo_u32 v12, v12, s52
	v_mul_hi_u32 v10, s47, v9
	v_mul_lo_u32 v18, v9, s43
	s_delay_alu instid0(VALU_DEP_2) | instskip(NEXT) | instid1(VALU_DEP_2)
	v_add_nc_u32_e32 v10, v9, v10
	v_sub_nc_u32_e32 v4, v4, v18
	s_delay_alu instid0(VALU_DEP_2) | instskip(NEXT) | instid1(VALU_DEP_2)
	v_lshrrev_b32_e32 v10, s48, v10
	v_mul_lo_u32 v4, v4, s53
	s_delay_alu instid0(VALU_DEP_2) | instskip(NEXT) | instid1(VALU_DEP_2)
	v_mul_hi_u32 v11, s50, v10
	v_add3_u32 v2, v12, v2, v4
	s_delay_alu instid0(VALU_DEP_2) | instskip(NEXT) | instid1(VALU_DEP_1)
	v_add_nc_u32_e32 v11, v10, v11
	v_lshrrev_b32_e32 v0, s51, v11
	v_mul_lo_u32 v11, v10, s46
	s_delay_alu instid0(VALU_DEP_2) | instskip(NEXT) | instid1(VALU_DEP_2)
	v_mul_lo_u32 v42, v0, s49
	v_sub_nc_u32_e32 v9, v9, v11
	s_delay_alu instid0(VALU_DEP_2) | instskip(NEXT) | instid1(VALU_DEP_2)
	v_sub_nc_u32_e32 v10, v10, v42
	v_mul_lo_u32 v9, v9, s54
	s_delay_alu instid0(VALU_DEP_2) | instskip(NEXT) | instid1(VALU_DEP_1)
	v_mul_lo_u32 v10, v10, s55
	v_add3_u32 v2, v9, v2, v10
	s_cbranch_scc0 .LBB43_75
; %bb.76:                               ;   in Loop: Header=BB43_9 Depth=1
	s_mov_b32 s24, s35
	s_and_not1_b32 vcc_lo, exec_lo, s37
	s_cbranch_vccz .LBB43_79
	s_branch .LBB43_81
.LBB43_77:                              ;   in Loop: Header=BB43_9 Depth=1
                                        ; implicit-def: $vgpr2
	s_branch .LBB43_82
.LBB43_78:                              ;   in Loop: Header=BB43_9 Depth=1
	v_mov_b32_e32 v0, v3
	s_and_not1_b32 vcc_lo, exec_lo, s37
	s_cbranch_vccnz .LBB43_81
.LBB43_79:                              ;   in Loop: Header=BB43_9 Depth=1
	s_lshl_b32 s25, s24, 2
	s_mul_i32 s26, s24, 12
	s_add_u32 s24, s0, s25
	s_addc_u32 s25, s1, 0
	s_add_u32 s26, s18, s26
	s_addc_u32 s27, s19, 0
	s_mov_b32 s39, s33
	.p2align	6
.LBB43_80:                              ;   Parent Loop BB43_9 Depth=1
                                        ; =>  This Inner Loop Header: Depth=2
	s_clause 0x1
	s_load_b64 s[40:41], s[26:27], 0x4
	s_load_b32 s42, s[26:27], 0xc
	s_add_u32 s26, s26, 12
	s_addc_u32 s27, s27, 0
	s_waitcnt lgkmcnt(0)
	v_mul_hi_u32 v4, s41, v0
	s_load_b32 s41, s[24:25], 0x0
	s_add_u32 s24, s24, 4
	s_addc_u32 s25, s25, 0
	s_add_i32 s39, s39, -1
	s_delay_alu instid0(SALU_CYCLE_1) | instskip(NEXT) | instid1(VALU_DEP_1)
	s_cmp_lg_u32 s39, 0
	v_add_nc_u32_e32 v4, v0, v4
	s_delay_alu instid0(VALU_DEP_1) | instskip(NEXT) | instid1(VALU_DEP_1)
	v_lshrrev_b32_e32 v4, s42, v4
	v_mul_lo_u32 v9, v4, s40
	s_delay_alu instid0(VALU_DEP_1) | instskip(SKIP_1) | instid1(VALU_DEP_1)
	v_sub_nc_u32_e32 v0, v0, v9
	s_waitcnt lgkmcnt(0)
	v_mad_u64_u32 v[9:10], null, v0, s41, v[2:3]
	v_mov_b32_e32 v0, v4
	s_delay_alu instid0(VALU_DEP_2)
	v_mov_b32_e32 v2, v9
	s_cbranch_scc1 .LBB43_80
.LBB43_81:                              ;   in Loop: Header=BB43_9 Depth=1
	s_cbranch_execnz .LBB43_84
.LBB43_82:                              ;   in Loop: Header=BB43_9 Depth=1
	v_mul_hi_u32 v0, v3, s6
	s_and_not1_b32 vcc_lo, exec_lo, s4
	s_delay_alu instid0(VALU_DEP_1) | instskip(NEXT) | instid1(VALU_DEP_1)
	v_add_nc_u32_e32 v0, v0, v3
	v_lshrrev_b32_e32 v0, s7, v0
	s_delay_alu instid0(VALU_DEP_1) | instskip(NEXT) | instid1(VALU_DEP_1)
	v_mul_lo_u32 v2, v0, s5
	v_sub_nc_u32_e32 v2, v3, v2
	s_delay_alu instid0(VALU_DEP_1)
	v_mul_lo_u32 v2, v2, s22
	s_cbranch_vccnz .LBB43_84
; %bb.83:                               ;   in Loop: Header=BB43_9 Depth=1
	v_mul_hi_u32 v3, s9, v0
	s_delay_alu instid0(VALU_DEP_1) | instskip(NEXT) | instid1(VALU_DEP_1)
	v_add_nc_u32_e32 v3, v0, v3
	v_lshrrev_b32_e32 v3, s10, v3
	s_delay_alu instid0(VALU_DEP_1) | instskip(NEXT) | instid1(VALU_DEP_1)
	v_mul_lo_u32 v3, v3, s8
	v_sub_nc_u32_e32 v0, v0, v3
	s_delay_alu instid0(VALU_DEP_1) | instskip(NEXT) | instid1(VALU_DEP_1)
	v_mad_u64_u32 v[3:4], null, v0, s23, v[2:3]
	v_mov_b32_e32 v2, v3
.LBB43_84:                              ;   in Loop: Header=BB43_9 Depth=1
	v_mov_b32_e32 v0, v5
	s_mov_b32 s24, exec_lo
	s_delay_alu instid0(VALU_DEP_1)
	v_cmpx_le_u64_e64 s[14:15], v[0:1]
	s_cbranch_execz .LBB43_7
; %bb.85:                               ;   in Loop: Header=BB43_9 Depth=1
	v_cvt_f32_u32_e32 v3, s14
	s_sub_i32 s25, 0, s14
	s_delay_alu instid0(VALU_DEP_1) | instskip(SKIP_2) | instid1(VALU_DEP_1)
	v_rcp_iflag_f32_e32 v3, v3
	s_waitcnt_depctr 0xfff
	v_mul_f32_e32 v3, 0x4f7ffffe, v3
	v_cvt_u32_f32_e32 v3, v3
	s_delay_alu instid0(VALU_DEP_1) | instskip(NEXT) | instid1(VALU_DEP_1)
	v_mul_lo_u32 v4, s25, v3
	v_mul_hi_u32 v4, v3, v4
	s_delay_alu instid0(VALU_DEP_1) | instskip(NEXT) | instid1(VALU_DEP_1)
	v_add_nc_u32_e32 v3, v3, v4
	v_mul_hi_u32 v3, v0, v3
	s_delay_alu instid0(VALU_DEP_1) | instskip(NEXT) | instid1(VALU_DEP_1)
	v_mul_lo_u32 v3, v3, s14
	v_sub_nc_u32_e32 v0, v0, v3
	s_delay_alu instid0(VALU_DEP_1) | instskip(SKIP_1) | instid1(VALU_DEP_2)
	v_subrev_nc_u32_e32 v3, s14, v0
	v_cmp_le_u32_e32 vcc_lo, s14, v0
	v_cndmask_b32_e32 v0, v0, v3, vcc_lo
	s_delay_alu instid0(VALU_DEP_1) | instskip(SKIP_1) | instid1(VALU_DEP_2)
	v_subrev_nc_u32_e32 v3, s14, v0
	v_cmp_le_u32_e32 vcc_lo, s14, v0
	v_cndmask_b32_e32 v0, v0, v3, vcc_lo
	s_branch .LBB43_7
.LBB43_86:
	s_endpgm
.LBB43_87:
                                        ; implicit-def: $sgpr2_sgpr3
	s_branch .LBB43_4
	.section	.rodata,"a",@progbits
	.p2align	6, 0x0
	.amdhsa_kernel _ZN2at6native12_GLOBAL__N_143distribution_elementwise_grid_stride_kernelIjLi4EZZZNS0_9templates4cuda21random_from_to_kernelIPNS_17CUDAGeneratorImplEEEvRNS_18TensorIteratorBaseEmlT_ENKUlvE_clEvENKUlvE9_clEvEUlP25hiprandStatePhilox4_32_10E0_ZNS1_27distribution_nullary_kernelItj15HIP_vector_typeIjLj4EES7_SF_ZZZNS5_IS7_EEvS9_mlSA_ENKSB_clEvENKSC_clEvEUljE_EEvS9_T2_RKT3_T4_EUlijE0_EEvlNS_15PhiloxCudaStateET1_SK_
		.amdhsa_group_segment_fixed_size 0
		.amdhsa_private_segment_fixed_size 0
		.amdhsa_kernarg_size 592
		.amdhsa_user_sgpr_count 15
		.amdhsa_user_sgpr_dispatch_ptr 0
		.amdhsa_user_sgpr_queue_ptr 0
		.amdhsa_user_sgpr_kernarg_segment_ptr 1
		.amdhsa_user_sgpr_dispatch_id 0
		.amdhsa_user_sgpr_private_segment_size 0
		.amdhsa_wavefront_size32 1
		.amdhsa_uses_dynamic_stack 0
		.amdhsa_enable_private_segment 0
		.amdhsa_system_sgpr_workgroup_id_x 1
		.amdhsa_system_sgpr_workgroup_id_y 0
		.amdhsa_system_sgpr_workgroup_id_z 0
		.amdhsa_system_sgpr_workgroup_info 0
		.amdhsa_system_vgpr_workitem_id 0
		.amdhsa_next_free_vgpr 45
		.amdhsa_next_free_sgpr 56
		.amdhsa_reserve_vcc 1
		.amdhsa_float_round_mode_32 0
		.amdhsa_float_round_mode_16_64 0
		.amdhsa_float_denorm_mode_32 3
		.amdhsa_float_denorm_mode_16_64 3
		.amdhsa_dx10_clamp 1
		.amdhsa_ieee_mode 1
		.amdhsa_fp16_overflow 0
		.amdhsa_workgroup_processor_mode 1
		.amdhsa_memory_ordered 1
		.amdhsa_forward_progress 0
		.amdhsa_shared_vgpr_count 0
		.amdhsa_exception_fp_ieee_invalid_op 0
		.amdhsa_exception_fp_denorm_src 0
		.amdhsa_exception_fp_ieee_div_zero 0
		.amdhsa_exception_fp_ieee_overflow 0
		.amdhsa_exception_fp_ieee_underflow 0
		.amdhsa_exception_fp_ieee_inexact 0
		.amdhsa_exception_int_div_zero 0
	.end_amdhsa_kernel
	.section	.text._ZN2at6native12_GLOBAL__N_143distribution_elementwise_grid_stride_kernelIjLi4EZZZNS0_9templates4cuda21random_from_to_kernelIPNS_17CUDAGeneratorImplEEEvRNS_18TensorIteratorBaseEmlT_ENKUlvE_clEvENKUlvE9_clEvEUlP25hiprandStatePhilox4_32_10E0_ZNS1_27distribution_nullary_kernelItj15HIP_vector_typeIjLj4EES7_SF_ZZZNS5_IS7_EEvS9_mlSA_ENKSB_clEvENKSC_clEvEUljE_EEvS9_T2_RKT3_T4_EUlijE0_EEvlNS_15PhiloxCudaStateET1_SK_,"axG",@progbits,_ZN2at6native12_GLOBAL__N_143distribution_elementwise_grid_stride_kernelIjLi4EZZZNS0_9templates4cuda21random_from_to_kernelIPNS_17CUDAGeneratorImplEEEvRNS_18TensorIteratorBaseEmlT_ENKUlvE_clEvENKUlvE9_clEvEUlP25hiprandStatePhilox4_32_10E0_ZNS1_27distribution_nullary_kernelItj15HIP_vector_typeIjLj4EES7_SF_ZZZNS5_IS7_EEvS9_mlSA_ENKSB_clEvENKSC_clEvEUljE_EEvS9_T2_RKT3_T4_EUlijE0_EEvlNS_15PhiloxCudaStateET1_SK_,comdat
.Lfunc_end43:
	.size	_ZN2at6native12_GLOBAL__N_143distribution_elementwise_grid_stride_kernelIjLi4EZZZNS0_9templates4cuda21random_from_to_kernelIPNS_17CUDAGeneratorImplEEEvRNS_18TensorIteratorBaseEmlT_ENKUlvE_clEvENKUlvE9_clEvEUlP25hiprandStatePhilox4_32_10E0_ZNS1_27distribution_nullary_kernelItj15HIP_vector_typeIjLj4EES7_SF_ZZZNS5_IS7_EEvS9_mlSA_ENKSB_clEvENKSC_clEvEUljE_EEvS9_T2_RKT3_T4_EUlijE0_EEvlNS_15PhiloxCudaStateET1_SK_, .Lfunc_end43-_ZN2at6native12_GLOBAL__N_143distribution_elementwise_grid_stride_kernelIjLi4EZZZNS0_9templates4cuda21random_from_to_kernelIPNS_17CUDAGeneratorImplEEEvRNS_18TensorIteratorBaseEmlT_ENKUlvE_clEvENKUlvE9_clEvEUlP25hiprandStatePhilox4_32_10E0_ZNS1_27distribution_nullary_kernelItj15HIP_vector_typeIjLj4EES7_SF_ZZZNS5_IS7_EEvS9_mlSA_ENKSB_clEvENKSC_clEvEUljE_EEvS9_T2_RKT3_T4_EUlijE0_EEvlNS_15PhiloxCudaStateET1_SK_
                                        ; -- End function
	.section	.AMDGPU.csdata,"",@progbits
; Kernel info:
; codeLenInByte = 5748
; NumSgprs: 58
; NumVgprs: 45
; ScratchSize: 0
; MemoryBound: 0
; FloatMode: 240
; IeeeMode: 1
; LDSByteSize: 0 bytes/workgroup (compile time only)
; SGPRBlocks: 7
; VGPRBlocks: 5
; NumSGPRsForWavesPerEU: 58
; NumVGPRsForWavesPerEU: 45
; Occupancy: 16
; WaveLimiterHint : 1
; COMPUTE_PGM_RSRC2:SCRATCH_EN: 0
; COMPUTE_PGM_RSRC2:USER_SGPR: 15
; COMPUTE_PGM_RSRC2:TRAP_HANDLER: 0
; COMPUTE_PGM_RSRC2:TGID_X_EN: 1
; COMPUTE_PGM_RSRC2:TGID_Y_EN: 0
; COMPUTE_PGM_RSRC2:TGID_Z_EN: 0
; COMPUTE_PGM_RSRC2:TIDIG_COMP_CNT: 0
	.section	.text._ZN2at6native12_GLOBAL__N_143distribution_elementwise_grid_stride_kernelImLi2EZZZNS0_9templates4cuda21random_from_to_kernelIPNS_17CUDAGeneratorImplEEEvRNS_18TensorIteratorBaseEmlT_ENKUlvE_clEvENKUlvE10_clEvEUlP25hiprandStatePhilox4_32_10E_ZNS1_27distribution_nullary_kernelIjm15HIP_vector_typeIyLj2EES7_SF_ZZZNS5_IS7_EEvS9_mlSA_ENKSB_clEvENKSC_clEvEUlmE_EEvS9_T2_RKT3_T4_EUlimE_EEvlNS_15PhiloxCudaStateET1_SK_,"axG",@progbits,_ZN2at6native12_GLOBAL__N_143distribution_elementwise_grid_stride_kernelImLi2EZZZNS0_9templates4cuda21random_from_to_kernelIPNS_17CUDAGeneratorImplEEEvRNS_18TensorIteratorBaseEmlT_ENKUlvE_clEvENKUlvE10_clEvEUlP25hiprandStatePhilox4_32_10E_ZNS1_27distribution_nullary_kernelIjm15HIP_vector_typeIyLj2EES7_SF_ZZZNS5_IS7_EEvS9_mlSA_ENKSB_clEvENKSC_clEvEUlmE_EEvS9_T2_RKT3_T4_EUlimE_EEvlNS_15PhiloxCudaStateET1_SK_,comdat
	.globl	_ZN2at6native12_GLOBAL__N_143distribution_elementwise_grid_stride_kernelImLi2EZZZNS0_9templates4cuda21random_from_to_kernelIPNS_17CUDAGeneratorImplEEEvRNS_18TensorIteratorBaseEmlT_ENKUlvE_clEvENKUlvE10_clEvEUlP25hiprandStatePhilox4_32_10E_ZNS1_27distribution_nullary_kernelIjm15HIP_vector_typeIyLj2EES7_SF_ZZZNS5_IS7_EEvS9_mlSA_ENKSB_clEvENKSC_clEvEUlmE_EEvS9_T2_RKT3_T4_EUlimE_EEvlNS_15PhiloxCudaStateET1_SK_ ; -- Begin function _ZN2at6native12_GLOBAL__N_143distribution_elementwise_grid_stride_kernelImLi2EZZZNS0_9templates4cuda21random_from_to_kernelIPNS_17CUDAGeneratorImplEEEvRNS_18TensorIteratorBaseEmlT_ENKUlvE_clEvENKUlvE10_clEvEUlP25hiprandStatePhilox4_32_10E_ZNS1_27distribution_nullary_kernelIjm15HIP_vector_typeIyLj2EES7_SF_ZZZNS5_IS7_EEvS9_mlSA_ENKSB_clEvENKSC_clEvEUlmE_EEvS9_T2_RKT3_T4_EUlimE_EEvlNS_15PhiloxCudaStateET1_SK_
	.p2align	8
	.type	_ZN2at6native12_GLOBAL__N_143distribution_elementwise_grid_stride_kernelImLi2EZZZNS0_9templates4cuda21random_from_to_kernelIPNS_17CUDAGeneratorImplEEEvRNS_18TensorIteratorBaseEmlT_ENKUlvE_clEvENKUlvE10_clEvEUlP25hiprandStatePhilox4_32_10E_ZNS1_27distribution_nullary_kernelIjm15HIP_vector_typeIyLj2EES7_SF_ZZZNS5_IS7_EEvS9_mlSA_ENKSB_clEvENKSC_clEvEUlmE_EEvS9_T2_RKT3_T4_EUlimE_EEvlNS_15PhiloxCudaStateET1_SK_,@function
_ZN2at6native12_GLOBAL__N_143distribution_elementwise_grid_stride_kernelImLi2EZZZNS0_9templates4cuda21random_from_to_kernelIPNS_17CUDAGeneratorImplEEEvRNS_18TensorIteratorBaseEmlT_ENKUlvE_clEvENKUlvE10_clEvEUlP25hiprandStatePhilox4_32_10E_ZNS1_27distribution_nullary_kernelIjm15HIP_vector_typeIyLj2EES7_SF_ZZZNS5_IS7_EEvS9_mlSA_ENKSB_clEvENKSC_clEvEUlmE_EEvS9_T2_RKT3_T4_EUlimE_EEvlNS_15PhiloxCudaStateET1_SK_: ; @_ZN2at6native12_GLOBAL__N_143distribution_elementwise_grid_stride_kernelImLi2EZZZNS0_9templates4cuda21random_from_to_kernelIPNS_17CUDAGeneratorImplEEEvRNS_18TensorIteratorBaseEmlT_ENKUlvE_clEvENKUlvE10_clEvEUlP25hiprandStatePhilox4_32_10E_ZNS1_27distribution_nullary_kernelIjm15HIP_vector_typeIyLj2EES7_SF_ZZZNS5_IS7_EEvS9_mlSA_ENKSB_clEvENKSC_clEvEUlmE_EEvS9_T2_RKT3_T4_EUlimE_EEvlNS_15PhiloxCudaStateET1_SK_
; %bb.0:
	s_clause 0x2
	s_load_b64 s[8:9], s[0:1], 0x10
	s_load_b128 s[4:7], s[0:1], 0x0
	s_load_b32 s2, s[0:1], 0x20
	s_waitcnt lgkmcnt(0)
	v_dual_mov_b32 v2, s8 :: v_dual_mov_b32 v3, s9
	v_dual_mov_b32 v12, s7 :: v_dual_mov_b32 v11, s6
	s_bitcmp0_b32 s2, 0
	s_mov_b32 s2, 0
	s_cbranch_scc1 .LBB44_2
; %bb.1:
	v_dual_mov_b32 v1, s8 :: v_dual_mov_b32 v2, s9
	v_dual_mov_b32 v4, s6 :: v_dual_mov_b32 v5, s7
	s_load_b64 s[6:7], s[0:1], 0x18
	flat_load_b64 v[2:3], v[1:2]
	flat_load_b64 v[11:12], v[4:5]
	s_waitcnt vmcnt(1) lgkmcnt(0)
	v_add_co_u32 v2, vcc_lo, v2, s6
	v_add_co_ci_u32_e32 v3, vcc_lo, s7, v3, vcc_lo
.LBB44_2:
	s_clause 0x1
	s_load_b32 s3, s[0:1], 0x5c
	s_load_b32 s16, s[0:1], 0x50
	s_waitcnt lgkmcnt(0)
	s_and_b32 s14, s3, 0xffff
	s_add_u32 s6, s4, -1
	s_mul_i32 s12, s16, s14
	s_addc_u32 s3, s5, -1
	s_lshl_b32 s13, s12, 1
	s_cmp_lg_u64 s[2:3], 0
	s_cbranch_scc0 .LBB44_31
; %bb.3:
	v_cvt_f32_ubyte0_e32 v1, 0
	v_cvt_f32_u32_e32 v4, s13
	s_sub_u32 s8, 0, s13
	s_subb_u32 s9, 0, 0
	s_delay_alu instid0(VALU_DEP_1) | instskip(NEXT) | instid1(VALU_DEP_1)
	v_fmamk_f32 v1, v1, 0x4f800000, v4
	v_rcp_f32_e32 v1, v1
	s_waitcnt_depctr 0xfff
	v_mul_f32_e32 v1, 0x5f7ffffc, v1
	s_delay_alu instid0(VALU_DEP_1) | instskip(NEXT) | instid1(VALU_DEP_1)
	v_mul_f32_e32 v4, 0x2f800000, v1
	v_trunc_f32_e32 v4, v4
	s_delay_alu instid0(VALU_DEP_1) | instskip(SKIP_1) | instid1(VALU_DEP_2)
	v_fmamk_f32 v1, v4, 0xcf800000, v1
	v_cvt_u32_f32_e32 v4, v4
	v_cvt_u32_f32_e32 v1, v1
	s_delay_alu instid0(VALU_DEP_2) | instskip(NEXT) | instid1(VALU_DEP_2)
	v_readfirstlane_b32 s2, v4
	v_readfirstlane_b32 s7, v1
	s_delay_alu instid0(VALU_DEP_2) | instskip(NEXT) | instid1(VALU_DEP_1)
	s_mul_i32 s10, s8, s2
	s_mul_hi_u32 s17, s8, s7
	s_mul_i32 s11, s9, s7
	s_add_i32 s10, s17, s10
	s_mul_i32 s18, s8, s7
	s_add_i32 s10, s10, s11
	s_mul_hi_u32 s17, s7, s18
	s_mul_hi_u32 s19, s2, s18
	s_mul_i32 s11, s2, s18
	s_mul_hi_u32 s18, s7, s10
	s_mul_i32 s7, s7, s10
	s_mul_hi_u32 s20, s2, s10
	s_add_u32 s7, s17, s7
	s_addc_u32 s17, 0, s18
	s_add_u32 s7, s7, s11
	s_mul_i32 s10, s2, s10
	s_addc_u32 s7, s17, s19
	s_addc_u32 s11, s20, 0
	s_add_u32 s7, s7, s10
	s_addc_u32 s10, 0, s11
	v_add_co_u32 v1, s7, v1, s7
	s_delay_alu instid0(VALU_DEP_1) | instskip(SKIP_1) | instid1(VALU_DEP_1)
	s_cmp_lg_u32 s7, 0
	s_addc_u32 s2, s2, s10
	v_readfirstlane_b32 s7, v1
	s_mul_i32 s10, s8, s2
	s_delay_alu instid0(VALU_DEP_1)
	s_mul_hi_u32 s11, s8, s7
	s_mul_i32 s9, s9, s7
	s_add_i32 s10, s11, s10
	s_mul_i32 s8, s8, s7
	s_add_i32 s10, s10, s9
	s_mul_hi_u32 s11, s2, s8
	s_mul_i32 s17, s2, s8
	s_mul_hi_u32 s8, s7, s8
	s_mul_hi_u32 s18, s7, s10
	s_mul_i32 s7, s7, s10
	s_mul_hi_u32 s9, s2, s10
	s_add_u32 s7, s8, s7
	s_addc_u32 s8, 0, s18
	s_add_u32 s7, s7, s17
	s_mul_i32 s10, s2, s10
	s_addc_u32 s7, s8, s11
	s_addc_u32 s8, s9, 0
	s_add_u32 s7, s7, s10
	s_addc_u32 s8, 0, s8
	v_add_co_u32 v1, s7, v1, s7
	s_delay_alu instid0(VALU_DEP_1) | instskip(SKIP_2) | instid1(VALU_DEP_1)
	s_cmp_lg_u32 s7, 0
	s_addc_u32 s7, s2, s8
	s_ashr_i32 s8, s3, 31
	v_readfirstlane_b32 s10, v1
	s_add_u32 s2, s6, s8
	s_mov_b32 s9, s8
	s_addc_u32 s3, s3, s8
	s_delay_alu instid0(SALU_CYCLE_1) | instskip(NEXT) | instid1(SALU_CYCLE_1)
	s_xor_b64 s[2:3], s[2:3], s[8:9]
	s_mul_i32 s17, s2, s7
	s_mul_hi_u32 s18, s2, s10
	s_mul_hi_u32 s11, s2, s7
	s_mul_hi_u32 s20, s3, s10
	s_mul_i32 s10, s3, s10
	s_add_u32 s17, s18, s17
	s_addc_u32 s11, 0, s11
	s_mul_hi_u32 s19, s3, s7
	s_add_u32 s10, s17, s10
	s_mul_i32 s7, s3, s7
	s_addc_u32 s10, s11, s20
	s_addc_u32 s11, s19, 0
	s_add_u32 s7, s10, s7
	s_addc_u32 s10, 0, s11
	s_mul_i32 s17, s13, s7
	s_add_u32 s11, s7, 1
	v_sub_co_u32 v1, s2, s2, s17
	s_mul_hi_u32 s17, s13, s7
	s_addc_u32 s18, s10, 0
	s_mul_i32 s19, s13, s10
	s_delay_alu instid0(VALU_DEP_1)
	v_sub_co_u32 v4, s20, v1, s13
	s_add_u32 s21, s7, 2
	s_addc_u32 s22, s10, 0
	s_add_i32 s17, s17, s19
	s_cmp_lg_u32 s2, 0
	v_readfirstlane_b32 s2, v4
	s_subb_u32 s3, s3, s17
	s_cmp_lg_u32 s20, 0
	s_subb_u32 s17, s3, 0
	s_delay_alu instid0(VALU_DEP_1) | instskip(SKIP_4) | instid1(SALU_CYCLE_1)
	s_cmp_ge_u32 s2, s13
	s_cselect_b32 s2, -1, 0
	s_cmp_eq_u32 s17, 0
	v_readfirstlane_b32 s17, v1
	s_cselect_b32 s2, s2, -1
	s_cmp_lg_u32 s2, 0
	s_cselect_b32 s2, s21, s11
	s_cselect_b32 s11, s22, s18
	s_cmp_ge_u32 s17, s13
	s_cselect_b32 s17, -1, 0
	s_cmp_eq_u32 s3, 0
	s_cselect_b32 s3, s17, -1
	s_delay_alu instid0(SALU_CYCLE_1) | instskip(SKIP_2) | instid1(SALU_CYCLE_1)
	s_cmp_lg_u32 s3, 0
	s_cselect_b32 s3, s11, s10
	s_cselect_b32 s2, s2, s7
	s_xor_b64 s[2:3], s[2:3], s[8:9]
	s_delay_alu instid0(SALU_CYCLE_1)
	s_sub_u32 s2, s2, s8
	s_subb_u32 s3, s3, s8
	s_cbranch_execnz .LBB44_5
.LBB44_4:
	v_cvt_f32_u32_e32 v1, s13
	s_sub_i32 s3, 0, s13
	s_delay_alu instid0(VALU_DEP_1) | instskip(SKIP_2) | instid1(VALU_DEP_1)
	v_rcp_iflag_f32_e32 v1, v1
	s_waitcnt_depctr 0xfff
	v_mul_f32_e32 v1, 0x4f7ffffe, v1
	v_cvt_u32_f32_e32 v1, v1
	s_delay_alu instid0(VALU_DEP_1) | instskip(NEXT) | instid1(VALU_DEP_1)
	v_readfirstlane_b32 s2, v1
	s_mul_i32 s3, s3, s2
	s_delay_alu instid0(SALU_CYCLE_1) | instskip(NEXT) | instid1(SALU_CYCLE_1)
	s_mul_hi_u32 s3, s2, s3
	s_add_i32 s2, s2, s3
	s_delay_alu instid0(SALU_CYCLE_1) | instskip(NEXT) | instid1(SALU_CYCLE_1)
	s_mul_hi_u32 s2, s6, s2
	s_mul_i32 s3, s2, s13
	s_delay_alu instid0(SALU_CYCLE_1)
	s_sub_i32 s3, s6, s3
	s_add_i32 s6, s2, 1
	s_sub_i32 s7, s3, s13
	s_cmp_ge_u32 s3, s13
	s_cselect_b32 s2, s6, s2
	s_cselect_b32 s3, s7, s3
	s_add_i32 s6, s2, 1
	s_cmp_ge_u32 s3, s13
	s_mov_b32 s3, 0
	s_cselect_b32 s2, s6, s2
.LBB44_5:
	v_mov_b32_e32 v13, 0
	s_add_u32 s2, s2, 1
	s_addc_u32 s3, s3, 0
	s_mul_hi_u32 s6, s16, s14
	s_mul_hi_u32 s7, s12, s2
	v_mov_b32_e32 v1, v13
	s_mul_i32 s3, s12, s3
	s_mul_i32 s6, s6, s2
	s_add_i32 s3, s7, s3
	s_mul_i32 s2, s12, s2
	v_mad_u64_u32 v[15:16], null, s14, s15, v[0:1]
	s_add_i32 s3, s3, s6
	s_mov_b32 s6, exec_lo
	s_lshl_b64 s[2:3], s[2:3], 1
	s_delay_alu instid0(VALU_DEP_1) | instid1(SALU_CYCLE_1)
	v_cmpx_gt_i64_e64 s[2:3], v[15:16]
	s_cbranch_execz .LBB44_30
; %bb.6:
	v_alignbit_b32 v19, v3, v2, 2
	v_mad_u64_u32 v[6:7], null, 0xcd9e8d57, v15, 0
	v_lshrrev_b32_e32 v20, 2, v3
	s_waitcnt vmcnt(0)
	v_dual_mov_b32 v14, v12 :: v_dual_and_b32 v35, 3, v2
	v_mad_u64_u32 v[4:5], null, 0xd2511f53, v19, 0
	v_add_co_u32 v22, null, 0x9e3779b9, v11
	v_xor3_b32 v3, v11, v7, v20
	s_delay_alu instid0(VALU_DEP_4) | instskip(SKIP_2) | instid1(VALU_DEP_4)
	v_add_co_u32 v21, null, 0xbb67ae85, v14
	v_add_co_u32 v23, null, 0x3c6ef372, v11
	v_xor_b32_e32 v1, v5, v12
	v_mad_u64_u32 v[7:8], null, 0xd2511f53, v3, 0
	v_add_co_u32 v24, null, 0x76cf5d0a, v14
	s_delay_alu instid0(VALU_DEP_3) | instskip(SKIP_2) | instid1(VALU_DEP_3)
	v_xor_b32_e32 v1, v1, v16
	v_add_co_u32 v25, null, 0x32370b8f, v14
	v_add_co_u32 v26, null, 0xdaa66d2b, v11
	v_mad_u64_u32 v[9:10], null, 0xcd9e8d57, v1, 0
	v_xor3_b32 v1, v21, v8, v4
	v_add_co_u32 v27, null, 0x78dde6e4, v11
	v_add_co_u32 v28, null, 0xed9eba14, v14
	s_delay_alu instid0(VALU_DEP_3) | instskip(SKIP_3) | instid1(VALU_DEP_3)
	v_mad_u64_u32 v[3:4], null, 0xcd9e8d57, v1, 0
	v_xor3_b32 v8, v22, v10, v6
	v_add_co_u32 v29, null, 0xa9066899, v14
	v_add_co_u32 v30, null, 0x1715609d, v11
	v_mad_u64_u32 v[5:6], null, 0xd2511f53, v8, 0
	v_xor3_b32 v1, v23, v4, v9
	v_add_co_u32 v31, null, 0xb54cda56, v11
	v_add_co_u32 v32, null, 0x646e171e, v14
	;; [unrolled: 1-line block ×3, first 2 shown]
	v_xor3_b32 v4, v24, v6, v7
	v_mad_u64_u32 v[6:7], null, 0xd2511f53, v1, 0
	v_add_co_u32 v34, null, 0x5384540f, v11
	s_delay_alu instid0(VALU_DEP_3)
	v_mad_u64_u32 v[8:9], null, 0xcd9e8d57, v4, 0
	s_clause 0x2
	s_load_b64 s[6:7], s[0:1], 0x30
	s_load_b32 s17, s[0:1], 0x38
	s_load_b128 s[8:11], s[0:1], 0x40
	v_add_co_u32 v37, null, 0xf1bbcdc8, v11
	v_xor3_b32 v1, v25, v7, v5
	v_add_co_u32 v38, null, 0xdb3d7428, v14
	v_xor3_b32 v5, v26, v9, v3
	v_dual_mov_b32 v40, v15 :: v_dual_add_nc_u32 v39, 0x96a522ad, v12
	s_delay_alu instid0(VALU_DEP_4) | instskip(NEXT) | instid1(VALU_DEP_3)
	v_mad_u64_u32 v[3:4], null, 0xcd9e8d57, v1, 0
	v_mad_u64_u32 v[9:10], null, 0xd2511f53, v5, 0
	v_mov_b32_e32 v43, v16
	s_mov_b32 s1, 0
	s_delay_alu instid0(VALU_DEP_3) | instskip(NEXT) | instid1(VALU_DEP_3)
	v_xor3_b32 v1, v27, v4, v8
	v_xor3_b32 v8, v28, v10, v6
	s_waitcnt lgkmcnt(0)
	s_mul_i32 s0, s16, s17
	s_delay_alu instid0(VALU_DEP_2) | instskip(NEXT) | instid1(VALU_DEP_2)
	v_mad_u64_u32 v[4:5], null, 0xd2511f53, v1, 0
	v_mad_u64_u32 v[6:7], null, 0xcd9e8d57, v8, 0
	s_mul_i32 s0, s0, s14
	s_delay_alu instid0(SALU_CYCLE_1) | instskip(NEXT) | instid1(VALU_DEP_2)
	s_lshl_b32 s11, s0, 1
	v_xor3_b32 v1, v29, v5, v9
	s_delay_alu instid0(VALU_DEP_2) | instskip(NEXT) | instid1(VALU_DEP_2)
	v_xor3_b32 v3, v30, v7, v3
	v_mad_u64_u32 v[7:8], null, 0xcd9e8d57, v1, 0
	s_delay_alu instid0(VALU_DEP_2) | instskip(NEXT) | instid1(VALU_DEP_2)
	v_mad_u64_u32 v[9:10], null, 0xd2511f53, v3, 0
	v_xor3_b32 v1, v31, v8, v6
	s_delay_alu instid0(VALU_DEP_2) | instskip(NEXT) | instid1(VALU_DEP_2)
	v_xor3_b32 v8, v32, v10, v4
	v_mad_u64_u32 v[3:4], null, 0xd2511f53, v1, 0
	s_delay_alu instid0(VALU_DEP_2) | instskip(NEXT) | instid1(VALU_DEP_2)
	v_mad_u64_u32 v[5:6], null, 0xcd9e8d57, v8, 0
	v_xor3_b32 v1, v33, v4, v9
	s_delay_alu instid0(VALU_DEP_2) | instskip(NEXT) | instid1(VALU_DEP_2)
	v_xor3_b32 v2, v34, v6, v7
	v_mad_u64_u32 v[6:7], null, 0xcd9e8d57, v1, 0
	s_delay_alu instid0(VALU_DEP_2) | instskip(SKIP_2) | instid1(VALU_DEP_3)
	v_mad_u64_u32 v[8:9], null, 0xd2511f53, v2, 0
	v_mad_u64_u32 v[17:18], null, s15, s14, v[0:1]
	s_add_i32 s15, s15, s16
	v_xor3_b32 v1, v37, v7, v5
	s_delay_alu instid0(VALU_DEP_3) | instskip(NEXT) | instid1(VALU_DEP_3)
	v_xor3_b32 v7, v38, v9, v3
	v_mul_lo_u32 v41, s17, v17
	s_delay_alu instid0(VALU_DEP_3) | instskip(SKIP_1) | instid1(VALU_DEP_4)
	v_mad_u64_u32 v[3:4], null, s15, s14, v[0:1]
	v_mad_u64_u32 v[4:5], null, 0xd2511f53, v1, 0
	;; [unrolled: 1-line block ×3, first 2 shown]
	v_add_nc_u32_e32 v36, 0x8ff34781, v11
	s_mov_b32 s14, 0
	s_delay_alu instid0(VALU_DEP_4) | instskip(NEXT) | instid1(VALU_DEP_4)
	v_mul_lo_u32 v42, s17, v3
	v_mov_b32_e32 v3, v4
	s_delay_alu instid0(VALU_DEP_3)
	v_xor3_b32 v0, v2, v6, v36
	v_xor3_b32 v2, v5, v8, v39
	s_branch .LBB44_9
.LBB44_7:                               ;   in Loop: Header=BB44_9 Depth=1
	s_or_b32 exec_lo, exec_lo, s0
	v_add_nc_u32_e32 v0, s14, v42
	s_delay_alu instid0(VALU_DEP_2) | instskip(NEXT) | instid1(VALU_DEP_2)
	v_add_nc_u32_e32 v2, s10, v7
	v_ashrrev_i32_e32 v1, 31, v0
	v_add_co_u32 v0, vcc_lo, s6, v0
	s_delay_alu instid0(VALU_DEP_2)
	v_add_co_ci_u32_e32 v1, vcc_lo, s7, v1, vcc_lo
	global_store_b32 v[0:1], v2, off
.LBB44_8:                               ;   in Loop: Header=BB44_9 Depth=1
	s_or_b32 exec_lo, exec_lo, s15
	v_add_co_u32 v15, vcc_lo, v15, s13
	v_add_co_ci_u32_e32 v16, vcc_lo, 0, v16, vcc_lo
	v_mov_b32_e32 v7, v17
	v_dual_mov_b32 v0, v4 :: v_dual_mov_b32 v1, v5
	s_delay_alu instid0(VALU_DEP_3) | instskip(NEXT) | instid1(VALU_DEP_3)
	v_cmp_le_i64_e32 vcc_lo, s[2:3], v[15:16]
	v_dual_mov_b32 v2, v6 :: v_dual_mov_b32 v3, v7
	s_add_i32 s14, s14, s11
	s_waitcnt_vscnt null, 0x0
	s_barrier
	s_or_b32 s1, vcc_lo, s1
	buffer_gl0_inv
	s_and_not1_b32 exec_lo, exec_lo, s1
	s_cbranch_execz .LBB44_30
.LBB44_9:                               ; =>This Inner Loop Header: Depth=1
	v_add_co_u32 v19, vcc_lo, v19, 1
	s_delay_alu instid0(VALU_DEP_1) | instskip(SKIP_2) | instid1(VALU_DEP_1)
	v_cndmask_b32_e64 v4, 0, 1, vcc_lo
	v_add_co_ci_u32_e32 v20, vcc_lo, 0, v20, vcc_lo
	s_mov_b32 s0, exec_lo
	v_cmp_eq_u32_e32 vcc_lo, 0, v20
	s_delay_alu instid0(VALU_DEP_3) | instskip(NEXT) | instid1(VALU_DEP_1)
	v_cndmask_b32_e32 v4, 0, v4, vcc_lo
	v_add_nc_u32_e32 v40, v4, v40
	s_delay_alu instid0(VALU_DEP_1) | instskip(SKIP_2) | instid1(VALU_DEP_2)
	v_cmp_eq_u32_e32 vcc_lo, 0, v40
	v_mad_u64_u32 v[6:7], null, 0xcd9e8d57, v40, 0
	v_cndmask_b32_e32 v4, 0, v4, vcc_lo
	v_xor3_b32 v9, v7, v11, v20
	s_delay_alu instid0(VALU_DEP_2) | instskip(SKIP_1) | instid1(VALU_DEP_3)
	v_add_nc_u32_e32 v43, v4, v43
	v_mad_u64_u32 v[4:5], null, 0xd2511f53, v19, 0
	v_mad_u64_u32 v[7:8], null, 0xd2511f53, v9, 0
	s_delay_alu instid0(VALU_DEP_2) | instskip(NEXT) | instid1(VALU_DEP_2)
	v_xor_b32_e32 v5, v5, v12
	v_xor3_b32 v8, v21, v8, v4
	s_delay_alu instid0(VALU_DEP_2) | instskip(NEXT) | instid1(VALU_DEP_1)
	v_xor_b32_e32 v5, v43, v5
	v_mad_u64_u32 v[9:10], null, 0xcd9e8d57, v5, 0
	s_delay_alu instid0(VALU_DEP_3) | instskip(NEXT) | instid1(VALU_DEP_2)
	v_mad_u64_u32 v[4:5], null, 0xcd9e8d57, v8, 0
	v_xor3_b32 v6, v22, v10, v6
	s_delay_alu instid0(VALU_DEP_2) | instskip(NEXT) | instid1(VALU_DEP_2)
	v_xor3_b32 v8, v23, v5, v9
	v_mad_u64_u32 v[17:18], null, 0xd2511f53, v6, 0
	s_delay_alu instid0(VALU_DEP_2) | instskip(NEXT) | instid1(VALU_DEP_2)
	v_mad_u64_u32 v[5:6], null, 0xd2511f53, v8, 0
	v_xor3_b32 v9, v24, v18, v7
	s_delay_alu instid0(VALU_DEP_2) | instskip(NEXT) | instid1(VALU_DEP_2)
	v_xor3_b32 v6, v25, v6, v17
	v_mad_u64_u32 v[7:8], null, 0xcd9e8d57, v9, 0
	s_delay_alu instid0(VALU_DEP_1) | instskip(NEXT) | instid1(VALU_DEP_3)
	v_xor3_b32 v4, v26, v8, v4
	v_mad_u64_u32 v[8:9], null, 0xcd9e8d57, v6, 0
	s_delay_alu instid0(VALU_DEP_2) | instskip(NEXT) | instid1(VALU_DEP_2)
	v_mad_u64_u32 v[17:18], null, 0xd2511f53, v4, 0
	v_xor3_b32 v6, v27, v9, v7
	s_delay_alu instid0(VALU_DEP_2) | instskip(NEXT) | instid1(VALU_DEP_2)
	v_xor3_b32 v9, v28, v18, v5
	v_mad_u64_u32 v[4:5], null, 0xd2511f53, v6, 0
	s_delay_alu instid0(VALU_DEP_2) | instskip(NEXT) | instid1(VALU_DEP_2)
	v_mad_u64_u32 v[6:7], null, 0xcd9e8d57, v9, 0
	v_xor3_b32 v5, v29, v5, v17
	s_delay_alu instid0(VALU_DEP_2) | instskip(NEXT) | instid1(VALU_DEP_2)
	;; [unrolled: 6-line block ×6, first 2 shown]
	v_xor3_b32 v4, v6, v7, v36
	v_mov_b32_e32 v6, v10
	v_cmpx_lt_i32_e32 1, v35
	s_xor_b32 s0, exec_lo, s0
	s_cbranch_execnz .LBB44_12
; %bb.10:                               ;   in Loop: Header=BB44_9 Depth=1
	s_and_not1_saveexec_b32 s0, s0
	s_cbranch_execnz .LBB44_17
.LBB44_11:                              ;   in Loop: Header=BB44_9 Depth=1
	s_or_b32 exec_lo, exec_lo, s0
	s_delay_alu instid0(SALU_CYCLE_1)
	s_mov_b32 s15, exec_lo
	v_cmpx_gt_i64_e64 s[4:5], v[15:16]
	s_cbranch_execnz .LBB44_20
	s_branch .LBB44_25
.LBB44_12:                              ;   in Loop: Header=BB44_9 Depth=1
	s_mov_b32 s15, exec_lo
	v_cmpx_lt_i32_e32 2, v35
	s_xor_b32 s15, exec_lo, s15
; %bb.13:                               ;   in Loop: Header=BB44_9 Depth=1
	v_dual_mov_b32 v7, v3 :: v_dual_mov_b32 v8, v4
	v_mov_b32_e32 v9, v5
	s_delay_alu instid0(VALU_DEP_2) | instskip(NEXT) | instid1(VALU_DEP_2)
	v_dual_mov_b32 v0, v7 :: v_dual_mov_b32 v1, v8
	v_dual_mov_b32 v2, v9 :: v_dual_mov_b32 v3, v10
; %bb.14:                               ;   in Loop: Header=BB44_9 Depth=1
	s_and_not1_saveexec_b32 s15, s15
; %bb.15:                               ;   in Loop: Header=BB44_9 Depth=1
	s_delay_alu instid0(VALU_DEP_1)
	v_dual_mov_b32 v0, v2 :: v_dual_mov_b32 v1, v3
	v_dual_mov_b32 v2, v4 :: v_dual_mov_b32 v3, v5
; %bb.16:                               ;   in Loop: Header=BB44_9 Depth=1
	s_or_b32 exec_lo, exec_lo, s15
	s_and_not1_saveexec_b32 s0, s0
	s_cbranch_execz .LBB44_11
.LBB44_17:                              ;   in Loop: Header=BB44_9 Depth=1
	s_mov_b32 s15, exec_lo
	v_cmpx_eq_u32_e32 1, v35
; %bb.18:                               ;   in Loop: Header=BB44_9 Depth=1
	v_dual_mov_b32 v0, v1 :: v_dual_mov_b32 v1, v2
	v_dual_mov_b32 v2, v3 :: v_dual_mov_b32 v3, v4
; %bb.19:                               ;   in Loop: Header=BB44_9 Depth=1
	s_or_b32 exec_lo, exec_lo, s15
	s_delay_alu instid0(SALU_CYCLE_1) | instskip(NEXT) | instid1(SALU_CYCLE_1)
	s_or_b32 exec_lo, exec_lo, s0
	s_mov_b32 s15, exec_lo
	v_cmpx_gt_i64_e64 s[4:5], v[15:16]
	s_cbranch_execz .LBB44_25
.LBB44_20:                              ;   in Loop: Header=BB44_9 Depth=1
	v_or_b32_e32 v14, s9, v0
                                        ; implicit-def: $vgpr7_vgpr8
	s_mov_b32 s0, exec_lo
	s_delay_alu instid0(VALU_DEP_1)
	v_cmpx_ne_u64_e32 0, v[13:14]
	s_xor_b32 s16, exec_lo, s0
	s_cbranch_execz .LBB44_22
; %bb.21:                               ;   in Loop: Header=BB44_9 Depth=1
	v_cvt_f32_u32_e32 v7, s8
	v_cvt_f32_u32_e32 v8, s9
	s_sub_u32 s0, 0, s8
	s_subb_u32 s17, 0, s9
	s_delay_alu instid0(VALU_DEP_1) | instskip(NEXT) | instid1(VALU_DEP_1)
	v_fmac_f32_e32 v7, 0x4f800000, v8
	v_rcp_f32_e32 v7, v7
	s_waitcnt_depctr 0xfff
	v_mul_f32_e32 v7, 0x5f7ffffc, v7
	s_delay_alu instid0(VALU_DEP_1) | instskip(NEXT) | instid1(VALU_DEP_1)
	v_mul_f32_e32 v8, 0x2f800000, v7
	v_trunc_f32_e32 v8, v8
	s_delay_alu instid0(VALU_DEP_1) | instskip(SKIP_1) | instid1(VALU_DEP_2)
	v_fmac_f32_e32 v7, 0xcf800000, v8
	v_cvt_u32_f32_e32 v8, v8
	v_cvt_u32_f32_e32 v7, v7
	s_delay_alu instid0(VALU_DEP_2) | instskip(NEXT) | instid1(VALU_DEP_2)
	v_mul_lo_u32 v9, s0, v8
	v_mul_hi_u32 v10, s0, v7
	v_mul_lo_u32 v14, s17, v7
	s_delay_alu instid0(VALU_DEP_2) | instskip(SKIP_1) | instid1(VALU_DEP_2)
	v_add_nc_u32_e32 v9, v10, v9
	v_mul_lo_u32 v10, s0, v7
	v_add_nc_u32_e32 v9, v9, v14
	s_delay_alu instid0(VALU_DEP_2) | instskip(NEXT) | instid1(VALU_DEP_2)
	v_mul_hi_u32 v14, v7, v10
	v_mul_lo_u32 v18, v7, v9
	v_mul_hi_u32 v44, v7, v9
	v_mul_hi_u32 v45, v8, v10
	v_mul_lo_u32 v10, v8, v10
	v_mul_hi_u32 v46, v8, v9
	v_mul_lo_u32 v9, v8, v9
	v_add_co_u32 v14, vcc_lo, v14, v18
	v_add_co_ci_u32_e32 v18, vcc_lo, 0, v44, vcc_lo
	s_delay_alu instid0(VALU_DEP_2) | instskip(NEXT) | instid1(VALU_DEP_2)
	v_add_co_u32 v10, vcc_lo, v14, v10
	v_add_co_ci_u32_e32 v10, vcc_lo, v18, v45, vcc_lo
	v_add_co_ci_u32_e32 v14, vcc_lo, 0, v46, vcc_lo
	s_delay_alu instid0(VALU_DEP_2) | instskip(NEXT) | instid1(VALU_DEP_2)
	v_add_co_u32 v9, vcc_lo, v10, v9
	v_add_co_ci_u32_e32 v10, vcc_lo, 0, v14, vcc_lo
	s_delay_alu instid0(VALU_DEP_2) | instskip(NEXT) | instid1(VALU_DEP_2)
	v_add_co_u32 v7, vcc_lo, v7, v9
	v_add_co_ci_u32_e32 v8, vcc_lo, v8, v10, vcc_lo
	s_delay_alu instid0(VALU_DEP_2) | instskip(SKIP_1) | instid1(VALU_DEP_3)
	v_mul_hi_u32 v9, s0, v7
	v_mul_lo_u32 v14, s17, v7
	v_mul_lo_u32 v10, s0, v8
	s_delay_alu instid0(VALU_DEP_1) | instskip(SKIP_1) | instid1(VALU_DEP_2)
	v_add_nc_u32_e32 v9, v9, v10
	v_mul_lo_u32 v10, s0, v7
	v_add_nc_u32_e32 v9, v9, v14
	s_delay_alu instid0(VALU_DEP_2) | instskip(NEXT) | instid1(VALU_DEP_2)
	v_mul_hi_u32 v14, v7, v10
	v_mul_lo_u32 v18, v7, v9
	v_mul_hi_u32 v44, v7, v9
	v_mul_hi_u32 v45, v8, v10
	v_mul_lo_u32 v10, v8, v10
	v_mul_hi_u32 v46, v8, v9
	v_mul_lo_u32 v9, v8, v9
	v_add_co_u32 v14, vcc_lo, v14, v18
	v_add_co_ci_u32_e32 v18, vcc_lo, 0, v44, vcc_lo
	s_delay_alu instid0(VALU_DEP_2) | instskip(NEXT) | instid1(VALU_DEP_2)
	v_add_co_u32 v10, vcc_lo, v14, v10
	v_add_co_ci_u32_e32 v10, vcc_lo, v18, v45, vcc_lo
	v_add_co_ci_u32_e32 v14, vcc_lo, 0, v46, vcc_lo
	s_delay_alu instid0(VALU_DEP_2) | instskip(NEXT) | instid1(VALU_DEP_2)
	v_add_co_u32 v9, vcc_lo, v10, v9
	v_add_co_ci_u32_e32 v10, vcc_lo, 0, v14, vcc_lo
	s_delay_alu instid0(VALU_DEP_2) | instskip(NEXT) | instid1(VALU_DEP_2)
	v_add_co_u32 v14, vcc_lo, v7, v9
	v_add_co_ci_u32_e32 v18, vcc_lo, v8, v10, vcc_lo
	s_delay_alu instid0(VALU_DEP_2) | instskip(SKIP_1) | instid1(VALU_DEP_3)
	v_mul_hi_u32 v46, v1, v14
	v_mad_u64_u32 v[9:10], null, v0, v14, 0
	v_mad_u64_u32 v[7:8], null, v1, v18, 0
	;; [unrolled: 1-line block ×3, first 2 shown]
	s_delay_alu instid0(VALU_DEP_2) | instskip(NEXT) | instid1(VALU_DEP_3)
	v_add_co_u32 v7, vcc_lo, v46, v7
	v_add_co_ci_u32_e32 v8, vcc_lo, 0, v8, vcc_lo
	s_delay_alu instid0(VALU_DEP_2) | instskip(NEXT) | instid1(VALU_DEP_2)
	v_add_co_u32 v7, vcc_lo, v7, v9
	v_add_co_ci_u32_e32 v7, vcc_lo, v8, v10, vcc_lo
	v_add_co_ci_u32_e32 v8, vcc_lo, 0, v45, vcc_lo
	s_delay_alu instid0(VALU_DEP_2) | instskip(NEXT) | instid1(VALU_DEP_2)
	v_add_co_u32 v9, vcc_lo, v7, v44
	v_add_co_ci_u32_e32 v10, vcc_lo, 0, v8, vcc_lo
	s_delay_alu instid0(VALU_DEP_2) | instskip(SKIP_1) | instid1(VALU_DEP_3)
	v_mul_lo_u32 v14, s9, v9
	v_mad_u64_u32 v[7:8], null, s8, v9, 0
	v_mul_lo_u32 v9, s8, v10
	s_delay_alu instid0(VALU_DEP_2) | instskip(NEXT) | instid1(VALU_DEP_2)
	v_sub_co_u32 v7, vcc_lo, v1, v7
	v_add3_u32 v8, v8, v9, v14
	s_delay_alu instid0(VALU_DEP_1) | instskip(NEXT) | instid1(VALU_DEP_1)
	v_sub_nc_u32_e32 v9, v0, v8
	v_subrev_co_ci_u32_e64 v9, s0, s9, v9, vcc_lo
	s_delay_alu instid0(VALU_DEP_4) | instskip(SKIP_1) | instid1(VALU_DEP_3)
	v_sub_co_u32 v10, s0, v7, s8
	v_sub_co_ci_u32_e32 v0, vcc_lo, v0, v8, vcc_lo
	v_subrev_co_ci_u32_e64 v9, s0, 0, v9, s0
	s_delay_alu instid0(VALU_DEP_3) | instskip(SKIP_1) | instid1(VALU_DEP_3)
	v_cmp_le_u32_e32 vcc_lo, s8, v10
	v_cndmask_b32_e64 v8, 0, -1, vcc_lo
	v_cmp_le_u32_e32 vcc_lo, s9, v9
	v_cndmask_b32_e64 v14, 0, -1, vcc_lo
	;; [unrolled: 2-line block ×4, first 2 shown]
	v_cmp_eq_u32_e32 vcc_lo, s9, v9
	v_cndmask_b32_e32 v8, v14, v8, vcc_lo
	v_sub_co_u32 v9, vcc_lo, v10, s8
	v_cmp_eq_u32_e32 vcc_lo, s9, v0
	v_cndmask_b32_e32 v0, v44, v18, vcc_lo
	s_delay_alu instid0(VALU_DEP_4) | instskip(NEXT) | instid1(VALU_DEP_4)
	v_cmp_ne_u32_e32 vcc_lo, 0, v8
	v_cndmask_b32_e32 v8, v10, v9, vcc_lo
	s_delay_alu instid0(VALU_DEP_3) | instskip(NEXT) | instid1(VALU_DEP_2)
	v_cmp_ne_u32_e32 vcc_lo, 0, v0
	v_cndmask_b32_e32 v7, v7, v8, vcc_lo
.LBB44_22:                              ;   in Loop: Header=BB44_9 Depth=1
	s_and_not1_saveexec_b32 s0, s16
	s_cbranch_execz .LBB44_24
; %bb.23:                               ;   in Loop: Header=BB44_9 Depth=1
	v_cvt_f32_u32_e32 v0, s8
	s_sub_i32 s16, 0, s8
	s_delay_alu instid0(VALU_DEP_1) | instskip(SKIP_2) | instid1(VALU_DEP_1)
	v_rcp_iflag_f32_e32 v0, v0
	s_waitcnt_depctr 0xfff
	v_mul_f32_e32 v0, 0x4f7ffffe, v0
	v_cvt_u32_f32_e32 v0, v0
	s_delay_alu instid0(VALU_DEP_1) | instskip(NEXT) | instid1(VALU_DEP_1)
	v_mul_lo_u32 v7, s16, v0
	v_mul_hi_u32 v7, v0, v7
	s_delay_alu instid0(VALU_DEP_1) | instskip(NEXT) | instid1(VALU_DEP_1)
	v_add_nc_u32_e32 v0, v0, v7
	v_mul_hi_u32 v0, v1, v0
	s_delay_alu instid0(VALU_DEP_1) | instskip(NEXT) | instid1(VALU_DEP_1)
	v_mul_lo_u32 v0, v0, s8
	v_sub_nc_u32_e32 v0, v1, v0
	s_delay_alu instid0(VALU_DEP_1) | instskip(SKIP_1) | instid1(VALU_DEP_2)
	v_subrev_nc_u32_e32 v1, s8, v0
	v_cmp_le_u32_e32 vcc_lo, s8, v0
	v_cndmask_b32_e32 v0, v0, v1, vcc_lo
	s_delay_alu instid0(VALU_DEP_1) | instskip(SKIP_1) | instid1(VALU_DEP_2)
	v_subrev_nc_u32_e32 v1, s8, v0
	v_cmp_le_u32_e32 vcc_lo, s8, v0
	v_cndmask_b32_e32 v7, v0, v1, vcc_lo
.LBB44_24:                              ;   in Loop: Header=BB44_9 Depth=1
	s_or_b32 exec_lo, exec_lo, s0
	v_add_nc_u32_e32 v0, s14, v41
	s_delay_alu instid0(VALU_DEP_2) | instskip(NEXT) | instid1(VALU_DEP_2)
	v_add_nc_u32_e32 v7, s10, v7
	v_ashrrev_i32_e32 v1, 31, v0
	v_add_co_u32 v0, vcc_lo, s6, v0
	s_delay_alu instid0(VALU_DEP_2)
	v_add_co_ci_u32_e32 v1, vcc_lo, s7, v1, vcc_lo
	global_store_b32 v[0:1], v7, off
.LBB44_25:                              ;   in Loop: Header=BB44_9 Depth=1
	s_or_b32 exec_lo, exec_lo, s15
	v_add_co_u32 v0, vcc_lo, s12, v15
	v_add_co_ci_u32_e32 v1, vcc_lo, 0, v16, vcc_lo
	s_mov_b32 s15, exec_lo
	s_delay_alu instid0(VALU_DEP_1)
	v_cmpx_gt_i64_e64 s[4:5], v[0:1]
	s_cbranch_execz .LBB44_8
; %bb.26:                               ;   in Loop: Header=BB44_9 Depth=1
	v_or_b32_e32 v14, s9, v2
                                        ; implicit-def: $vgpr7_vgpr8
	s_mov_b32 s0, exec_lo
	s_delay_alu instid0(VALU_DEP_1)
	v_cmpx_ne_u64_e32 0, v[13:14]
	s_xor_b32 s16, exec_lo, s0
	s_cbranch_execz .LBB44_28
; %bb.27:                               ;   in Loop: Header=BB44_9 Depth=1
	v_cvt_f32_u32_e32 v0, s8
	v_cvt_f32_u32_e32 v1, s9
	s_sub_u32 s0, 0, s8
	s_subb_u32 s17, 0, s9
	s_delay_alu instid0(VALU_DEP_1) | instskip(NEXT) | instid1(VALU_DEP_1)
	v_fmac_f32_e32 v0, 0x4f800000, v1
	v_rcp_f32_e32 v0, v0
	s_waitcnt_depctr 0xfff
	v_mul_f32_e32 v0, 0x5f7ffffc, v0
	s_delay_alu instid0(VALU_DEP_1) | instskip(NEXT) | instid1(VALU_DEP_1)
	v_mul_f32_e32 v1, 0x2f800000, v0
	v_trunc_f32_e32 v1, v1
	s_delay_alu instid0(VALU_DEP_1) | instskip(SKIP_1) | instid1(VALU_DEP_2)
	v_fmac_f32_e32 v0, 0xcf800000, v1
	v_cvt_u32_f32_e32 v1, v1
	v_cvt_u32_f32_e32 v0, v0
	s_delay_alu instid0(VALU_DEP_2) | instskip(NEXT) | instid1(VALU_DEP_2)
	v_mul_lo_u32 v7, s0, v1
	v_mul_hi_u32 v8, s0, v0
	v_mul_lo_u32 v9, s17, v0
	s_delay_alu instid0(VALU_DEP_2) | instskip(SKIP_1) | instid1(VALU_DEP_2)
	v_add_nc_u32_e32 v7, v8, v7
	v_mul_lo_u32 v8, s0, v0
	v_add_nc_u32_e32 v7, v7, v9
	s_delay_alu instid0(VALU_DEP_2) | instskip(NEXT) | instid1(VALU_DEP_2)
	v_mul_hi_u32 v9, v0, v8
	v_mul_lo_u32 v10, v0, v7
	v_mul_hi_u32 v14, v0, v7
	v_mul_hi_u32 v18, v1, v8
	v_mul_lo_u32 v8, v1, v8
	v_mul_hi_u32 v44, v1, v7
	v_mul_lo_u32 v7, v1, v7
	v_add_co_u32 v9, vcc_lo, v9, v10
	v_add_co_ci_u32_e32 v10, vcc_lo, 0, v14, vcc_lo
	s_delay_alu instid0(VALU_DEP_2) | instskip(NEXT) | instid1(VALU_DEP_2)
	v_add_co_u32 v8, vcc_lo, v9, v8
	v_add_co_ci_u32_e32 v8, vcc_lo, v10, v18, vcc_lo
	v_add_co_ci_u32_e32 v9, vcc_lo, 0, v44, vcc_lo
	s_delay_alu instid0(VALU_DEP_2) | instskip(NEXT) | instid1(VALU_DEP_2)
	v_add_co_u32 v7, vcc_lo, v8, v7
	v_add_co_ci_u32_e32 v8, vcc_lo, 0, v9, vcc_lo
	s_delay_alu instid0(VALU_DEP_2) | instskip(NEXT) | instid1(VALU_DEP_2)
	v_add_co_u32 v0, vcc_lo, v0, v7
	v_add_co_ci_u32_e32 v1, vcc_lo, v1, v8, vcc_lo
	s_delay_alu instid0(VALU_DEP_2) | instskip(SKIP_1) | instid1(VALU_DEP_3)
	v_mul_hi_u32 v7, s0, v0
	v_mul_lo_u32 v9, s17, v0
	v_mul_lo_u32 v8, s0, v1
	s_delay_alu instid0(VALU_DEP_1) | instskip(SKIP_1) | instid1(VALU_DEP_2)
	v_add_nc_u32_e32 v7, v7, v8
	v_mul_lo_u32 v8, s0, v0
	v_add_nc_u32_e32 v7, v7, v9
	s_delay_alu instid0(VALU_DEP_2) | instskip(NEXT) | instid1(VALU_DEP_2)
	v_mul_hi_u32 v9, v0, v8
	v_mul_lo_u32 v10, v0, v7
	v_mul_hi_u32 v14, v0, v7
	v_mul_hi_u32 v18, v1, v8
	v_mul_lo_u32 v8, v1, v8
	v_mul_hi_u32 v44, v1, v7
	v_mul_lo_u32 v7, v1, v7
	v_add_co_u32 v9, vcc_lo, v9, v10
	v_add_co_ci_u32_e32 v10, vcc_lo, 0, v14, vcc_lo
	s_delay_alu instid0(VALU_DEP_2) | instskip(NEXT) | instid1(VALU_DEP_2)
	v_add_co_u32 v8, vcc_lo, v9, v8
	v_add_co_ci_u32_e32 v8, vcc_lo, v10, v18, vcc_lo
	v_add_co_ci_u32_e32 v9, vcc_lo, 0, v44, vcc_lo
	s_delay_alu instid0(VALU_DEP_2) | instskip(NEXT) | instid1(VALU_DEP_2)
	v_add_co_u32 v7, vcc_lo, v8, v7
	v_add_co_ci_u32_e32 v8, vcc_lo, 0, v9, vcc_lo
	s_delay_alu instid0(VALU_DEP_2) | instskip(NEXT) | instid1(VALU_DEP_2)
	v_add_co_u32 v9, vcc_lo, v0, v7
	v_add_co_ci_u32_e32 v14, vcc_lo, v1, v8, vcc_lo
	s_delay_alu instid0(VALU_DEP_2) | instskip(SKIP_1) | instid1(VALU_DEP_3)
	v_mul_hi_u32 v18, v3, v9
	v_mad_u64_u32 v[7:8], null, v2, v9, 0
	v_mad_u64_u32 v[0:1], null, v3, v14, 0
	;; [unrolled: 1-line block ×3, first 2 shown]
	s_delay_alu instid0(VALU_DEP_2) | instskip(NEXT) | instid1(VALU_DEP_3)
	v_add_co_u32 v0, vcc_lo, v18, v0
	v_add_co_ci_u32_e32 v1, vcc_lo, 0, v1, vcc_lo
	s_delay_alu instid0(VALU_DEP_2) | instskip(NEXT) | instid1(VALU_DEP_2)
	v_add_co_u32 v0, vcc_lo, v0, v7
	v_add_co_ci_u32_e32 v0, vcc_lo, v1, v8, vcc_lo
	v_add_co_ci_u32_e32 v1, vcc_lo, 0, v10, vcc_lo
	s_delay_alu instid0(VALU_DEP_2) | instskip(NEXT) | instid1(VALU_DEP_2)
	v_add_co_u32 v7, vcc_lo, v0, v9
	v_add_co_ci_u32_e32 v8, vcc_lo, 0, v1, vcc_lo
	s_delay_alu instid0(VALU_DEP_2) | instskip(SKIP_1) | instid1(VALU_DEP_3)
	v_mul_lo_u32 v9, s9, v7
	v_mad_u64_u32 v[0:1], null, s8, v7, 0
	v_mul_lo_u32 v7, s8, v8
	s_delay_alu instid0(VALU_DEP_2) | instskip(NEXT) | instid1(VALU_DEP_2)
	v_sub_co_u32 v0, vcc_lo, v3, v0
	v_add3_u32 v1, v1, v7, v9
	s_delay_alu instid0(VALU_DEP_1) | instskip(NEXT) | instid1(VALU_DEP_1)
	v_sub_nc_u32_e32 v7, v2, v1
	v_subrev_co_ci_u32_e64 v3, s0, s9, v7, vcc_lo
	s_delay_alu instid0(VALU_DEP_4) | instskip(SKIP_1) | instid1(VALU_DEP_3)
	v_sub_co_u32 v7, s0, v0, s8
	v_sub_co_ci_u32_e32 v1, vcc_lo, v2, v1, vcc_lo
	v_subrev_co_ci_u32_e64 v3, s0, 0, v3, s0
	s_delay_alu instid0(VALU_DEP_3) | instskip(SKIP_1) | instid1(VALU_DEP_3)
	v_cmp_le_u32_e32 vcc_lo, s8, v7
	v_cndmask_b32_e64 v2, 0, -1, vcc_lo
	v_cmp_le_u32_e32 vcc_lo, s9, v3
	v_cndmask_b32_e64 v8, 0, -1, vcc_lo
	;; [unrolled: 2-line block ×4, first 2 shown]
	v_cmp_eq_u32_e32 vcc_lo, s9, v3
	v_cndmask_b32_e32 v2, v8, v2, vcc_lo
	v_sub_co_u32 v3, vcc_lo, v7, s8
	v_cmp_eq_u32_e32 vcc_lo, s9, v1
	v_cndmask_b32_e32 v1, v10, v9, vcc_lo
	s_delay_alu instid0(VALU_DEP_4) | instskip(NEXT) | instid1(VALU_DEP_4)
	v_cmp_ne_u32_e32 vcc_lo, 0, v2
	v_cndmask_b32_e32 v2, v7, v3, vcc_lo
	s_delay_alu instid0(VALU_DEP_3) | instskip(NEXT) | instid1(VALU_DEP_2)
	v_cmp_ne_u32_e32 vcc_lo, 0, v1
	v_cndmask_b32_e32 v7, v0, v2, vcc_lo
                                        ; implicit-def: $vgpr0_vgpr1_vgpr2_vgpr3
.LBB44_28:                              ;   in Loop: Header=BB44_9 Depth=1
	s_and_not1_saveexec_b32 s0, s16
	s_cbranch_execz .LBB44_7
; %bb.29:                               ;   in Loop: Header=BB44_9 Depth=1
	v_cvt_f32_u32_e32 v0, s8
	s_sub_i32 s16, 0, s8
	s_delay_alu instid0(VALU_DEP_1) | instskip(SKIP_2) | instid1(VALU_DEP_1)
	v_rcp_iflag_f32_e32 v0, v0
	s_waitcnt_depctr 0xfff
	v_mul_f32_e32 v0, 0x4f7ffffe, v0
	v_cvt_u32_f32_e32 v0, v0
	s_delay_alu instid0(VALU_DEP_1) | instskip(NEXT) | instid1(VALU_DEP_1)
	v_mul_lo_u32 v1, s16, v0
	v_mul_hi_u32 v1, v0, v1
	s_delay_alu instid0(VALU_DEP_1) | instskip(NEXT) | instid1(VALU_DEP_1)
	v_add_nc_u32_e32 v0, v0, v1
	v_mul_hi_u32 v0, v3, v0
	s_delay_alu instid0(VALU_DEP_1) | instskip(NEXT) | instid1(VALU_DEP_1)
	v_mul_lo_u32 v0, v0, s8
	v_sub_nc_u32_e32 v0, v3, v0
	s_delay_alu instid0(VALU_DEP_1) | instskip(SKIP_1) | instid1(VALU_DEP_2)
	v_subrev_nc_u32_e32 v1, s8, v0
	v_cmp_le_u32_e32 vcc_lo, s8, v0
	v_cndmask_b32_e32 v0, v0, v1, vcc_lo
	s_delay_alu instid0(VALU_DEP_1) | instskip(SKIP_1) | instid1(VALU_DEP_2)
	v_subrev_nc_u32_e32 v1, s8, v0
	v_cmp_le_u32_e32 vcc_lo, s8, v0
	v_cndmask_b32_e32 v7, v0, v1, vcc_lo
	s_branch .LBB44_7
.LBB44_30:
	s_endpgm
.LBB44_31:
                                        ; implicit-def: $sgpr2_sgpr3
	s_branch .LBB44_4
	.section	.rodata,"a",@progbits
	.p2align	6, 0x0
	.amdhsa_kernel _ZN2at6native12_GLOBAL__N_143distribution_elementwise_grid_stride_kernelImLi2EZZZNS0_9templates4cuda21random_from_to_kernelIPNS_17CUDAGeneratorImplEEEvRNS_18TensorIteratorBaseEmlT_ENKUlvE_clEvENKUlvE10_clEvEUlP25hiprandStatePhilox4_32_10E_ZNS1_27distribution_nullary_kernelIjm15HIP_vector_typeIyLj2EES7_SF_ZZZNS5_IS7_EEvS9_mlSA_ENKSB_clEvENKSC_clEvEUlmE_EEvS9_T2_RKT3_T4_EUlimE_EEvlNS_15PhiloxCudaStateET1_SK_
		.amdhsa_group_segment_fixed_size 0
		.amdhsa_private_segment_fixed_size 0
		.amdhsa_kernarg_size 336
		.amdhsa_user_sgpr_count 15
		.amdhsa_user_sgpr_dispatch_ptr 0
		.amdhsa_user_sgpr_queue_ptr 0
		.amdhsa_user_sgpr_kernarg_segment_ptr 1
		.amdhsa_user_sgpr_dispatch_id 0
		.amdhsa_user_sgpr_private_segment_size 0
		.amdhsa_wavefront_size32 1
		.amdhsa_uses_dynamic_stack 0
		.amdhsa_enable_private_segment 0
		.amdhsa_system_sgpr_workgroup_id_x 1
		.amdhsa_system_sgpr_workgroup_id_y 0
		.amdhsa_system_sgpr_workgroup_id_z 0
		.amdhsa_system_sgpr_workgroup_info 0
		.amdhsa_system_vgpr_workitem_id 0
		.amdhsa_next_free_vgpr 47
		.amdhsa_next_free_sgpr 23
		.amdhsa_reserve_vcc 1
		.amdhsa_float_round_mode_32 0
		.amdhsa_float_round_mode_16_64 0
		.amdhsa_float_denorm_mode_32 3
		.amdhsa_float_denorm_mode_16_64 3
		.amdhsa_dx10_clamp 1
		.amdhsa_ieee_mode 1
		.amdhsa_fp16_overflow 0
		.amdhsa_workgroup_processor_mode 1
		.amdhsa_memory_ordered 1
		.amdhsa_forward_progress 0
		.amdhsa_shared_vgpr_count 0
		.amdhsa_exception_fp_ieee_invalid_op 0
		.amdhsa_exception_fp_denorm_src 0
		.amdhsa_exception_fp_ieee_div_zero 0
		.amdhsa_exception_fp_ieee_overflow 0
		.amdhsa_exception_fp_ieee_underflow 0
		.amdhsa_exception_fp_ieee_inexact 0
		.amdhsa_exception_int_div_zero 0
	.end_amdhsa_kernel
	.section	.text._ZN2at6native12_GLOBAL__N_143distribution_elementwise_grid_stride_kernelImLi2EZZZNS0_9templates4cuda21random_from_to_kernelIPNS_17CUDAGeneratorImplEEEvRNS_18TensorIteratorBaseEmlT_ENKUlvE_clEvENKUlvE10_clEvEUlP25hiprandStatePhilox4_32_10E_ZNS1_27distribution_nullary_kernelIjm15HIP_vector_typeIyLj2EES7_SF_ZZZNS5_IS7_EEvS9_mlSA_ENKSB_clEvENKSC_clEvEUlmE_EEvS9_T2_RKT3_T4_EUlimE_EEvlNS_15PhiloxCudaStateET1_SK_,"axG",@progbits,_ZN2at6native12_GLOBAL__N_143distribution_elementwise_grid_stride_kernelImLi2EZZZNS0_9templates4cuda21random_from_to_kernelIPNS_17CUDAGeneratorImplEEEvRNS_18TensorIteratorBaseEmlT_ENKUlvE_clEvENKUlvE10_clEvEUlP25hiprandStatePhilox4_32_10E_ZNS1_27distribution_nullary_kernelIjm15HIP_vector_typeIyLj2EES7_SF_ZZZNS5_IS7_EEvS9_mlSA_ENKSB_clEvENKSC_clEvEUlmE_EEvS9_T2_RKT3_T4_EUlimE_EEvlNS_15PhiloxCudaStateET1_SK_,comdat
.Lfunc_end44:
	.size	_ZN2at6native12_GLOBAL__N_143distribution_elementwise_grid_stride_kernelImLi2EZZZNS0_9templates4cuda21random_from_to_kernelIPNS_17CUDAGeneratorImplEEEvRNS_18TensorIteratorBaseEmlT_ENKUlvE_clEvENKUlvE10_clEvEUlP25hiprandStatePhilox4_32_10E_ZNS1_27distribution_nullary_kernelIjm15HIP_vector_typeIyLj2EES7_SF_ZZZNS5_IS7_EEvS9_mlSA_ENKSB_clEvENKSC_clEvEUlmE_EEvS9_T2_RKT3_T4_EUlimE_EEvlNS_15PhiloxCudaStateET1_SK_, .Lfunc_end44-_ZN2at6native12_GLOBAL__N_143distribution_elementwise_grid_stride_kernelImLi2EZZZNS0_9templates4cuda21random_from_to_kernelIPNS_17CUDAGeneratorImplEEEvRNS_18TensorIteratorBaseEmlT_ENKUlvE_clEvENKUlvE10_clEvEUlP25hiprandStatePhilox4_32_10E_ZNS1_27distribution_nullary_kernelIjm15HIP_vector_typeIyLj2EES7_SF_ZZZNS5_IS7_EEvS9_mlSA_ENKSB_clEvENKSC_clEvEUlmE_EEvS9_T2_RKT3_T4_EUlimE_EEvlNS_15PhiloxCudaStateET1_SK_
                                        ; -- End function
	.section	.AMDGPU.csdata,"",@progbits
; Kernel info:
; codeLenInByte = 4348
; NumSgprs: 25
; NumVgprs: 47
; ScratchSize: 0
; MemoryBound: 0
; FloatMode: 240
; IeeeMode: 1
; LDSByteSize: 0 bytes/workgroup (compile time only)
; SGPRBlocks: 3
; VGPRBlocks: 5
; NumSGPRsForWavesPerEU: 25
; NumVGPRsForWavesPerEU: 47
; Occupancy: 16
; WaveLimiterHint : 0
; COMPUTE_PGM_RSRC2:SCRATCH_EN: 0
; COMPUTE_PGM_RSRC2:USER_SGPR: 15
; COMPUTE_PGM_RSRC2:TRAP_HANDLER: 0
; COMPUTE_PGM_RSRC2:TGID_X_EN: 1
; COMPUTE_PGM_RSRC2:TGID_Y_EN: 0
; COMPUTE_PGM_RSRC2:TGID_Z_EN: 0
; COMPUTE_PGM_RSRC2:TIDIG_COMP_CNT: 0
	.section	.text._ZN2at6native12_GLOBAL__N_143distribution_elementwise_grid_stride_kernelImLi2EZZZNS0_9templates4cuda21random_from_to_kernelIPNS_17CUDAGeneratorImplEEEvRNS_18TensorIteratorBaseEmlT_ENKUlvE_clEvENKUlvE10_clEvEUlP25hiprandStatePhilox4_32_10E_ZNS1_27distribution_nullary_kernelIjm15HIP_vector_typeIyLj2EES7_SF_ZZZNS5_IS7_EEvS9_mlSA_ENKSB_clEvENKSC_clEvEUlmE_EEvS9_T2_RKT3_T4_EUlimE0_EEvlNS_15PhiloxCudaStateET1_SK_,"axG",@progbits,_ZN2at6native12_GLOBAL__N_143distribution_elementwise_grid_stride_kernelImLi2EZZZNS0_9templates4cuda21random_from_to_kernelIPNS_17CUDAGeneratorImplEEEvRNS_18TensorIteratorBaseEmlT_ENKUlvE_clEvENKUlvE10_clEvEUlP25hiprandStatePhilox4_32_10E_ZNS1_27distribution_nullary_kernelIjm15HIP_vector_typeIyLj2EES7_SF_ZZZNS5_IS7_EEvS9_mlSA_ENKSB_clEvENKSC_clEvEUlmE_EEvS9_T2_RKT3_T4_EUlimE0_EEvlNS_15PhiloxCudaStateET1_SK_,comdat
	.globl	_ZN2at6native12_GLOBAL__N_143distribution_elementwise_grid_stride_kernelImLi2EZZZNS0_9templates4cuda21random_from_to_kernelIPNS_17CUDAGeneratorImplEEEvRNS_18TensorIteratorBaseEmlT_ENKUlvE_clEvENKUlvE10_clEvEUlP25hiprandStatePhilox4_32_10E_ZNS1_27distribution_nullary_kernelIjm15HIP_vector_typeIyLj2EES7_SF_ZZZNS5_IS7_EEvS9_mlSA_ENKSB_clEvENKSC_clEvEUlmE_EEvS9_T2_RKT3_T4_EUlimE0_EEvlNS_15PhiloxCudaStateET1_SK_ ; -- Begin function _ZN2at6native12_GLOBAL__N_143distribution_elementwise_grid_stride_kernelImLi2EZZZNS0_9templates4cuda21random_from_to_kernelIPNS_17CUDAGeneratorImplEEEvRNS_18TensorIteratorBaseEmlT_ENKUlvE_clEvENKUlvE10_clEvEUlP25hiprandStatePhilox4_32_10E_ZNS1_27distribution_nullary_kernelIjm15HIP_vector_typeIyLj2EES7_SF_ZZZNS5_IS7_EEvS9_mlSA_ENKSB_clEvENKSC_clEvEUlmE_EEvS9_T2_RKT3_T4_EUlimE0_EEvlNS_15PhiloxCudaStateET1_SK_
	.p2align	8
	.type	_ZN2at6native12_GLOBAL__N_143distribution_elementwise_grid_stride_kernelImLi2EZZZNS0_9templates4cuda21random_from_to_kernelIPNS_17CUDAGeneratorImplEEEvRNS_18TensorIteratorBaseEmlT_ENKUlvE_clEvENKUlvE10_clEvEUlP25hiprandStatePhilox4_32_10E_ZNS1_27distribution_nullary_kernelIjm15HIP_vector_typeIyLj2EES7_SF_ZZZNS5_IS7_EEvS9_mlSA_ENKSB_clEvENKSC_clEvEUlmE_EEvS9_T2_RKT3_T4_EUlimE0_EEvlNS_15PhiloxCudaStateET1_SK_,@function
_ZN2at6native12_GLOBAL__N_143distribution_elementwise_grid_stride_kernelImLi2EZZZNS0_9templates4cuda21random_from_to_kernelIPNS_17CUDAGeneratorImplEEEvRNS_18TensorIteratorBaseEmlT_ENKUlvE_clEvENKUlvE10_clEvEUlP25hiprandStatePhilox4_32_10E_ZNS1_27distribution_nullary_kernelIjm15HIP_vector_typeIyLj2EES7_SF_ZZZNS5_IS7_EEvS9_mlSA_ENKSB_clEvENKSC_clEvEUlmE_EEvS9_T2_RKT3_T4_EUlimE0_EEvlNS_15PhiloxCudaStateET1_SK_: ; @_ZN2at6native12_GLOBAL__N_143distribution_elementwise_grid_stride_kernelImLi2EZZZNS0_9templates4cuda21random_from_to_kernelIPNS_17CUDAGeneratorImplEEEvRNS_18TensorIteratorBaseEmlT_ENKUlvE_clEvENKUlvE10_clEvEUlP25hiprandStatePhilox4_32_10E_ZNS1_27distribution_nullary_kernelIjm15HIP_vector_typeIyLj2EES7_SF_ZZZNS5_IS7_EEvS9_mlSA_ENKSB_clEvENKSC_clEvEUlmE_EEvS9_T2_RKT3_T4_EUlimE0_EEvlNS_15PhiloxCudaStateET1_SK_
; %bb.0:
	s_clause 0x2
	s_load_b64 s[4:5], s[0:1], 0x10
	s_load_b128 s[16:19], s[0:1], 0x0
	s_load_b32 s2, s[0:1], 0x20
	s_waitcnt lgkmcnt(0)
	v_dual_mov_b32 v2, s4 :: v_dual_mov_b32 v3, s5
	v_dual_mov_b32 v11, s18 :: v_dual_mov_b32 v12, s19
	s_bitcmp0_b32 s2, 0
	s_mov_b32 s2, 0
	s_cbranch_scc1 .LBB45_2
; %bb.1:
	v_dual_mov_b32 v1, s4 :: v_dual_mov_b32 v2, s5
	v_dual_mov_b32 v4, s18 :: v_dual_mov_b32 v5, s19
	s_load_b64 s[4:5], s[0:1], 0x18
	flat_load_b64 v[2:3], v[1:2]
	flat_load_b64 v[11:12], v[4:5]
	s_waitcnt vmcnt(1) lgkmcnt(0)
	v_add_co_u32 v2, vcc_lo, v2, s4
	v_add_co_ci_u32_e32 v3, vcc_lo, s5, v3, vcc_lo
.LBB45_2:
	s_clause 0x1
	s_load_b32 s3, s[0:1], 0x15c
	s_load_b32 s5, s[0:1], 0x150
	s_waitcnt lgkmcnt(0)
	s_and_b32 s4, s3, 0xffff
	s_add_u32 s6, s16, -1
	s_mul_i32 s28, s5, s4
	s_addc_u32 s3, s17, -1
	s_lshl_b32 s29, s28, 1
	s_cmp_lg_u64 s[2:3], 0
	s_cbranch_scc0 .LBB45_57
; %bb.3:
	v_cvt_f32_ubyte0_e32 v1, 0
	v_cvt_f32_u32_e32 v4, s29
	s_sub_u32 s8, 0, s29
	s_subb_u32 s9, 0, 0
	s_delay_alu instid0(VALU_DEP_1) | instskip(NEXT) | instid1(VALU_DEP_1)
	v_fmamk_f32 v1, v1, 0x4f800000, v4
	v_rcp_f32_e32 v1, v1
	s_waitcnt_depctr 0xfff
	v_mul_f32_e32 v1, 0x5f7ffffc, v1
	s_delay_alu instid0(VALU_DEP_1) | instskip(NEXT) | instid1(VALU_DEP_1)
	v_mul_f32_e32 v4, 0x2f800000, v1
	v_trunc_f32_e32 v4, v4
	s_delay_alu instid0(VALU_DEP_1) | instskip(SKIP_1) | instid1(VALU_DEP_2)
	v_fmamk_f32 v1, v4, 0xcf800000, v1
	v_cvt_u32_f32_e32 v4, v4
	v_cvt_u32_f32_e32 v1, v1
	s_delay_alu instid0(VALU_DEP_2) | instskip(NEXT) | instid1(VALU_DEP_2)
	v_readfirstlane_b32 s2, v4
	v_readfirstlane_b32 s7, v1
	s_delay_alu instid0(VALU_DEP_2) | instskip(NEXT) | instid1(VALU_DEP_1)
	s_mul_i32 s10, s8, s2
	s_mul_hi_u32 s12, s8, s7
	s_mul_i32 s11, s9, s7
	s_add_i32 s10, s12, s10
	s_mul_i32 s13, s8, s7
	s_add_i32 s10, s10, s11
	s_mul_hi_u32 s12, s7, s13
	s_mul_hi_u32 s14, s2, s13
	s_mul_i32 s11, s2, s13
	s_mul_hi_u32 s13, s7, s10
	s_mul_i32 s7, s7, s10
	s_mul_hi_u32 s18, s2, s10
	s_add_u32 s7, s12, s7
	s_addc_u32 s12, 0, s13
	s_add_u32 s7, s7, s11
	s_mul_i32 s10, s2, s10
	s_addc_u32 s7, s12, s14
	s_addc_u32 s11, s18, 0
	s_add_u32 s7, s7, s10
	s_addc_u32 s10, 0, s11
	v_add_co_u32 v1, s7, v1, s7
	s_delay_alu instid0(VALU_DEP_1) | instskip(SKIP_1) | instid1(VALU_DEP_1)
	s_cmp_lg_u32 s7, 0
	s_addc_u32 s2, s2, s10
	v_readfirstlane_b32 s7, v1
	s_mul_i32 s10, s8, s2
	s_delay_alu instid0(VALU_DEP_1)
	s_mul_hi_u32 s11, s8, s7
	s_mul_i32 s9, s9, s7
	s_add_i32 s10, s11, s10
	s_mul_i32 s8, s8, s7
	s_add_i32 s10, s10, s9
	s_mul_hi_u32 s11, s2, s8
	s_mul_i32 s12, s2, s8
	s_mul_hi_u32 s8, s7, s8
	s_mul_hi_u32 s13, s7, s10
	s_mul_i32 s7, s7, s10
	s_mul_hi_u32 s9, s2, s10
	s_add_u32 s7, s8, s7
	s_addc_u32 s8, 0, s13
	s_add_u32 s7, s7, s12
	s_mul_i32 s10, s2, s10
	s_addc_u32 s7, s8, s11
	s_addc_u32 s8, s9, 0
	s_add_u32 s7, s7, s10
	s_addc_u32 s8, 0, s8
	v_add_co_u32 v1, s7, v1, s7
	s_delay_alu instid0(VALU_DEP_1) | instskip(SKIP_2) | instid1(VALU_DEP_1)
	s_cmp_lg_u32 s7, 0
	s_addc_u32 s7, s2, s8
	s_ashr_i32 s8, s3, 31
	v_readfirstlane_b32 s10, v1
	s_add_u32 s2, s6, s8
	s_mov_b32 s9, s8
	s_addc_u32 s3, s3, s8
	s_delay_alu instid0(SALU_CYCLE_1) | instskip(NEXT) | instid1(SALU_CYCLE_1)
	s_xor_b64 s[2:3], s[2:3], s[8:9]
	s_mul_i32 s12, s2, s7
	s_mul_hi_u32 s13, s2, s10
	s_mul_hi_u32 s11, s2, s7
	;; [unrolled: 1-line block ×3, first 2 shown]
	s_mul_i32 s10, s3, s10
	s_add_u32 s12, s13, s12
	s_addc_u32 s11, 0, s11
	s_mul_hi_u32 s14, s3, s7
	s_add_u32 s10, s12, s10
	s_mul_i32 s7, s3, s7
	s_addc_u32 s10, s11, s18
	s_addc_u32 s11, s14, 0
	s_add_u32 s7, s10, s7
	s_addc_u32 s10, 0, s11
	s_mul_i32 s12, s29, s7
	s_add_u32 s11, s7, 1
	v_sub_co_u32 v1, s2, s2, s12
	s_mul_hi_u32 s12, s29, s7
	s_addc_u32 s13, s10, 0
	s_mul_i32 s14, s29, s10
	s_delay_alu instid0(VALU_DEP_1)
	v_sub_co_u32 v4, s18, v1, s29
	s_add_u32 s19, s7, 2
	s_addc_u32 s20, s10, 0
	s_add_i32 s12, s12, s14
	s_cmp_lg_u32 s2, 0
	v_readfirstlane_b32 s2, v4
	s_subb_u32 s3, s3, s12
	s_cmp_lg_u32 s18, 0
	s_subb_u32 s12, s3, 0
	s_delay_alu instid0(VALU_DEP_1) | instskip(SKIP_4) | instid1(SALU_CYCLE_1)
	s_cmp_ge_u32 s2, s29
	s_cselect_b32 s2, -1, 0
	s_cmp_eq_u32 s12, 0
	v_readfirstlane_b32 s12, v1
	s_cselect_b32 s2, s2, -1
	s_cmp_lg_u32 s2, 0
	s_cselect_b32 s2, s19, s11
	s_cselect_b32 s11, s20, s13
	s_cmp_ge_u32 s12, s29
	s_cselect_b32 s12, -1, 0
	s_cmp_eq_u32 s3, 0
	s_cselect_b32 s3, s12, -1
	s_delay_alu instid0(SALU_CYCLE_1) | instskip(SKIP_2) | instid1(SALU_CYCLE_1)
	s_cmp_lg_u32 s3, 0
	s_cselect_b32 s3, s11, s10
	s_cselect_b32 s2, s2, s7
	s_xor_b64 s[2:3], s[2:3], s[8:9]
	s_delay_alu instid0(SALU_CYCLE_1)
	s_sub_u32 s2, s2, s8
	s_subb_u32 s3, s3, s8
	s_cbranch_execnz .LBB45_5
.LBB45_4:
	v_cvt_f32_u32_e32 v1, s29
	s_sub_i32 s3, 0, s29
	s_delay_alu instid0(VALU_DEP_1) | instskip(SKIP_2) | instid1(VALU_DEP_1)
	v_rcp_iflag_f32_e32 v1, v1
	s_waitcnt_depctr 0xfff
	v_mul_f32_e32 v1, 0x4f7ffffe, v1
	v_cvt_u32_f32_e32 v1, v1
	s_delay_alu instid0(VALU_DEP_1) | instskip(NEXT) | instid1(VALU_DEP_1)
	v_readfirstlane_b32 s2, v1
	s_mul_i32 s3, s3, s2
	s_delay_alu instid0(SALU_CYCLE_1) | instskip(NEXT) | instid1(SALU_CYCLE_1)
	s_mul_hi_u32 s3, s2, s3
	s_add_i32 s2, s2, s3
	s_delay_alu instid0(SALU_CYCLE_1) | instskip(NEXT) | instid1(SALU_CYCLE_1)
	s_mul_hi_u32 s2, s6, s2
	s_mul_i32 s3, s2, s29
	s_delay_alu instid0(SALU_CYCLE_1)
	s_sub_i32 s3, s6, s3
	s_add_i32 s6, s2, 1
	s_sub_i32 s7, s3, s29
	s_cmp_ge_u32 s3, s29
	s_cselect_b32 s2, s6, s2
	s_cselect_b32 s3, s7, s3
	s_add_i32 s6, s2, 1
	s_cmp_ge_u32 s3, s29
	s_mov_b32 s3, 0
	s_cselect_b32 s2, s6, s2
.LBB45_5:
	v_mov_b32_e32 v13, 0
	s_add_u32 s2, s2, 1
	s_addc_u32 s3, s3, 0
	s_mul_hi_u32 s5, s5, s4
	s_mul_hi_u32 s6, s28, s2
	v_mov_b32_e32 v1, v13
	s_mul_i32 s3, s28, s3
	s_mul_i32 s5, s5, s2
	s_add_i32 s3, s6, s3
	s_mul_i32 s2, s28, s2
	v_mad_u64_u32 v[15:16], null, s4, s15, v[0:1]
	s_add_i32 s3, s3, s5
	s_mov_b32 s4, exec_lo
	s_lshl_b64 s[2:3], s[2:3], 1
	s_delay_alu instid0(VALU_DEP_1) | instid1(SALU_CYCLE_1)
	v_cmpx_gt_i64_e64 s[2:3], v[15:16]
	s_cbranch_execz .LBB45_56
; %bb.6:
	v_alignbit_b32 v19, v3, v2, 2
	v_mad_u64_u32 v[4:5], null, 0xcd9e8d57, v15, 0
	v_lshrrev_b32_e32 v20, 2, v3
	s_waitcnt vmcnt(0)
	v_dual_mov_b32 v9, v12 :: v_dual_add_nc_u32 v30, 0x8ff34781, v11
	v_mad_u64_u32 v[0:1], null, 0xd2511f53, v19, 0
	v_add_co_u32 v22, null, 0x9e3779b9, v11
	v_xor3_b32 v3, v11, v5, v20
	s_delay_alu instid0(VALU_DEP_4) | instskip(SKIP_2) | instid1(VALU_DEP_4)
	v_add_co_u32 v21, null, 0xbb67ae85, v9
	v_add_co_u32 v23, null, 0x3c6ef372, v11
	v_xor_b32_e32 v1, v1, v12
	v_mad_u64_u32 v[5:6], null, 0xd2511f53, v3, 0
	v_add_co_u32 v24, null, 0x76cf5d0a, v9
	s_delay_alu instid0(VALU_DEP_3) | instskip(SKIP_2) | instid1(VALU_DEP_3)
	v_xor_b32_e32 v1, v1, v16
	v_add_co_u32 v25, null, 0x32370b8f, v9
	v_add_co_u32 v26, null, 0xdaa66d2b, v11
	v_mad_u64_u32 v[7:8], null, 0xcd9e8d57, v1, 0
	v_xor3_b32 v3, v21, v6, v0
	v_add_co_u32 v27, null, 0x78dde6e4, v11
	v_add_co_u32 v28, null, 0xed9eba14, v9
	s_delay_alu instid0(VALU_DEP_3) | instskip(SKIP_3) | instid1(VALU_DEP_3)
	v_mad_u64_u32 v[0:1], null, 0xcd9e8d57, v3, 0
	v_xor3_b32 v6, v22, v8, v4
	v_dual_mov_b32 v40, v15 :: v_dual_and_b32 v29, 3, v2
	v_add_co_u32 v31, null, 0xa9066899, v9
	v_mad_u64_u32 v[3:4], null, 0xd2511f53, v6, 0
	v_xor3_b32 v1, v23, v1, v7
	v_add_co_u32 v32, null, 0x1715609d, v11
	v_add_co_u32 v34, null, 0xb54cda56, v11
	;; [unrolled: 1-line block ×3, first 2 shown]
	v_xor3_b32 v8, v24, v4, v5
	v_mad_u64_u32 v[4:5], null, 0xd2511f53, v1, 0
	s_load_b256 s[4:11], s[0:1], 0x30
	v_add_co_u32 v33, null, 0x5384540f, v11
	s_delay_alu instid0(VALU_DEP_3) | instskip(SKIP_1) | instid1(VALU_DEP_4)
	v_mad_u64_u32 v[6:7], null, 0xcd9e8d57, v8, 0
	v_add_co_u32 v37, null, 0x1fd5c5a3, v9
	v_xor3_b32 v3, v25, v5, v3
	v_add_co_u32 v35, null, 0xf1bbcdc8, v11
	v_add_co_u32 v38, null, 0xdb3d7428, v9
	v_xor3_b32 v5, v26, v7, v0
	s_delay_alu instid0(VALU_DEP_4) | instskip(SKIP_2) | instid1(VALU_DEP_2)
	v_mad_u64_u32 v[0:1], null, 0xcd9e8d57, v3, 0
	s_add_u32 s18, s0, 48
	s_load_b64 s[20:21], s[0:1], 0x148
	v_mad_u64_u32 v[7:8], null, 0xd2511f53, v5, 0
	s_clause 0x1
	s_load_b64 s[22:23], s[0:1], 0xf4
	s_load_b128 s[12:15], s[0:1], 0x138
	s_addc_u32 s19, s1, 0
	v_xor3_b32 v3, v27, v1, v6
	s_waitcnt lgkmcnt(0)
	s_add_i32 s26, s4, -1
	v_add_nc_u32_e32 v39, 0x96a522ad, v12
	s_cmp_gt_u32 s26, 1
	v_xor3_b32 v5, v28, v8, v4
	v_mad_u64_u32 v[1:2], null, 0xd2511f53, v3, 0
	s_cselect_b32 s11, -1, 0
	s_cmp_lg_u32 s4, 0
	s_delay_alu instid0(VALU_DEP_2) | instskip(SKIP_2) | instid1(VALU_DEP_2)
	v_mad_u64_u32 v[3:4], null, 0xcd9e8d57, v5, 0
	s_cselect_b32 s21, -1, 0
	s_add_u32 s24, s0, 0xf4
	v_xor3_b32 v2, v31, v2, v7
	s_addc_u32 s25, s1, 0
	s_min_u32 s0, s26, 15
	s_cmp_gt_u32 s4, 1
	s_delay_alu instid0(VALU_DEP_2) | instskip(SKIP_3) | instid1(VALU_DEP_2)
	v_xor3_b32 v0, v32, v4, v0
	v_mad_u64_u32 v[4:5], null, 0xcd9e8d57, v2, 0
	s_cselect_b32 s4, -1, 0
	s_add_i32 s0, s0, 1
	v_mad_u64_u32 v[6:7], null, 0xd2511f53, v0, 0
	s_and_b32 s31, s0, 3
	s_cmp_lg_u32 s26, 2
	s_delay_alu instid0(VALU_DEP_2) | instskip(SKIP_3) | instid1(VALU_DEP_3)
	v_xor3_b32 v2, v34, v5, v3
	s_cselect_b32 s33, -1, 0
	s_and_b32 s34, s0, 28
	v_mov_b32_e32 v41, v16
	v_xor3_b32 v5, v36, v7, v1
	v_mad_u64_u32 v[0:1], null, 0xd2511f53, v2, 0
	s_cmp_lg_u32 s31, 0
	s_mov_b32 s30, 0
	s_delay_alu instid0(VALU_DEP_2) | instskip(SKIP_1) | instid1(VALU_DEP_2)
	v_mad_u64_u32 v[2:3], null, 0xcd9e8d57, v5, 0
	s_cselect_b32 s35, -1, 0
	v_xor3_b32 v1, v37, v1, v6
	s_delay_alu instid0(VALU_DEP_2) | instskip(NEXT) | instid1(VALU_DEP_2)
	v_xor3_b32 v3, v33, v3, v4
	v_mad_u64_u32 v[4:5], null, 0xcd9e8d57, v1, 0
	s_delay_alu instid0(VALU_DEP_2) | instskip(NEXT) | instid1(VALU_DEP_2)
	v_mad_u64_u32 v[6:7], null, 0xd2511f53, v3, 0
	v_xor3_b32 v1, v35, v5, v2
	s_delay_alu instid0(VALU_DEP_2) | instskip(NEXT) | instid1(VALU_DEP_2)
	v_xor3_b32 v0, v38, v7, v0
	v_mad_u64_u32 v[7:8], null, 0xd2511f53, v1, 0
	s_delay_alu instid0(VALU_DEP_2) | instskip(NEXT) | instid1(VALU_DEP_2)
	v_mad_u64_u32 v[1:2], null, 0xcd9e8d57, v0, 0
	v_mov_b32_e32 v3, v7
	s_delay_alu instid0(VALU_DEP_2) | instskip(NEXT) | instid1(VALU_DEP_4)
	v_xor3_b32 v0, v2, v4, v30
	v_xor3_b32 v2, v8, v6, v39
	s_branch .LBB45_9
.LBB45_7:                               ;   in Loop: Header=BB45_9 Depth=1
	s_or_b32 exec_lo, exec_lo, s0
	s_delay_alu instid0(VALU_DEP_1)
	v_add_nc_u32_e32 v0, s20, v8
	global_store_b32 v7, v0, s[12:13]
.LBB45_8:                               ;   in Loop: Header=BB45_9 Depth=1
	s_or_b32 exec_lo, exec_lo, s36
	v_add_co_u32 v15, vcc_lo, v15, s29
	v_add_co_ci_u32_e32 v16, vcc_lo, 0, v16, vcc_lo
	v_mov_b32_e32 v7, v17
	v_dual_mov_b32 v0, v4 :: v_dual_mov_b32 v1, v5
	s_delay_alu instid0(VALU_DEP_3) | instskip(NEXT) | instid1(VALU_DEP_3)
	v_cmp_le_i64_e32 vcc_lo, s[2:3], v[15:16]
	v_dual_mov_b32 v2, v6 :: v_dual_mov_b32 v3, v7
	s_waitcnt_vscnt null, 0x0
	s_barrier
	buffer_gl0_inv
	s_or_b32 s30, vcc_lo, s30
	s_delay_alu instid0(SALU_CYCLE_1)
	s_and_not1_b32 exec_lo, exec_lo, s30
	s_cbranch_execz .LBB45_56
.LBB45_9:                               ; =>This Loop Header: Depth=1
                                        ;     Child Loop BB45_24 Depth 2
                                        ;     Child Loop BB45_29 Depth 2
	;; [unrolled: 1-line block ×4, first 2 shown]
	v_add_co_u32 v19, vcc_lo, v19, 1
	s_delay_alu instid0(VALU_DEP_1) | instskip(SKIP_2) | instid1(VALU_DEP_1)
	v_cndmask_b32_e64 v4, 0, 1, vcc_lo
	v_add_co_ci_u32_e32 v20, vcc_lo, 0, v20, vcc_lo
	s_mov_b32 s0, exec_lo
	v_cmp_eq_u32_e32 vcc_lo, 0, v20
	s_delay_alu instid0(VALU_DEP_3) | instskip(NEXT) | instid1(VALU_DEP_1)
	v_cndmask_b32_e32 v4, 0, v4, vcc_lo
	v_add_nc_u32_e32 v40, v4, v40
	s_delay_alu instid0(VALU_DEP_1) | instskip(SKIP_2) | instid1(VALU_DEP_2)
	v_cmp_eq_u32_e32 vcc_lo, 0, v40
	v_mad_u64_u32 v[6:7], null, 0xcd9e8d57, v40, 0
	v_cndmask_b32_e32 v4, 0, v4, vcc_lo
	v_xor3_b32 v9, v7, v11, v20
	s_delay_alu instid0(VALU_DEP_2) | instskip(SKIP_1) | instid1(VALU_DEP_3)
	v_add_nc_u32_e32 v41, v4, v41
	v_mad_u64_u32 v[4:5], null, 0xd2511f53, v19, 0
	v_mad_u64_u32 v[7:8], null, 0xd2511f53, v9, 0
	s_delay_alu instid0(VALU_DEP_2) | instskip(NEXT) | instid1(VALU_DEP_2)
	v_xor_b32_e32 v5, v5, v12
	v_xor3_b32 v8, v21, v8, v4
	s_delay_alu instid0(VALU_DEP_2) | instskip(NEXT) | instid1(VALU_DEP_1)
	v_xor_b32_e32 v5, v41, v5
	v_mad_u64_u32 v[9:10], null, 0xcd9e8d57, v5, 0
	s_delay_alu instid0(VALU_DEP_3) | instskip(NEXT) | instid1(VALU_DEP_2)
	v_mad_u64_u32 v[4:5], null, 0xcd9e8d57, v8, 0
	v_xor3_b32 v6, v22, v10, v6
	s_delay_alu instid0(VALU_DEP_2) | instskip(NEXT) | instid1(VALU_DEP_2)
	v_xor3_b32 v8, v23, v5, v9
	v_mad_u64_u32 v[17:18], null, 0xd2511f53, v6, 0
	s_delay_alu instid0(VALU_DEP_2) | instskip(NEXT) | instid1(VALU_DEP_2)
	v_mad_u64_u32 v[5:6], null, 0xd2511f53, v8, 0
	v_xor3_b32 v9, v24, v18, v7
	s_delay_alu instid0(VALU_DEP_2) | instskip(NEXT) | instid1(VALU_DEP_2)
	v_xor3_b32 v6, v25, v6, v17
	v_mad_u64_u32 v[7:8], null, 0xcd9e8d57, v9, 0
	s_delay_alu instid0(VALU_DEP_1) | instskip(NEXT) | instid1(VALU_DEP_3)
	v_xor3_b32 v4, v26, v8, v4
	v_mad_u64_u32 v[8:9], null, 0xcd9e8d57, v6, 0
	s_delay_alu instid0(VALU_DEP_2) | instskip(NEXT) | instid1(VALU_DEP_2)
	v_mad_u64_u32 v[17:18], null, 0xd2511f53, v4, 0
	v_xor3_b32 v6, v27, v9, v7
	s_delay_alu instid0(VALU_DEP_2) | instskip(NEXT) | instid1(VALU_DEP_2)
	v_xor3_b32 v9, v28, v18, v5
	v_mad_u64_u32 v[4:5], null, 0xd2511f53, v6, 0
	s_delay_alu instid0(VALU_DEP_2) | instskip(NEXT) | instid1(VALU_DEP_2)
	v_mad_u64_u32 v[6:7], null, 0xcd9e8d57, v9, 0
	v_xor3_b32 v5, v31, v5, v17
	s_delay_alu instid0(VALU_DEP_2) | instskip(NEXT) | instid1(VALU_DEP_2)
	;; [unrolled: 6-line block ×6, first 2 shown]
	v_xor3_b32 v4, v6, v7, v30
	v_mov_b32_e32 v6, v10
	v_cmpx_lt_i32_e32 1, v29
	s_xor_b32 s0, exec_lo, s0
	s_cbranch_execnz .LBB45_12
; %bb.10:                               ;   in Loop: Header=BB45_9 Depth=1
	s_and_not1_saveexec_b32 s0, s0
	s_cbranch_execnz .LBB45_17
.LBB45_11:                              ;   in Loop: Header=BB45_9 Depth=1
	s_or_b32 exec_lo, exec_lo, s0
	s_delay_alu instid0(SALU_CYCLE_1)
	s_mov_b32 s36, exec_lo
	v_cmpx_gt_i64_e64 s[16:17], v[15:16]
	s_cbranch_execnz .LBB45_20
	s_branch .LBB45_38
.LBB45_12:                              ;   in Loop: Header=BB45_9 Depth=1
	s_mov_b32 s1, exec_lo
	v_cmpx_lt_i32_e32 2, v29
	s_xor_b32 s1, exec_lo, s1
; %bb.13:                               ;   in Loop: Header=BB45_9 Depth=1
	v_dual_mov_b32 v7, v3 :: v_dual_mov_b32 v8, v4
	v_mov_b32_e32 v9, v5
	s_delay_alu instid0(VALU_DEP_2) | instskip(NEXT) | instid1(VALU_DEP_2)
	v_dual_mov_b32 v0, v7 :: v_dual_mov_b32 v1, v8
	v_dual_mov_b32 v2, v9 :: v_dual_mov_b32 v3, v10
; %bb.14:                               ;   in Loop: Header=BB45_9 Depth=1
	s_and_not1_saveexec_b32 s1, s1
; %bb.15:                               ;   in Loop: Header=BB45_9 Depth=1
	s_delay_alu instid0(VALU_DEP_1)
	v_dual_mov_b32 v0, v2 :: v_dual_mov_b32 v1, v3
	v_dual_mov_b32 v2, v4 :: v_dual_mov_b32 v3, v5
; %bb.16:                               ;   in Loop: Header=BB45_9 Depth=1
	s_or_b32 exec_lo, exec_lo, s1
	s_and_not1_saveexec_b32 s0, s0
	s_cbranch_execz .LBB45_11
.LBB45_17:                              ;   in Loop: Header=BB45_9 Depth=1
	s_mov_b32 s1, exec_lo
	v_cmpx_eq_u32_e32 1, v29
; %bb.18:                               ;   in Loop: Header=BB45_9 Depth=1
	v_dual_mov_b32 v0, v1 :: v_dual_mov_b32 v1, v2
	v_dual_mov_b32 v2, v3 :: v_dual_mov_b32 v3, v4
; %bb.19:                               ;   in Loop: Header=BB45_9 Depth=1
	s_or_b32 exec_lo, exec_lo, s1
	s_delay_alu instid0(SALU_CYCLE_1) | instskip(NEXT) | instid1(SALU_CYCLE_1)
	s_or_b32 exec_lo, exec_lo, s0
	s_mov_b32 s36, exec_lo
	v_cmpx_gt_i64_e64 s[16:17], v[15:16]
	s_cbranch_execz .LBB45_38
.LBB45_20:                              ;   in Loop: Header=BB45_9 Depth=1
	s_and_not1_b32 vcc_lo, exec_lo, s11
	s_cbranch_vccnz .LBB45_26
; %bb.21:                               ;   in Loop: Header=BB45_9 Depth=1
	v_mov_b32_e32 v7, 0
	s_and_not1_b32 vcc_lo, exec_lo, s21
	s_cbranch_vccnz .LBB45_30
; %bb.22:                               ;   in Loop: Header=BB45_9 Depth=1
	s_and_not1_b32 vcc_lo, exec_lo, s33
	s_mov_b32 s0, 0
	s_cbranch_vccnz .LBB45_27
; %bb.23:                               ;   in Loop: Header=BB45_9 Depth=1
	v_dual_mov_b32 v7, 0 :: v_dual_mov_b32 v8, v15
	s_mov_b32 s37, 0
	s_mov_b64 s[0:1], s[18:19]
	s_mov_b64 s[26:27], s[24:25]
.LBB45_24:                              ;   Parent Loop BB45_9 Depth=1
                                        ; =>  This Inner Loop Header: Depth=2
	s_clause 0x1
	s_load_b256 s[40:47], s[0:1], 0x4
	s_load_b128 s[48:51], s[0:1], 0x24
	s_load_b128 s[52:55], s[26:27], 0x0
	s_add_u32 s0, s0, 48
	s_addc_u32 s1, s1, 0
	s_add_i32 s37, s37, 4
	s_add_u32 s26, s26, 16
	s_addc_u32 s27, s27, 0
	s_cmp_lg_u32 s34, s37
	s_waitcnt lgkmcnt(0)
	v_mul_hi_u32 v9, s41, v8
	s_delay_alu instid0(VALU_DEP_1) | instskip(NEXT) | instid1(VALU_DEP_1)
	v_add_nc_u32_e32 v9, v8, v9
	v_lshrrev_b32_e32 v9, s42, v9
	s_delay_alu instid0(VALU_DEP_1) | instskip(SKIP_1) | instid1(VALU_DEP_2)
	v_mul_hi_u32 v10, s44, v9
	v_mul_lo_u32 v42, v9, s40
	v_add_nc_u32_e32 v10, v9, v10
	s_delay_alu instid0(VALU_DEP_2) | instskip(NEXT) | instid1(VALU_DEP_2)
	v_sub_nc_u32_e32 v42, v8, v42
	v_lshrrev_b32_e32 v10, s45, v10
	s_delay_alu instid0(VALU_DEP_2) | instskip(NEXT) | instid1(VALU_DEP_2)
	v_mul_lo_u32 v42, v42, s52
	v_mul_hi_u32 v14, s47, v10
	v_mul_lo_u32 v43, v10, s43
	s_delay_alu instid0(VALU_DEP_2) | instskip(NEXT) | instid1(VALU_DEP_2)
	v_add_nc_u32_e32 v14, v10, v14
	v_sub_nc_u32_e32 v9, v9, v43
	s_delay_alu instid0(VALU_DEP_2) | instskip(NEXT) | instid1(VALU_DEP_2)
	v_lshrrev_b32_e32 v14, s48, v14
	v_mul_lo_u32 v9, v9, s53
	s_delay_alu instid0(VALU_DEP_2) | instskip(NEXT) | instid1(VALU_DEP_2)
	v_mul_hi_u32 v18, s50, v14
	v_add3_u32 v7, v42, v7, v9
	s_delay_alu instid0(VALU_DEP_2) | instskip(NEXT) | instid1(VALU_DEP_1)
	v_add_nc_u32_e32 v18, v14, v18
	v_lshrrev_b32_e32 v8, s51, v18
	v_mul_lo_u32 v18, v14, s46
	s_delay_alu instid0(VALU_DEP_2) | instskip(NEXT) | instid1(VALU_DEP_2)
	v_mul_lo_u32 v44, v8, s49
	v_sub_nc_u32_e32 v10, v10, v18
	s_delay_alu instid0(VALU_DEP_2) | instskip(NEXT) | instid1(VALU_DEP_2)
	v_sub_nc_u32_e32 v14, v14, v44
	v_mul_lo_u32 v10, v10, s54
	s_delay_alu instid0(VALU_DEP_2) | instskip(NEXT) | instid1(VALU_DEP_1)
	v_mul_lo_u32 v14, v14, s55
	v_add3_u32 v7, v10, v7, v14
	s_cbranch_scc1 .LBB45_24
; %bb.25:                               ;   in Loop: Header=BB45_9 Depth=1
	s_mov_b32 s0, s34
	s_and_not1_b32 vcc_lo, exec_lo, s35
	s_cbranch_vccz .LBB45_28
	s_branch .LBB45_30
.LBB45_26:                              ;   in Loop: Header=BB45_9 Depth=1
                                        ; implicit-def: $vgpr7
	s_branch .LBB45_31
.LBB45_27:                              ;   in Loop: Header=BB45_9 Depth=1
	v_mov_b32_e32 v8, v15
	s_and_not1_b32 vcc_lo, exec_lo, s35
	s_cbranch_vccnz .LBB45_30
.LBB45_28:                              ;   in Loop: Header=BB45_9 Depth=1
	s_lshl_b32 s1, s0, 2
	s_mul_i32 s26, s0, 12
	s_add_u32 s0, s24, s1
	s_addc_u32 s1, s25, 0
	s_add_u32 s26, s18, s26
	s_addc_u32 s27, s19, 0
	s_mov_b32 s37, s31
	.p2align	6
.LBB45_29:                              ;   Parent Loop BB45_9 Depth=1
                                        ; =>  This Inner Loop Header: Depth=2
	s_clause 0x1
	s_load_b64 s[38:39], s[26:27], 0x4
	s_load_b32 s40, s[26:27], 0xc
	s_add_u32 s26, s26, 12
	s_addc_u32 s27, s27, 0
	s_waitcnt lgkmcnt(0)
	v_mul_hi_u32 v9, s39, v8
	s_load_b32 s39, s[0:1], 0x0
	s_add_u32 s0, s0, 4
	s_addc_u32 s1, s1, 0
	s_add_i32 s37, s37, -1
	s_delay_alu instid0(SALU_CYCLE_1) | instskip(NEXT) | instid1(VALU_DEP_1)
	s_cmp_lg_u32 s37, 0
	v_add_nc_u32_e32 v9, v8, v9
	s_delay_alu instid0(VALU_DEP_1) | instskip(NEXT) | instid1(VALU_DEP_1)
	v_lshrrev_b32_e32 v14, s40, v9
	v_mul_lo_u32 v9, v14, s38
	s_delay_alu instid0(VALU_DEP_1) | instskip(SKIP_1) | instid1(VALU_DEP_1)
	v_sub_nc_u32_e32 v8, v8, v9
	s_waitcnt lgkmcnt(0)
	v_mad_u64_u32 v[9:10], null, v8, s39, v[7:8]
	s_delay_alu instid0(VALU_DEP_1)
	v_dual_mov_b32 v8, v14 :: v_dual_mov_b32 v7, v9
	s_cbranch_scc1 .LBB45_29
.LBB45_30:                              ;   in Loop: Header=BB45_9 Depth=1
	s_cbranch_execnz .LBB45_33
.LBB45_31:                              ;   in Loop: Header=BB45_9 Depth=1
	v_mul_hi_u32 v7, v15, s6
	s_and_not1_b32 vcc_lo, exec_lo, s4
	s_delay_alu instid0(VALU_DEP_1) | instskip(NEXT) | instid1(VALU_DEP_1)
	v_add_nc_u32_e32 v7, v7, v15
	v_lshrrev_b32_e32 v8, s7, v7
	s_delay_alu instid0(VALU_DEP_1) | instskip(NEXT) | instid1(VALU_DEP_1)
	v_mul_lo_u32 v7, v8, s5
	v_sub_nc_u32_e32 v7, v15, v7
	s_delay_alu instid0(VALU_DEP_1)
	v_mul_lo_u32 v7, v7, s22
	s_cbranch_vccnz .LBB45_33
; %bb.32:                               ;   in Loop: Header=BB45_9 Depth=1
	v_mul_hi_u32 v9, s9, v8
	s_delay_alu instid0(VALU_DEP_1) | instskip(NEXT) | instid1(VALU_DEP_1)
	v_add_nc_u32_e32 v9, v8, v9
	v_lshrrev_b32_e32 v9, s10, v9
	s_delay_alu instid0(VALU_DEP_1) | instskip(NEXT) | instid1(VALU_DEP_1)
	v_mul_lo_u32 v9, v9, s8
	v_sub_nc_u32_e32 v10, v8, v9
	s_delay_alu instid0(VALU_DEP_1) | instskip(NEXT) | instid1(VALU_DEP_1)
	v_mad_u64_u32 v[8:9], null, v10, s23, v[7:8]
	v_mov_b32_e32 v7, v8
.LBB45_33:                              ;   in Loop: Header=BB45_9 Depth=1
	v_or_b32_e32 v14, s15, v0
                                        ; implicit-def: $vgpr8_vgpr9
	s_mov_b32 s0, exec_lo
	s_delay_alu instid0(VALU_DEP_1)
	v_cmpx_ne_u64_e32 0, v[13:14]
	s_xor_b32 s1, exec_lo, s0
	s_cbranch_execz .LBB45_35
; %bb.34:                               ;   in Loop: Header=BB45_9 Depth=1
	v_cvt_f32_u32_e32 v8, s14
	v_cvt_f32_u32_e32 v9, s15
	s_sub_u32 s0, 0, s14
	s_subb_u32 s26, 0, s15
	s_delay_alu instid0(VALU_DEP_1) | instskip(NEXT) | instid1(VALU_DEP_1)
	v_fmac_f32_e32 v8, 0x4f800000, v9
	v_rcp_f32_e32 v8, v8
	s_waitcnt_depctr 0xfff
	v_mul_f32_e32 v8, 0x5f7ffffc, v8
	s_delay_alu instid0(VALU_DEP_1) | instskip(NEXT) | instid1(VALU_DEP_1)
	v_mul_f32_e32 v9, 0x2f800000, v8
	v_trunc_f32_e32 v9, v9
	s_delay_alu instid0(VALU_DEP_1) | instskip(SKIP_1) | instid1(VALU_DEP_2)
	v_fmac_f32_e32 v8, 0xcf800000, v9
	v_cvt_u32_f32_e32 v9, v9
	v_cvt_u32_f32_e32 v8, v8
	s_delay_alu instid0(VALU_DEP_2) | instskip(NEXT) | instid1(VALU_DEP_2)
	v_mul_lo_u32 v10, s0, v9
	v_mul_hi_u32 v14, s0, v8
	v_mul_lo_u32 v18, s26, v8
	s_delay_alu instid0(VALU_DEP_2) | instskip(SKIP_1) | instid1(VALU_DEP_2)
	v_add_nc_u32_e32 v10, v14, v10
	v_mul_lo_u32 v14, s0, v8
	v_add_nc_u32_e32 v10, v10, v18
	s_delay_alu instid0(VALU_DEP_2) | instskip(NEXT) | instid1(VALU_DEP_2)
	v_mul_hi_u32 v18, v8, v14
	v_mul_lo_u32 v42, v8, v10
	v_mul_hi_u32 v43, v8, v10
	v_mul_hi_u32 v44, v9, v14
	v_mul_lo_u32 v14, v9, v14
	v_mul_hi_u32 v45, v9, v10
	v_mul_lo_u32 v10, v9, v10
	v_add_co_u32 v18, vcc_lo, v18, v42
	v_add_co_ci_u32_e32 v42, vcc_lo, 0, v43, vcc_lo
	s_delay_alu instid0(VALU_DEP_2) | instskip(NEXT) | instid1(VALU_DEP_2)
	v_add_co_u32 v14, vcc_lo, v18, v14
	v_add_co_ci_u32_e32 v14, vcc_lo, v42, v44, vcc_lo
	v_add_co_ci_u32_e32 v18, vcc_lo, 0, v45, vcc_lo
	s_delay_alu instid0(VALU_DEP_2) | instskip(NEXT) | instid1(VALU_DEP_2)
	v_add_co_u32 v10, vcc_lo, v14, v10
	v_add_co_ci_u32_e32 v14, vcc_lo, 0, v18, vcc_lo
	s_delay_alu instid0(VALU_DEP_2) | instskip(NEXT) | instid1(VALU_DEP_2)
	v_add_co_u32 v8, vcc_lo, v8, v10
	v_add_co_ci_u32_e32 v9, vcc_lo, v9, v14, vcc_lo
	s_delay_alu instid0(VALU_DEP_2) | instskip(SKIP_1) | instid1(VALU_DEP_3)
	v_mul_hi_u32 v10, s0, v8
	v_mul_lo_u32 v18, s26, v8
	v_mul_lo_u32 v14, s0, v9
	s_delay_alu instid0(VALU_DEP_1) | instskip(SKIP_1) | instid1(VALU_DEP_2)
	v_add_nc_u32_e32 v10, v10, v14
	v_mul_lo_u32 v14, s0, v8
	v_add_nc_u32_e32 v10, v10, v18
	s_delay_alu instid0(VALU_DEP_2) | instskip(NEXT) | instid1(VALU_DEP_2)
	v_mul_hi_u32 v18, v8, v14
	v_mul_lo_u32 v42, v8, v10
	v_mul_hi_u32 v43, v8, v10
	v_mul_hi_u32 v44, v9, v14
	v_mul_lo_u32 v14, v9, v14
	v_mul_hi_u32 v45, v9, v10
	v_mul_lo_u32 v10, v9, v10
	v_add_co_u32 v18, vcc_lo, v18, v42
	v_add_co_ci_u32_e32 v42, vcc_lo, 0, v43, vcc_lo
	s_delay_alu instid0(VALU_DEP_2) | instskip(NEXT) | instid1(VALU_DEP_2)
	v_add_co_u32 v14, vcc_lo, v18, v14
	v_add_co_ci_u32_e32 v14, vcc_lo, v42, v44, vcc_lo
	v_add_co_ci_u32_e32 v18, vcc_lo, 0, v45, vcc_lo
	s_delay_alu instid0(VALU_DEP_2) | instskip(NEXT) | instid1(VALU_DEP_2)
	v_add_co_u32 v10, vcc_lo, v14, v10
	v_add_co_ci_u32_e32 v14, vcc_lo, 0, v18, vcc_lo
	s_delay_alu instid0(VALU_DEP_2) | instskip(NEXT) | instid1(VALU_DEP_2)
	v_add_co_u32 v10, vcc_lo, v8, v10
	v_add_co_ci_u32_e32 v14, vcc_lo, v9, v14, vcc_lo
	s_delay_alu instid0(VALU_DEP_2) | instskip(SKIP_1) | instid1(VALU_DEP_3)
	v_mul_hi_u32 v18, v1, v10
	v_mad_u64_u32 v[42:43], null, v0, v10, 0
	v_mad_u64_u32 v[8:9], null, v1, v14, 0
	v_mad_u64_u32 v[44:45], null, v0, v14, 0
	s_delay_alu instid0(VALU_DEP_2) | instskip(NEXT) | instid1(VALU_DEP_3)
	v_add_co_u32 v8, vcc_lo, v18, v8
	v_add_co_ci_u32_e32 v9, vcc_lo, 0, v9, vcc_lo
	s_delay_alu instid0(VALU_DEP_2) | instskip(NEXT) | instid1(VALU_DEP_2)
	v_add_co_u32 v8, vcc_lo, v8, v42
	v_add_co_ci_u32_e32 v8, vcc_lo, v9, v43, vcc_lo
	v_add_co_ci_u32_e32 v9, vcc_lo, 0, v45, vcc_lo
	s_delay_alu instid0(VALU_DEP_2) | instskip(NEXT) | instid1(VALU_DEP_2)
	v_add_co_u32 v10, vcc_lo, v8, v44
	v_add_co_ci_u32_e32 v14, vcc_lo, 0, v9, vcc_lo
	s_delay_alu instid0(VALU_DEP_2) | instskip(SKIP_1) | instid1(VALU_DEP_3)
	v_mul_lo_u32 v18, s15, v10
	v_mad_u64_u32 v[8:9], null, s14, v10, 0
	v_mul_lo_u32 v10, s14, v14
	s_delay_alu instid0(VALU_DEP_2) | instskip(NEXT) | instid1(VALU_DEP_2)
	v_sub_co_u32 v8, vcc_lo, v1, v8
	v_add3_u32 v9, v9, v10, v18
	s_delay_alu instid0(VALU_DEP_1) | instskip(NEXT) | instid1(VALU_DEP_1)
	v_sub_nc_u32_e32 v10, v0, v9
	v_subrev_co_ci_u32_e64 v10, s0, s15, v10, vcc_lo
	s_delay_alu instid0(VALU_DEP_4) | instskip(SKIP_1) | instid1(VALU_DEP_3)
	v_sub_co_u32 v14, s0, v8, s14
	v_sub_co_ci_u32_e32 v0, vcc_lo, v0, v9, vcc_lo
	v_subrev_co_ci_u32_e64 v10, s0, 0, v10, s0
	s_delay_alu instid0(VALU_DEP_3) | instskip(SKIP_1) | instid1(VALU_DEP_3)
	v_cmp_le_u32_e32 vcc_lo, s14, v14
	v_cndmask_b32_e64 v9, 0, -1, vcc_lo
	v_cmp_le_u32_e32 vcc_lo, s15, v10
	v_cndmask_b32_e64 v18, 0, -1, vcc_lo
	;; [unrolled: 2-line block ×4, first 2 shown]
	v_cmp_eq_u32_e32 vcc_lo, s15, v10
	v_cndmask_b32_e32 v9, v18, v9, vcc_lo
	v_sub_co_u32 v10, vcc_lo, v14, s14
	v_cmp_eq_u32_e32 vcc_lo, s15, v0
	v_cndmask_b32_e32 v0, v43, v42, vcc_lo
	s_delay_alu instid0(VALU_DEP_4) | instskip(NEXT) | instid1(VALU_DEP_4)
	v_cmp_ne_u32_e32 vcc_lo, 0, v9
	v_cndmask_b32_e32 v9, v14, v10, vcc_lo
	s_delay_alu instid0(VALU_DEP_3) | instskip(NEXT) | instid1(VALU_DEP_2)
	v_cmp_ne_u32_e32 vcc_lo, 0, v0
	v_cndmask_b32_e32 v8, v8, v9, vcc_lo
.LBB45_35:                              ;   in Loop: Header=BB45_9 Depth=1
	s_and_not1_saveexec_b32 s0, s1
	s_cbranch_execz .LBB45_37
; %bb.36:                               ;   in Loop: Header=BB45_9 Depth=1
	v_cvt_f32_u32_e32 v0, s14
	s_sub_i32 s1, 0, s14
	s_delay_alu instid0(VALU_DEP_1) | instskip(SKIP_2) | instid1(VALU_DEP_1)
	v_rcp_iflag_f32_e32 v0, v0
	s_waitcnt_depctr 0xfff
	v_mul_f32_e32 v0, 0x4f7ffffe, v0
	v_cvt_u32_f32_e32 v0, v0
	s_delay_alu instid0(VALU_DEP_1) | instskip(NEXT) | instid1(VALU_DEP_1)
	v_mul_lo_u32 v8, s1, v0
	v_mul_hi_u32 v8, v0, v8
	s_delay_alu instid0(VALU_DEP_1) | instskip(NEXT) | instid1(VALU_DEP_1)
	v_add_nc_u32_e32 v0, v0, v8
	v_mul_hi_u32 v0, v1, v0
	s_delay_alu instid0(VALU_DEP_1) | instskip(NEXT) | instid1(VALU_DEP_1)
	v_mul_lo_u32 v0, v0, s14
	v_sub_nc_u32_e32 v0, v1, v0
	s_delay_alu instid0(VALU_DEP_1) | instskip(SKIP_1) | instid1(VALU_DEP_2)
	v_subrev_nc_u32_e32 v1, s14, v0
	v_cmp_le_u32_e32 vcc_lo, s14, v0
	v_cndmask_b32_e32 v0, v0, v1, vcc_lo
	s_delay_alu instid0(VALU_DEP_1) | instskip(SKIP_1) | instid1(VALU_DEP_2)
	v_subrev_nc_u32_e32 v1, s14, v0
	v_cmp_le_u32_e32 vcc_lo, s14, v0
	v_cndmask_b32_e32 v8, v0, v1, vcc_lo
.LBB45_37:                              ;   in Loop: Header=BB45_9 Depth=1
	s_or_b32 exec_lo, exec_lo, s0
	s_delay_alu instid0(VALU_DEP_1)
	v_add_nc_u32_e32 v0, s20, v8
	global_store_b32 v7, v0, s[12:13]
.LBB45_38:                              ;   in Loop: Header=BB45_9 Depth=1
	s_or_b32 exec_lo, exec_lo, s36
	v_add_co_u32 v0, vcc_lo, v15, s28
	v_add_co_ci_u32_e32 v1, vcc_lo, 0, v16, vcc_lo
	s_mov_b32 s36, exec_lo
	s_delay_alu instid0(VALU_DEP_1)
	v_cmpx_gt_i64_e64 s[16:17], v[0:1]
	s_cbranch_execz .LBB45_8
; %bb.39:                               ;   in Loop: Header=BB45_9 Depth=1
	s_and_not1_b32 vcc_lo, exec_lo, s11
	s_cbranch_vccnz .LBB45_45
; %bb.40:                               ;   in Loop: Header=BB45_9 Depth=1
	v_mov_b32_e32 v7, 0
	s_and_not1_b32 vcc_lo, exec_lo, s21
	s_cbranch_vccnz .LBB45_49
; %bb.41:                               ;   in Loop: Header=BB45_9 Depth=1
	s_and_not1_b32 vcc_lo, exec_lo, s33
	s_mov_b32 s0, 0
	s_cbranch_vccnz .LBB45_46
; %bb.42:                               ;   in Loop: Header=BB45_9 Depth=1
	v_mov_b32_e32 v7, 0
	v_mov_b32_e32 v1, v0
	s_mov_b32 s37, 0
	s_mov_b64 s[0:1], s[18:19]
	s_mov_b64 s[26:27], s[24:25]
.LBB45_43:                              ;   Parent Loop BB45_9 Depth=1
                                        ; =>  This Inner Loop Header: Depth=2
	s_clause 0x1
	s_load_b256 s[40:47], s[0:1], 0x4
	s_load_b128 s[48:51], s[0:1], 0x24
	s_load_b128 s[52:55], s[26:27], 0x0
	s_add_u32 s0, s0, 48
	s_addc_u32 s1, s1, 0
	s_add_i32 s37, s37, 4
	s_add_u32 s26, s26, 16
	s_addc_u32 s27, s27, 0
	s_cmp_eq_u32 s34, s37
	s_waitcnt lgkmcnt(0)
	v_mul_hi_u32 v8, s41, v1
	s_delay_alu instid0(VALU_DEP_1) | instskip(NEXT) | instid1(VALU_DEP_1)
	v_add_nc_u32_e32 v8, v1, v8
	v_lshrrev_b32_e32 v8, s42, v8
	s_delay_alu instid0(VALU_DEP_1) | instskip(SKIP_1) | instid1(VALU_DEP_2)
	v_mul_hi_u32 v9, s44, v8
	v_mul_lo_u32 v18, v8, s40
	v_add_nc_u32_e32 v9, v8, v9
	s_delay_alu instid0(VALU_DEP_2) | instskip(NEXT) | instid1(VALU_DEP_2)
	v_sub_nc_u32_e32 v18, v1, v18
	v_lshrrev_b32_e32 v9, s45, v9
	s_delay_alu instid0(VALU_DEP_2) | instskip(NEXT) | instid1(VALU_DEP_2)
	v_mul_lo_u32 v18, v18, s52
	v_mul_hi_u32 v10, s47, v9
	v_mul_lo_u32 v42, v9, s43
	s_delay_alu instid0(VALU_DEP_2) | instskip(NEXT) | instid1(VALU_DEP_2)
	v_add_nc_u32_e32 v10, v9, v10
	v_sub_nc_u32_e32 v8, v8, v42
	s_delay_alu instid0(VALU_DEP_2) | instskip(NEXT) | instid1(VALU_DEP_2)
	v_lshrrev_b32_e32 v10, s48, v10
	v_mul_lo_u32 v8, v8, s53
	s_delay_alu instid0(VALU_DEP_2) | instskip(NEXT) | instid1(VALU_DEP_2)
	v_mul_hi_u32 v14, s50, v10
	v_add3_u32 v7, v18, v7, v8
	s_delay_alu instid0(VALU_DEP_2) | instskip(NEXT) | instid1(VALU_DEP_1)
	v_add_nc_u32_e32 v14, v10, v14
	v_lshrrev_b32_e32 v1, s51, v14
	v_mul_lo_u32 v14, v10, s46
	s_delay_alu instid0(VALU_DEP_2) | instskip(NEXT) | instid1(VALU_DEP_2)
	v_mul_lo_u32 v43, v1, s49
	v_sub_nc_u32_e32 v9, v9, v14
	s_delay_alu instid0(VALU_DEP_2) | instskip(NEXT) | instid1(VALU_DEP_2)
	v_sub_nc_u32_e32 v10, v10, v43
	v_mul_lo_u32 v9, v9, s54
	s_delay_alu instid0(VALU_DEP_2) | instskip(NEXT) | instid1(VALU_DEP_1)
	v_mul_lo_u32 v10, v10, s55
	v_add3_u32 v7, v9, v7, v10
	s_cbranch_scc0 .LBB45_43
; %bb.44:                               ;   in Loop: Header=BB45_9 Depth=1
	s_mov_b32 s0, s34
	s_and_not1_b32 vcc_lo, exec_lo, s35
	s_cbranch_vccz .LBB45_47
	s_branch .LBB45_49
.LBB45_45:                              ;   in Loop: Header=BB45_9 Depth=1
                                        ; implicit-def: $vgpr7
	s_branch .LBB45_50
.LBB45_46:                              ;   in Loop: Header=BB45_9 Depth=1
	v_mov_b32_e32 v1, v0
	s_and_not1_b32 vcc_lo, exec_lo, s35
	s_cbranch_vccnz .LBB45_49
.LBB45_47:                              ;   in Loop: Header=BB45_9 Depth=1
	s_lshl_b32 s1, s0, 2
	s_mul_i32 s26, s0, 12
	s_add_u32 s0, s24, s1
	s_addc_u32 s1, s25, 0
	s_add_u32 s26, s18, s26
	s_addc_u32 s27, s19, 0
	s_mov_b32 s37, s31
	.p2align	6
.LBB45_48:                              ;   Parent Loop BB45_9 Depth=1
                                        ; =>  This Inner Loop Header: Depth=2
	s_clause 0x1
	s_load_b64 s[38:39], s[26:27], 0x4
	s_load_b32 s40, s[26:27], 0xc
	s_add_u32 s26, s26, 12
	s_addc_u32 s27, s27, 0
	s_waitcnt lgkmcnt(0)
	v_mul_hi_u32 v8, s39, v1
	s_load_b32 s39, s[0:1], 0x0
	s_add_u32 s0, s0, 4
	s_addc_u32 s1, s1, 0
	s_add_i32 s37, s37, -1
	s_delay_alu instid0(SALU_CYCLE_1) | instskip(NEXT) | instid1(VALU_DEP_1)
	s_cmp_lg_u32 s37, 0
	v_add_nc_u32_e32 v8, v1, v8
	s_delay_alu instid0(VALU_DEP_1) | instskip(NEXT) | instid1(VALU_DEP_1)
	v_lshrrev_b32_e32 v10, s40, v8
	v_mul_lo_u32 v8, v10, s38
	s_delay_alu instid0(VALU_DEP_1) | instskip(SKIP_1) | instid1(VALU_DEP_1)
	v_sub_nc_u32_e32 v1, v1, v8
	s_waitcnt lgkmcnt(0)
	v_mad_u64_u32 v[8:9], null, v1, s39, v[7:8]
	v_mov_b32_e32 v1, v10
	s_delay_alu instid0(VALU_DEP_2)
	v_mov_b32_e32 v7, v8
	s_cbranch_scc1 .LBB45_48
.LBB45_49:                              ;   in Loop: Header=BB45_9 Depth=1
	s_cbranch_execnz .LBB45_52
.LBB45_50:                              ;   in Loop: Header=BB45_9 Depth=1
	v_mul_hi_u32 v1, v0, s6
	s_and_not1_b32 vcc_lo, exec_lo, s4
	s_delay_alu instid0(VALU_DEP_1) | instskip(NEXT) | instid1(VALU_DEP_1)
	v_add_nc_u32_e32 v1, v1, v0
	v_lshrrev_b32_e32 v1, s7, v1
	s_delay_alu instid0(VALU_DEP_1) | instskip(NEXT) | instid1(VALU_DEP_1)
	v_mul_lo_u32 v7, v1, s5
	v_sub_nc_u32_e32 v0, v0, v7
	s_delay_alu instid0(VALU_DEP_1)
	v_mul_lo_u32 v7, v0, s22
	s_cbranch_vccnz .LBB45_52
; %bb.51:                               ;   in Loop: Header=BB45_9 Depth=1
	v_mul_hi_u32 v0, s9, v1
	s_delay_alu instid0(VALU_DEP_1) | instskip(NEXT) | instid1(VALU_DEP_1)
	v_add_nc_u32_e32 v0, v1, v0
	v_lshrrev_b32_e32 v0, s10, v0
	s_delay_alu instid0(VALU_DEP_1) | instskip(NEXT) | instid1(VALU_DEP_1)
	v_mul_lo_u32 v0, v0, s8
	v_sub_nc_u32_e32 v8, v1, v0
	s_delay_alu instid0(VALU_DEP_1) | instskip(NEXT) | instid1(VALU_DEP_1)
	v_mad_u64_u32 v[0:1], null, v8, s23, v[7:8]
	v_mov_b32_e32 v7, v0
.LBB45_52:                              ;   in Loop: Header=BB45_9 Depth=1
	v_or_b32_e32 v14, s15, v2
                                        ; implicit-def: $vgpr8_vgpr9
	s_mov_b32 s0, exec_lo
	s_delay_alu instid0(VALU_DEP_1)
	v_cmpx_ne_u64_e32 0, v[13:14]
	s_xor_b32 s1, exec_lo, s0
	s_cbranch_execz .LBB45_54
; %bb.53:                               ;   in Loop: Header=BB45_9 Depth=1
	v_cvt_f32_u32_e32 v0, s14
	v_cvt_f32_u32_e32 v1, s15
	s_sub_u32 s0, 0, s14
	s_subb_u32 s26, 0, s15
	s_delay_alu instid0(VALU_DEP_1) | instskip(NEXT) | instid1(VALU_DEP_1)
	v_fmac_f32_e32 v0, 0x4f800000, v1
	v_rcp_f32_e32 v0, v0
	s_waitcnt_depctr 0xfff
	v_mul_f32_e32 v0, 0x5f7ffffc, v0
	s_delay_alu instid0(VALU_DEP_1) | instskip(NEXT) | instid1(VALU_DEP_1)
	v_mul_f32_e32 v1, 0x2f800000, v0
	v_trunc_f32_e32 v1, v1
	s_delay_alu instid0(VALU_DEP_1) | instskip(SKIP_1) | instid1(VALU_DEP_2)
	v_fmac_f32_e32 v0, 0xcf800000, v1
	v_cvt_u32_f32_e32 v1, v1
	v_cvt_u32_f32_e32 v0, v0
	s_delay_alu instid0(VALU_DEP_2) | instskip(NEXT) | instid1(VALU_DEP_2)
	v_mul_lo_u32 v8, s0, v1
	v_mul_hi_u32 v9, s0, v0
	v_mul_lo_u32 v10, s26, v0
	s_delay_alu instid0(VALU_DEP_2) | instskip(SKIP_1) | instid1(VALU_DEP_2)
	v_add_nc_u32_e32 v8, v9, v8
	v_mul_lo_u32 v9, s0, v0
	v_add_nc_u32_e32 v8, v8, v10
	s_delay_alu instid0(VALU_DEP_2) | instskip(NEXT) | instid1(VALU_DEP_2)
	v_mul_hi_u32 v10, v0, v9
	v_mul_lo_u32 v14, v0, v8
	v_mul_hi_u32 v18, v0, v8
	v_mul_hi_u32 v42, v1, v9
	v_mul_lo_u32 v9, v1, v9
	v_mul_hi_u32 v43, v1, v8
	v_mul_lo_u32 v8, v1, v8
	v_add_co_u32 v10, vcc_lo, v10, v14
	v_add_co_ci_u32_e32 v14, vcc_lo, 0, v18, vcc_lo
	s_delay_alu instid0(VALU_DEP_2) | instskip(NEXT) | instid1(VALU_DEP_2)
	v_add_co_u32 v9, vcc_lo, v10, v9
	v_add_co_ci_u32_e32 v9, vcc_lo, v14, v42, vcc_lo
	v_add_co_ci_u32_e32 v10, vcc_lo, 0, v43, vcc_lo
	s_delay_alu instid0(VALU_DEP_2) | instskip(NEXT) | instid1(VALU_DEP_2)
	v_add_co_u32 v8, vcc_lo, v9, v8
	v_add_co_ci_u32_e32 v9, vcc_lo, 0, v10, vcc_lo
	s_delay_alu instid0(VALU_DEP_2) | instskip(NEXT) | instid1(VALU_DEP_2)
	v_add_co_u32 v0, vcc_lo, v0, v8
	v_add_co_ci_u32_e32 v1, vcc_lo, v1, v9, vcc_lo
	s_delay_alu instid0(VALU_DEP_2) | instskip(SKIP_1) | instid1(VALU_DEP_3)
	v_mul_hi_u32 v8, s0, v0
	v_mul_lo_u32 v10, s26, v0
	v_mul_lo_u32 v9, s0, v1
	s_delay_alu instid0(VALU_DEP_1) | instskip(SKIP_1) | instid1(VALU_DEP_2)
	v_add_nc_u32_e32 v8, v8, v9
	v_mul_lo_u32 v9, s0, v0
	v_add_nc_u32_e32 v8, v8, v10
	s_delay_alu instid0(VALU_DEP_2) | instskip(NEXT) | instid1(VALU_DEP_2)
	v_mul_hi_u32 v10, v0, v9
	v_mul_lo_u32 v14, v0, v8
	v_mul_hi_u32 v18, v0, v8
	v_mul_hi_u32 v42, v1, v9
	v_mul_lo_u32 v9, v1, v9
	v_mul_hi_u32 v43, v1, v8
	v_mul_lo_u32 v8, v1, v8
	v_add_co_u32 v10, vcc_lo, v10, v14
	v_add_co_ci_u32_e32 v14, vcc_lo, 0, v18, vcc_lo
	s_delay_alu instid0(VALU_DEP_2) | instskip(NEXT) | instid1(VALU_DEP_2)
	v_add_co_u32 v9, vcc_lo, v10, v9
	v_add_co_ci_u32_e32 v9, vcc_lo, v14, v42, vcc_lo
	v_add_co_ci_u32_e32 v10, vcc_lo, 0, v43, vcc_lo
	s_delay_alu instid0(VALU_DEP_2) | instskip(NEXT) | instid1(VALU_DEP_2)
	v_add_co_u32 v8, vcc_lo, v9, v8
	v_add_co_ci_u32_e32 v9, vcc_lo, 0, v10, vcc_lo
	s_delay_alu instid0(VALU_DEP_2) | instskip(NEXT) | instid1(VALU_DEP_2)
	v_add_co_u32 v10, vcc_lo, v0, v8
	v_add_co_ci_u32_e32 v14, vcc_lo, v1, v9, vcc_lo
	s_delay_alu instid0(VALU_DEP_2) | instskip(SKIP_1) | instid1(VALU_DEP_3)
	v_mul_hi_u32 v18, v3, v10
	v_mad_u64_u32 v[8:9], null, v2, v10, 0
	v_mad_u64_u32 v[0:1], null, v3, v14, 0
	;; [unrolled: 1-line block ×3, first 2 shown]
	s_delay_alu instid0(VALU_DEP_2) | instskip(NEXT) | instid1(VALU_DEP_3)
	v_add_co_u32 v0, vcc_lo, v18, v0
	v_add_co_ci_u32_e32 v1, vcc_lo, 0, v1, vcc_lo
	s_delay_alu instid0(VALU_DEP_2) | instskip(NEXT) | instid1(VALU_DEP_2)
	v_add_co_u32 v0, vcc_lo, v0, v8
	v_add_co_ci_u32_e32 v0, vcc_lo, v1, v9, vcc_lo
	v_add_co_ci_u32_e32 v1, vcc_lo, 0, v43, vcc_lo
	s_delay_alu instid0(VALU_DEP_2) | instskip(NEXT) | instid1(VALU_DEP_2)
	v_add_co_u32 v8, vcc_lo, v0, v42
	v_add_co_ci_u32_e32 v9, vcc_lo, 0, v1, vcc_lo
	s_delay_alu instid0(VALU_DEP_2) | instskip(SKIP_1) | instid1(VALU_DEP_3)
	v_mul_lo_u32 v10, s15, v8
	v_mad_u64_u32 v[0:1], null, s14, v8, 0
	v_mul_lo_u32 v8, s14, v9
	s_delay_alu instid0(VALU_DEP_2) | instskip(NEXT) | instid1(VALU_DEP_2)
	v_sub_co_u32 v0, vcc_lo, v3, v0
	v_add3_u32 v1, v1, v8, v10
	s_delay_alu instid0(VALU_DEP_1) | instskip(NEXT) | instid1(VALU_DEP_1)
	v_sub_nc_u32_e32 v8, v2, v1
	v_subrev_co_ci_u32_e64 v3, s0, s15, v8, vcc_lo
	s_delay_alu instid0(VALU_DEP_4) | instskip(SKIP_1) | instid1(VALU_DEP_3)
	v_sub_co_u32 v8, s0, v0, s14
	v_sub_co_ci_u32_e32 v1, vcc_lo, v2, v1, vcc_lo
	v_subrev_co_ci_u32_e64 v3, s0, 0, v3, s0
	s_delay_alu instid0(VALU_DEP_3) | instskip(SKIP_1) | instid1(VALU_DEP_3)
	v_cmp_le_u32_e32 vcc_lo, s14, v8
	v_cndmask_b32_e64 v2, 0, -1, vcc_lo
	v_cmp_le_u32_e32 vcc_lo, s15, v3
	v_cndmask_b32_e64 v9, 0, -1, vcc_lo
	;; [unrolled: 2-line block ×4, first 2 shown]
	v_cmp_eq_u32_e32 vcc_lo, s15, v3
	v_cndmask_b32_e32 v2, v9, v2, vcc_lo
	v_sub_co_u32 v3, vcc_lo, v8, s14
	v_cmp_eq_u32_e32 vcc_lo, s15, v1
	v_cndmask_b32_e32 v1, v14, v10, vcc_lo
	s_delay_alu instid0(VALU_DEP_4) | instskip(NEXT) | instid1(VALU_DEP_4)
	v_cmp_ne_u32_e32 vcc_lo, 0, v2
	v_cndmask_b32_e32 v2, v8, v3, vcc_lo
	s_delay_alu instid0(VALU_DEP_3) | instskip(NEXT) | instid1(VALU_DEP_2)
	v_cmp_ne_u32_e32 vcc_lo, 0, v1
	v_cndmask_b32_e32 v8, v0, v2, vcc_lo
                                        ; implicit-def: $vgpr0_vgpr1_vgpr2_vgpr3
.LBB45_54:                              ;   in Loop: Header=BB45_9 Depth=1
	s_and_not1_saveexec_b32 s0, s1
	s_cbranch_execz .LBB45_7
; %bb.55:                               ;   in Loop: Header=BB45_9 Depth=1
	v_cvt_f32_u32_e32 v0, s14
	s_sub_i32 s1, 0, s14
	s_delay_alu instid0(VALU_DEP_1) | instskip(SKIP_2) | instid1(VALU_DEP_1)
	v_rcp_iflag_f32_e32 v0, v0
	s_waitcnt_depctr 0xfff
	v_mul_f32_e32 v0, 0x4f7ffffe, v0
	v_cvt_u32_f32_e32 v0, v0
	s_delay_alu instid0(VALU_DEP_1) | instskip(NEXT) | instid1(VALU_DEP_1)
	v_mul_lo_u32 v1, s1, v0
	v_mul_hi_u32 v1, v0, v1
	s_delay_alu instid0(VALU_DEP_1) | instskip(NEXT) | instid1(VALU_DEP_1)
	v_add_nc_u32_e32 v0, v0, v1
	v_mul_hi_u32 v0, v3, v0
	s_delay_alu instid0(VALU_DEP_1) | instskip(NEXT) | instid1(VALU_DEP_1)
	v_mul_lo_u32 v0, v0, s14
	v_sub_nc_u32_e32 v0, v3, v0
	s_delay_alu instid0(VALU_DEP_1) | instskip(SKIP_1) | instid1(VALU_DEP_2)
	v_subrev_nc_u32_e32 v1, s14, v0
	v_cmp_le_u32_e32 vcc_lo, s14, v0
	v_cndmask_b32_e32 v0, v0, v1, vcc_lo
	s_delay_alu instid0(VALU_DEP_1) | instskip(SKIP_1) | instid1(VALU_DEP_2)
	v_subrev_nc_u32_e32 v1, s14, v0
	v_cmp_le_u32_e32 vcc_lo, s14, v0
	v_cndmask_b32_e32 v8, v0, v1, vcc_lo
	s_branch .LBB45_7
.LBB45_56:
	s_endpgm
.LBB45_57:
                                        ; implicit-def: $sgpr2_sgpr3
	s_branch .LBB45_4
	.section	.rodata,"a",@progbits
	.p2align	6, 0x0
	.amdhsa_kernel _ZN2at6native12_GLOBAL__N_143distribution_elementwise_grid_stride_kernelImLi2EZZZNS0_9templates4cuda21random_from_to_kernelIPNS_17CUDAGeneratorImplEEEvRNS_18TensorIteratorBaseEmlT_ENKUlvE_clEvENKUlvE10_clEvEUlP25hiprandStatePhilox4_32_10E_ZNS1_27distribution_nullary_kernelIjm15HIP_vector_typeIyLj2EES7_SF_ZZZNS5_IS7_EEvS9_mlSA_ENKSB_clEvENKSC_clEvEUlmE_EEvS9_T2_RKT3_T4_EUlimE0_EEvlNS_15PhiloxCudaStateET1_SK_
		.amdhsa_group_segment_fixed_size 0
		.amdhsa_private_segment_fixed_size 0
		.amdhsa_kernarg_size 592
		.amdhsa_user_sgpr_count 15
		.amdhsa_user_sgpr_dispatch_ptr 0
		.amdhsa_user_sgpr_queue_ptr 0
		.amdhsa_user_sgpr_kernarg_segment_ptr 1
		.amdhsa_user_sgpr_dispatch_id 0
		.amdhsa_user_sgpr_private_segment_size 0
		.amdhsa_wavefront_size32 1
		.amdhsa_uses_dynamic_stack 0
		.amdhsa_enable_private_segment 0
		.amdhsa_system_sgpr_workgroup_id_x 1
		.amdhsa_system_sgpr_workgroup_id_y 0
		.amdhsa_system_sgpr_workgroup_id_z 0
		.amdhsa_system_sgpr_workgroup_info 0
		.amdhsa_system_vgpr_workitem_id 0
		.amdhsa_next_free_vgpr 46
		.amdhsa_next_free_sgpr 56
		.amdhsa_reserve_vcc 1
		.amdhsa_float_round_mode_32 0
		.amdhsa_float_round_mode_16_64 0
		.amdhsa_float_denorm_mode_32 3
		.amdhsa_float_denorm_mode_16_64 3
		.amdhsa_dx10_clamp 1
		.amdhsa_ieee_mode 1
		.amdhsa_fp16_overflow 0
		.amdhsa_workgroup_processor_mode 1
		.amdhsa_memory_ordered 1
		.amdhsa_forward_progress 0
		.amdhsa_shared_vgpr_count 0
		.amdhsa_exception_fp_ieee_invalid_op 0
		.amdhsa_exception_fp_denorm_src 0
		.amdhsa_exception_fp_ieee_div_zero 0
		.amdhsa_exception_fp_ieee_overflow 0
		.amdhsa_exception_fp_ieee_underflow 0
		.amdhsa_exception_fp_ieee_inexact 0
		.amdhsa_exception_int_div_zero 0
	.end_amdhsa_kernel
	.section	.text._ZN2at6native12_GLOBAL__N_143distribution_elementwise_grid_stride_kernelImLi2EZZZNS0_9templates4cuda21random_from_to_kernelIPNS_17CUDAGeneratorImplEEEvRNS_18TensorIteratorBaseEmlT_ENKUlvE_clEvENKUlvE10_clEvEUlP25hiprandStatePhilox4_32_10E_ZNS1_27distribution_nullary_kernelIjm15HIP_vector_typeIyLj2EES7_SF_ZZZNS5_IS7_EEvS9_mlSA_ENKSB_clEvENKSC_clEvEUlmE_EEvS9_T2_RKT3_T4_EUlimE0_EEvlNS_15PhiloxCudaStateET1_SK_,"axG",@progbits,_ZN2at6native12_GLOBAL__N_143distribution_elementwise_grid_stride_kernelImLi2EZZZNS0_9templates4cuda21random_from_to_kernelIPNS_17CUDAGeneratorImplEEEvRNS_18TensorIteratorBaseEmlT_ENKUlvE_clEvENKUlvE10_clEvEUlP25hiprandStatePhilox4_32_10E_ZNS1_27distribution_nullary_kernelIjm15HIP_vector_typeIyLj2EES7_SF_ZZZNS5_IS7_EEvS9_mlSA_ENKSB_clEvENKSC_clEvEUlmE_EEvS9_T2_RKT3_T4_EUlimE0_EEvlNS_15PhiloxCudaStateET1_SK_,comdat
.Lfunc_end45:
	.size	_ZN2at6native12_GLOBAL__N_143distribution_elementwise_grid_stride_kernelImLi2EZZZNS0_9templates4cuda21random_from_to_kernelIPNS_17CUDAGeneratorImplEEEvRNS_18TensorIteratorBaseEmlT_ENKUlvE_clEvENKUlvE10_clEvEUlP25hiprandStatePhilox4_32_10E_ZNS1_27distribution_nullary_kernelIjm15HIP_vector_typeIyLj2EES7_SF_ZZZNS5_IS7_EEvS9_mlSA_ENKSB_clEvENKSC_clEvEUlmE_EEvS9_T2_RKT3_T4_EUlimE0_EEvlNS_15PhiloxCudaStateET1_SK_, .Lfunc_end45-_ZN2at6native12_GLOBAL__N_143distribution_elementwise_grid_stride_kernelImLi2EZZZNS0_9templates4cuda21random_from_to_kernelIPNS_17CUDAGeneratorImplEEEvRNS_18TensorIteratorBaseEmlT_ENKUlvE_clEvENKUlvE10_clEvEUlP25hiprandStatePhilox4_32_10E_ZNS1_27distribution_nullary_kernelIjm15HIP_vector_typeIyLj2EES7_SF_ZZZNS5_IS7_EEvS9_mlSA_ENKSB_clEvENKSC_clEvEUlmE_EEvS9_T2_RKT3_T4_EUlimE0_EEvlNS_15PhiloxCudaStateET1_SK_
                                        ; -- End function
	.section	.AMDGPU.csdata,"",@progbits
; Kernel info:
; codeLenInByte = 5544
; NumSgprs: 58
; NumVgprs: 46
; ScratchSize: 0
; MemoryBound: 0
; FloatMode: 240
; IeeeMode: 1
; LDSByteSize: 0 bytes/workgroup (compile time only)
; SGPRBlocks: 7
; VGPRBlocks: 5
; NumSGPRsForWavesPerEU: 58
; NumVGPRsForWavesPerEU: 46
; Occupancy: 16
; WaveLimiterHint : 1
; COMPUTE_PGM_RSRC2:SCRATCH_EN: 0
; COMPUTE_PGM_RSRC2:USER_SGPR: 15
; COMPUTE_PGM_RSRC2:TRAP_HANDLER: 0
; COMPUTE_PGM_RSRC2:TGID_X_EN: 1
; COMPUTE_PGM_RSRC2:TGID_Y_EN: 0
; COMPUTE_PGM_RSRC2:TGID_Z_EN: 0
; COMPUTE_PGM_RSRC2:TIDIG_COMP_CNT: 0
	.section	.text._ZN2at6native12_GLOBAL__N_143distribution_elementwise_grid_stride_kernelIjLi4EZZZNS0_9templates4cuda21random_from_to_kernelIPNS_17CUDAGeneratorImplEEEvRNS_18TensorIteratorBaseEmlT_ENKUlvE_clEvENKUlvE10_clEvEUlP25hiprandStatePhilox4_32_10E0_ZNS1_27distribution_nullary_kernelIjj15HIP_vector_typeIjLj4EES7_SF_ZZZNS5_IS7_EEvS9_mlSA_ENKSB_clEvENKSC_clEvEUljE_EEvS9_T2_RKT3_T4_EUlijE_EEvlNS_15PhiloxCudaStateET1_SK_,"axG",@progbits,_ZN2at6native12_GLOBAL__N_143distribution_elementwise_grid_stride_kernelIjLi4EZZZNS0_9templates4cuda21random_from_to_kernelIPNS_17CUDAGeneratorImplEEEvRNS_18TensorIteratorBaseEmlT_ENKUlvE_clEvENKUlvE10_clEvEUlP25hiprandStatePhilox4_32_10E0_ZNS1_27distribution_nullary_kernelIjj15HIP_vector_typeIjLj4EES7_SF_ZZZNS5_IS7_EEvS9_mlSA_ENKSB_clEvENKSC_clEvEUljE_EEvS9_T2_RKT3_T4_EUlijE_EEvlNS_15PhiloxCudaStateET1_SK_,comdat
	.globl	_ZN2at6native12_GLOBAL__N_143distribution_elementwise_grid_stride_kernelIjLi4EZZZNS0_9templates4cuda21random_from_to_kernelIPNS_17CUDAGeneratorImplEEEvRNS_18TensorIteratorBaseEmlT_ENKUlvE_clEvENKUlvE10_clEvEUlP25hiprandStatePhilox4_32_10E0_ZNS1_27distribution_nullary_kernelIjj15HIP_vector_typeIjLj4EES7_SF_ZZZNS5_IS7_EEvS9_mlSA_ENKSB_clEvENKSC_clEvEUljE_EEvS9_T2_RKT3_T4_EUlijE_EEvlNS_15PhiloxCudaStateET1_SK_ ; -- Begin function _ZN2at6native12_GLOBAL__N_143distribution_elementwise_grid_stride_kernelIjLi4EZZZNS0_9templates4cuda21random_from_to_kernelIPNS_17CUDAGeneratorImplEEEvRNS_18TensorIteratorBaseEmlT_ENKUlvE_clEvENKUlvE10_clEvEUlP25hiprandStatePhilox4_32_10E0_ZNS1_27distribution_nullary_kernelIjj15HIP_vector_typeIjLj4EES7_SF_ZZZNS5_IS7_EEvS9_mlSA_ENKSB_clEvENKSC_clEvEUljE_EEvS9_T2_RKT3_T4_EUlijE_EEvlNS_15PhiloxCudaStateET1_SK_
	.p2align	8
	.type	_ZN2at6native12_GLOBAL__N_143distribution_elementwise_grid_stride_kernelIjLi4EZZZNS0_9templates4cuda21random_from_to_kernelIPNS_17CUDAGeneratorImplEEEvRNS_18TensorIteratorBaseEmlT_ENKUlvE_clEvENKUlvE10_clEvEUlP25hiprandStatePhilox4_32_10E0_ZNS1_27distribution_nullary_kernelIjj15HIP_vector_typeIjLj4EES7_SF_ZZZNS5_IS7_EEvS9_mlSA_ENKSB_clEvENKSC_clEvEUljE_EEvS9_T2_RKT3_T4_EUlijE_EEvlNS_15PhiloxCudaStateET1_SK_,@function
_ZN2at6native12_GLOBAL__N_143distribution_elementwise_grid_stride_kernelIjLi4EZZZNS0_9templates4cuda21random_from_to_kernelIPNS_17CUDAGeneratorImplEEEvRNS_18TensorIteratorBaseEmlT_ENKUlvE_clEvENKUlvE10_clEvEUlP25hiprandStatePhilox4_32_10E0_ZNS1_27distribution_nullary_kernelIjj15HIP_vector_typeIjLj4EES7_SF_ZZZNS5_IS7_EEvS9_mlSA_ENKSB_clEvENKSC_clEvEUljE_EEvS9_T2_RKT3_T4_EUlijE_EEvlNS_15PhiloxCudaStateET1_SK_: ; @_ZN2at6native12_GLOBAL__N_143distribution_elementwise_grid_stride_kernelIjLi4EZZZNS0_9templates4cuda21random_from_to_kernelIPNS_17CUDAGeneratorImplEEEvRNS_18TensorIteratorBaseEmlT_ENKUlvE_clEvENKUlvE10_clEvEUlP25hiprandStatePhilox4_32_10E0_ZNS1_27distribution_nullary_kernelIjj15HIP_vector_typeIjLj4EES7_SF_ZZZNS5_IS7_EEvS9_mlSA_ENKSB_clEvENKSC_clEvEUljE_EEvS9_T2_RKT3_T4_EUlijE_EEvlNS_15PhiloxCudaStateET1_SK_
; %bb.0:
	s_clause 0x2
	s_load_b64 s[8:9], s[0:1], 0x10
	s_load_b128 s[4:7], s[0:1], 0x0
	s_load_b32 s2, s[0:1], 0x20
	s_waitcnt lgkmcnt(0)
	v_dual_mov_b32 v2, s8 :: v_dual_mov_b32 v3, s9
	v_dual_mov_b32 v14, s7 :: v_dual_mov_b32 v13, s6
	s_bitcmp0_b32 s2, 0
	s_mov_b32 s2, 0
	s_cbranch_scc1 .LBB46_2
; %bb.1:
	v_dual_mov_b32 v1, s8 :: v_dual_mov_b32 v2, s9
	v_dual_mov_b32 v4, s6 :: v_dual_mov_b32 v5, s7
	s_load_b64 s[6:7], s[0:1], 0x18
	flat_load_b64 v[2:3], v[1:2]
	flat_load_b64 v[13:14], v[4:5]
	s_waitcnt vmcnt(1) lgkmcnt(0)
	v_add_co_u32 v2, vcc_lo, v2, s6
	v_add_co_ci_u32_e32 v3, vcc_lo, s7, v3, vcc_lo
.LBB46_2:
	s_clause 0x1
	s_load_b32 s3, s[0:1], 0x5c
	s_load_b32 s14, s[0:1], 0x50
	s_waitcnt lgkmcnt(0)
	s_and_b32 s13, s3, 0xffff
	s_add_u32 s6, s4, -1
	s_mul_i32 s10, s14, s13
	s_addc_u32 s3, s5, -1
	s_lshl_b32 s11, s10, 2
	s_cmp_lg_u64 s[2:3], 0
	s_cbranch_scc0 .LBB46_35
; %bb.3:
	v_cvt_f32_ubyte0_e32 v1, 0
	v_cvt_f32_u32_e32 v4, s11
	s_sub_u32 s8, 0, s11
	s_subb_u32 s9, 0, 0
	s_delay_alu instid0(VALU_DEP_1) | instskip(NEXT) | instid1(VALU_DEP_1)
	v_fmamk_f32 v1, v1, 0x4f800000, v4
	v_rcp_f32_e32 v1, v1
	s_waitcnt_depctr 0xfff
	v_mul_f32_e32 v1, 0x5f7ffffc, v1
	s_delay_alu instid0(VALU_DEP_1) | instskip(NEXT) | instid1(VALU_DEP_1)
	v_mul_f32_e32 v4, 0x2f800000, v1
	v_trunc_f32_e32 v4, v4
	s_delay_alu instid0(VALU_DEP_1) | instskip(SKIP_1) | instid1(VALU_DEP_2)
	v_fmamk_f32 v1, v4, 0xcf800000, v1
	v_cvt_u32_f32_e32 v4, v4
	v_cvt_u32_f32_e32 v1, v1
	s_delay_alu instid0(VALU_DEP_2) | instskip(NEXT) | instid1(VALU_DEP_2)
	v_readfirstlane_b32 s2, v4
	v_readfirstlane_b32 s7, v1
	s_delay_alu instid0(VALU_DEP_2) | instskip(NEXT) | instid1(VALU_DEP_1)
	s_mul_i32 s12, s8, s2
	s_mul_hi_u32 s17, s8, s7
	s_mul_i32 s16, s9, s7
	s_add_i32 s12, s17, s12
	s_mul_i32 s18, s8, s7
	s_add_i32 s12, s12, s16
	s_mul_hi_u32 s17, s7, s18
	s_mul_hi_u32 s19, s2, s18
	s_mul_i32 s16, s2, s18
	s_mul_hi_u32 s18, s7, s12
	s_mul_i32 s7, s7, s12
	s_mul_hi_u32 s20, s2, s12
	s_add_u32 s7, s17, s7
	s_addc_u32 s17, 0, s18
	s_add_u32 s7, s7, s16
	s_mul_i32 s12, s2, s12
	s_addc_u32 s7, s17, s19
	s_addc_u32 s16, s20, 0
	s_add_u32 s7, s7, s12
	s_addc_u32 s12, 0, s16
	v_add_co_u32 v1, s7, v1, s7
	s_delay_alu instid0(VALU_DEP_1) | instskip(SKIP_1) | instid1(VALU_DEP_1)
	s_cmp_lg_u32 s7, 0
	s_addc_u32 s2, s2, s12
	v_readfirstlane_b32 s7, v1
	s_mul_i32 s12, s8, s2
	s_delay_alu instid0(VALU_DEP_1)
	s_mul_hi_u32 s16, s8, s7
	s_mul_i32 s9, s9, s7
	s_add_i32 s12, s16, s12
	s_mul_i32 s8, s8, s7
	s_add_i32 s12, s12, s9
	s_mul_hi_u32 s16, s2, s8
	s_mul_i32 s17, s2, s8
	s_mul_hi_u32 s8, s7, s8
	s_mul_hi_u32 s18, s7, s12
	s_mul_i32 s7, s7, s12
	s_mul_hi_u32 s9, s2, s12
	s_add_u32 s7, s8, s7
	s_addc_u32 s8, 0, s18
	s_add_u32 s7, s7, s17
	s_mul_i32 s12, s2, s12
	s_addc_u32 s7, s8, s16
	s_addc_u32 s8, s9, 0
	s_add_u32 s7, s7, s12
	s_addc_u32 s8, 0, s8
	v_add_co_u32 v1, s7, v1, s7
	s_delay_alu instid0(VALU_DEP_1) | instskip(SKIP_2) | instid1(VALU_DEP_1)
	s_cmp_lg_u32 s7, 0
	s_addc_u32 s7, s2, s8
	s_ashr_i32 s8, s3, 31
	v_readfirstlane_b32 s12, v1
	s_add_u32 s2, s6, s8
	s_mov_b32 s9, s8
	s_addc_u32 s3, s3, s8
	s_delay_alu instid0(SALU_CYCLE_1) | instskip(NEXT) | instid1(SALU_CYCLE_1)
	s_xor_b64 s[2:3], s[2:3], s[8:9]
	s_mul_i32 s17, s2, s7
	s_mul_hi_u32 s18, s2, s12
	s_mul_hi_u32 s16, s2, s7
	;; [unrolled: 1-line block ×3, first 2 shown]
	s_mul_i32 s12, s3, s12
	s_add_u32 s17, s18, s17
	s_addc_u32 s16, 0, s16
	s_mul_hi_u32 s19, s3, s7
	s_add_u32 s12, s17, s12
	s_mul_i32 s7, s3, s7
	s_addc_u32 s12, s16, s20
	s_addc_u32 s16, s19, 0
	s_add_u32 s7, s12, s7
	s_addc_u32 s12, 0, s16
	s_mul_i32 s17, s11, s7
	s_add_u32 s16, s7, 1
	v_sub_co_u32 v1, s2, s2, s17
	s_mul_hi_u32 s17, s11, s7
	s_addc_u32 s18, s12, 0
	s_mul_i32 s19, s11, s12
	s_delay_alu instid0(VALU_DEP_1)
	v_sub_co_u32 v4, s20, v1, s11
	s_add_u32 s21, s7, 2
	s_addc_u32 s22, s12, 0
	s_add_i32 s17, s17, s19
	s_cmp_lg_u32 s2, 0
	v_readfirstlane_b32 s2, v4
	s_subb_u32 s3, s3, s17
	s_cmp_lg_u32 s20, 0
	s_subb_u32 s17, s3, 0
	s_delay_alu instid0(VALU_DEP_1) | instskip(SKIP_4) | instid1(SALU_CYCLE_1)
	s_cmp_ge_u32 s2, s11
	s_cselect_b32 s2, -1, 0
	s_cmp_eq_u32 s17, 0
	v_readfirstlane_b32 s17, v1
	s_cselect_b32 s2, s2, -1
	s_cmp_lg_u32 s2, 0
	s_cselect_b32 s2, s21, s16
	s_cselect_b32 s16, s22, s18
	s_cmp_ge_u32 s17, s11
	s_cselect_b32 s17, -1, 0
	s_cmp_eq_u32 s3, 0
	s_cselect_b32 s3, s17, -1
	s_delay_alu instid0(SALU_CYCLE_1) | instskip(SKIP_2) | instid1(SALU_CYCLE_1)
	s_cmp_lg_u32 s3, 0
	s_cselect_b32 s3, s16, s12
	s_cselect_b32 s2, s2, s7
	s_xor_b64 s[2:3], s[2:3], s[8:9]
	s_delay_alu instid0(SALU_CYCLE_1)
	s_sub_u32 s2, s2, s8
	s_subb_u32 s3, s3, s8
	s_cbranch_execnz .LBB46_5
.LBB46_4:
	v_cvt_f32_u32_e32 v1, s11
	s_sub_i32 s3, 0, s11
	s_delay_alu instid0(VALU_DEP_1) | instskip(SKIP_2) | instid1(VALU_DEP_1)
	v_rcp_iflag_f32_e32 v1, v1
	s_waitcnt_depctr 0xfff
	v_mul_f32_e32 v1, 0x4f7ffffe, v1
	v_cvt_u32_f32_e32 v1, v1
	s_delay_alu instid0(VALU_DEP_1) | instskip(NEXT) | instid1(VALU_DEP_1)
	v_readfirstlane_b32 s2, v1
	s_mul_i32 s3, s3, s2
	s_delay_alu instid0(SALU_CYCLE_1) | instskip(NEXT) | instid1(SALU_CYCLE_1)
	s_mul_hi_u32 s3, s2, s3
	s_add_i32 s2, s2, s3
	s_delay_alu instid0(SALU_CYCLE_1) | instskip(NEXT) | instid1(SALU_CYCLE_1)
	s_mul_hi_u32 s2, s6, s2
	s_mul_i32 s3, s2, s11
	s_delay_alu instid0(SALU_CYCLE_1)
	s_sub_i32 s3, s6, s3
	s_add_i32 s6, s2, 1
	s_sub_i32 s7, s3, s11
	s_cmp_ge_u32 s3, s11
	s_cselect_b32 s2, s6, s2
	s_cselect_b32 s3, s7, s3
	s_add_i32 s6, s2, 1
	s_cmp_ge_u32 s3, s11
	s_mov_b32 s3, 0
	s_cselect_b32 s2, s6, s2
.LBB46_5:
	v_mov_b32_e32 v1, 0
	s_add_u32 s2, s2, 1
	s_addc_u32 s3, s3, 0
	s_mul_hi_u32 s6, s10, s2
	s_mul_i32 s3, s10, s3
	v_mad_u64_u32 v[15:16], null, s13, s15, v[0:1]
	s_mul_hi_u32 s7, s14, s13
	s_add_i32 s3, s6, s3
	s_mul_i32 s7, s7, s2
	s_mul_i32 s2, s10, s2
	s_add_i32 s3, s3, s7
	s_delay_alu instid0(SALU_CYCLE_1)
	s_lshl_b64 s[6:7], s[2:3], 2
	s_mov_b32 s2, exec_lo
	v_cmpx_gt_i64_e64 s[6:7], v[15:16]
	s_cbranch_execz .LBB46_34
; %bb.6:
	v_alignbit_b32 v19, v3, v2, 2
	v_mad_u64_u32 v[6:7], null, 0xcd9e8d57, v15, 0
	v_lshrrev_b32_e32 v20, 2, v3
	s_waitcnt vmcnt(0)
	v_dual_mov_b32 v11, v14 :: v_dual_add_nc_u32 v32, 0x8ff34781, v13
	v_mad_u64_u32 v[4:5], null, 0xd2511f53, v19, 0
	v_add_co_u32 v22, null, 0x9e3779b9, v13
	s_delay_alu instid0(VALU_DEP_3) | instskip(SKIP_1) | instid1(VALU_DEP_4)
	v_add_co_u32 v21, null, 0xbb67ae85, v11
	v_add_co_u32 v23, null, 0x3c6ef372, v13
	v_xor_b32_e32 v3, v5, v14
	v_xor3_b32 v5, v13, v7, v20
	v_add_co_u32 v24, null, 0x76cf5d0a, v11
	v_add_co_u32 v25, null, 0x32370b8f, v11
	s_delay_alu instid0(VALU_DEP_4) | instskip(NEXT) | instid1(VALU_DEP_4)
	v_xor_b32_e32 v3, v3, v16
	v_mad_u64_u32 v[7:8], null, 0xd2511f53, v5, 0
	v_add_co_u32 v26, null, 0xdaa66d2b, v13
	s_delay_alu instid0(VALU_DEP_3) | instskip(SKIP_1) | instid1(VALU_DEP_4)
	v_mad_u64_u32 v[9:10], null, 0xcd9e8d57, v3, 0
	v_add_co_u32 v27, null, 0x78dde6e4, v13
	v_xor3_b32 v5, v21, v8, v4
	v_add_co_u32 v28, null, 0xed9eba14, v11
	v_add_co_u32 v29, null, 0xa9066899, v11
	v_xor3_b32 v8, v22, v10, v6
	s_delay_alu instid0(VALU_DEP_4) | instskip(SKIP_1) | instid1(VALU_DEP_3)
	v_mad_u64_u32 v[3:4], null, 0xcd9e8d57, v5, 0
	v_add_co_u32 v30, null, 0x1715609d, v13
	v_mad_u64_u32 v[5:6], null, 0xd2511f53, v8, 0
	v_and_b32_e32 v31, 3, v2
	v_add_co_u32 v35, null, 0xb54cda56, v13
	v_xor3_b32 v4, v23, v4, v9
	v_add_co_u32 v36, null, 0x646e171e, v11
	v_xor3_b32 v10, v24, v6, v7
	v_add_co_u32 v34, null, 0x5384540f, v13
	s_delay_alu instid0(VALU_DEP_4) | instskip(NEXT) | instid1(VALU_DEP_3)
	v_mad_u64_u32 v[6:7], null, 0xd2511f53, v4, 0
	v_mad_u64_u32 v[8:9], null, 0xcd9e8d57, v10, 0
	v_add_co_u32 v38, null, 0x1fd5c5a3, v11
	s_clause 0x1
	s_load_b64 s[8:9], s[0:1], 0x30
	s_load_b32 s16, s[0:1], 0x38
	v_add_co_u32 v37, null, 0xf1bbcdc8, v13
	s_delay_alu instid0(VALU_DEP_4) | instskip(NEXT) | instid1(VALU_DEP_4)
	v_xor3_b32 v5, v25, v7, v5
	v_xor3_b32 v7, v26, v9, v3
	v_add_co_u32 v40, null, 0xdb3d7428, v11
	s_load_b128 s[0:3], s[0:1], 0x40
	s_delay_alu instid0(VALU_DEP_3) | instskip(NEXT) | instid1(VALU_DEP_3)
	v_mad_u64_u32 v[3:4], null, 0xcd9e8d57, v5, 0
	v_mad_u64_u32 v[9:10], null, 0xd2511f53, v7, 0
	s_mul_i32 s17, s14, 3
	s_lshl_b32 s18, s14, 1
	s_add_i32 s19, s15, s14
	s_add_i32 s17, s15, s17
	s_delay_alu instid0(VALU_DEP_2) | instskip(SKIP_1) | instid1(VALU_DEP_3)
	v_xor3_b32 v7, v27, v4, v8
	v_mad_u64_u32 v[11:12], null, s19, s13, v[0:1]
	v_xor3_b32 v8, v28, v10, v6
	v_mad_u64_u32 v[17:18], null, s17, s13, v[0:1]
	s_delay_alu instid0(VALU_DEP_4) | instskip(NEXT) | instid1(VALU_DEP_3)
	v_mad_u64_u32 v[4:5], null, 0xd2511f53, v7, 0
	v_mad_u64_u32 v[6:7], null, 0xcd9e8d57, v8, 0
	v_add_nc_u32_e32 v33, 0x96a522ad, v14
	s_waitcnt lgkmcnt(0)
	v_mul_lo_u32 v44, s16, v11
	v_mul_lo_u32 v42, s16, v17
	s_mul_i32 s14, s14, s16
	v_xor3_b32 v5, v29, v5, v9
	v_mov_b32_e32 v39, v15
	v_xor3_b32 v9, v30, v7, v3
	v_mov_b32_e32 v45, v16
	s_mul_i32 s14, s14, s13
	v_mad_u64_u32 v[2:3], null, 0xcd9e8d57, v5, 0
	s_delay_alu instid0(VALU_DEP_3) | instskip(SKIP_3) | instid1(VALU_DEP_2)
	v_mad_u64_u32 v[7:8], null, 0xd2511f53, v9, 0
	s_mov_b32 s3, 0
	s_lshl_b32 s12, s10, 1
	s_lshl_b32 s14, s14, 2
	v_xor3_b32 v9, v35, v3, v6
	v_mad_u64_u32 v[5:6], null, s15, s13, v[0:1]
	s_delay_alu instid0(VALU_DEP_3) | instskip(SKIP_1) | instid1(VALU_DEP_3)
	v_xor3_b32 v10, v36, v8, v4
	s_add_i32 s15, s15, s18
	v_mad_u64_u32 v[3:4], null, 0xd2511f53, v9, 0
	s_delay_alu instid0(VALU_DEP_2) | instskip(NEXT) | instid1(VALU_DEP_4)
	v_mad_u64_u32 v[8:9], null, 0xcd9e8d57, v10, 0
	v_mul_lo_u32 v41, s16, v5
	s_delay_alu instid0(VALU_DEP_3) | instskip(NEXT) | instid1(VALU_DEP_3)
	v_xor3_b32 v4, v38, v4, v7
	v_xor3_b32 v2, v34, v9, v2
	s_delay_alu instid0(VALU_DEP_2) | instskip(NEXT) | instid1(VALU_DEP_2)
	v_mad_u64_u32 v[6:7], null, 0xcd9e8d57, v4, 0
	v_mad_u64_u32 v[9:10], null, 0xd2511f53, v2, 0
	s_delay_alu instid0(VALU_DEP_2) | instskip(NEXT) | instid1(VALU_DEP_2)
	v_xor3_b32 v4, v37, v7, v8
	v_xor3_b32 v10, v40, v10, v3
	v_mad_u64_u32 v[2:3], null, s15, s13, v[0:1]
	s_delay_alu instid0(VALU_DEP_3) | instskip(NEXT) | instid1(VALU_DEP_3)
	v_mad_u64_u32 v[7:8], null, 0xd2511f53, v4, 0
	v_mad_u64_u32 v[3:4], null, 0xcd9e8d57, v10, 0
	s_mul_i32 s13, s10, 3
	s_mov_b32 s15, 0
	s_delay_alu instid0(VALU_DEP_3) | instskip(NEXT) | instid1(VALU_DEP_3)
	v_mul_lo_u32 v43, s16, v2
	v_mov_b32_e32 v5, v7
	s_delay_alu instid0(VALU_DEP_3)
	v_xor3_b32 v2, v4, v6, v32
	v_xor3_b32 v4, v8, v9, v33
	s_branch .LBB46_9
.LBB46_7:                               ;   in Loop: Header=BB46_9 Depth=1
	s_or_b32 exec_lo, exec_lo, s17
	v_add_nc_u32_e32 v2, s15, v42
	s_delay_alu instid0(VALU_DEP_2) | instskip(NEXT) | instid1(VALU_DEP_2)
	v_add_nc_u32_e32 v0, s2, v0
	v_ashrrev_i32_e32 v3, 31, v2
	v_add_co_u32 v2, vcc_lo, s8, v2
	s_delay_alu instid0(VALU_DEP_2)
	v_add_co_ci_u32_e32 v3, vcc_lo, s9, v3, vcc_lo
	global_store_b32 v[2:3], v0, off
.LBB46_8:                               ;   in Loop: Header=BB46_9 Depth=1
	s_or_b32 exec_lo, exec_lo, s16
	v_add_co_u32 v15, vcc_lo, v15, s11
	v_add_co_ci_u32_e32 v16, vcc_lo, 0, v16, vcc_lo
	v_mov_b32_e32 v9, v17
	v_dual_mov_b32 v2, v6 :: v_dual_mov_b32 v3, v7
	s_delay_alu instid0(VALU_DEP_3) | instskip(NEXT) | instid1(VALU_DEP_3)
	v_cmp_le_i64_e32 vcc_lo, s[6:7], v[15:16]
	v_dual_mov_b32 v4, v8 :: v_dual_mov_b32 v5, v9
	s_add_i32 s15, s15, s14
	s_waitcnt_vscnt null, 0x0
	s_barrier
	s_or_b32 s3, vcc_lo, s3
	buffer_gl0_inv
	s_and_not1_b32 exec_lo, exec_lo, s3
	s_cbranch_execz .LBB46_34
.LBB46_9:                               ; =>This Inner Loop Header: Depth=1
	v_add_co_u32 v19, vcc_lo, v19, 1
	s_delay_alu instid0(VALU_DEP_1) | instskip(SKIP_1) | instid1(VALU_DEP_3)
	v_cndmask_b32_e64 v0, 0, 1, vcc_lo
	v_add_co_ci_u32_e32 v20, vcc_lo, 0, v20, vcc_lo
	v_mad_u64_u32 v[6:7], null, 0xd2511f53, v19, 0
	s_mov_b32 s16, exec_lo
	s_delay_alu instid0(VALU_DEP_2) | instskip(SKIP_1) | instid1(VALU_DEP_1)
	v_cmp_eq_u32_e32 vcc_lo, 0, v20
	v_cndmask_b32_e32 v0, 0, v0, vcc_lo
	v_add_nc_u32_e32 v39, v0, v39
	s_delay_alu instid0(VALU_DEP_1) | instskip(SKIP_2) | instid1(VALU_DEP_2)
	v_cmp_eq_u32_e32 vcc_lo, 0, v39
	v_cndmask_b32_e32 v0, 0, v0, vcc_lo
	v_mad_u64_u32 v[8:9], null, 0xcd9e8d57, v39, 0
	v_add_nc_u32_e32 v45, v0, v45
	v_xor_b32_e32 v0, v7, v14
	s_delay_alu instid0(VALU_DEP_3) | instskip(NEXT) | instid1(VALU_DEP_2)
	v_xor3_b32 v7, v9, v13, v20
	v_xor_b32_e32 v0, v45, v0
	s_delay_alu instid0(VALU_DEP_2) | instskip(NEXT) | instid1(VALU_DEP_2)
	v_mad_u64_u32 v[9:10], null, 0xd2511f53, v7, 0
	v_mad_u64_u32 v[11:12], null, 0xcd9e8d57, v0, 0
	s_delay_alu instid0(VALU_DEP_2) | instskip(NEXT) | instid1(VALU_DEP_2)
	v_xor3_b32 v0, v21, v10, v6
	v_xor3_b32 v8, v22, v12, v8
	s_delay_alu instid0(VALU_DEP_2) | instskip(NEXT) | instid1(VALU_DEP_2)
	v_mad_u64_u32 v[6:7], null, 0xcd9e8d57, v0, 0
	v_mad_u64_u32 v[17:18], null, 0xd2511f53, v8, 0
	s_delay_alu instid0(VALU_DEP_2) | instskip(NEXT) | instid1(VALU_DEP_2)
	v_xor3_b32 v0, v23, v7, v11
	v_xor3_b32 v11, v24, v18, v9
	;; [unrolled: 6-line block ×9, first 2 shown]
	s_delay_alu instid0(VALU_DEP_2)
	v_mov_b32_e32 v8, v12
	v_cmpx_lt_i32_e32 1, v31
	s_xor_b32 s16, exec_lo, s16
	s_cbranch_execnz .LBB46_12
; %bb.10:                               ;   in Loop: Header=BB46_9 Depth=1
	s_and_not1_saveexec_b32 s16, s16
	s_cbranch_execnz .LBB46_17
.LBB46_11:                              ;   in Loop: Header=BB46_9 Depth=1
	s_or_b32 exec_lo, exec_lo, s16
	s_delay_alu instid0(SALU_CYCLE_1)
	s_mov_b32 s16, exec_lo
	v_cmpx_gt_i64_e64 s[4:5], v[15:16]
	s_cbranch_execnz .LBB46_20
	s_branch .LBB46_23
.LBB46_12:                              ;   in Loop: Header=BB46_9 Depth=1
	s_mov_b32 s17, exec_lo
	v_cmpx_lt_i32_e32 2, v31
	s_xor_b32 s17, exec_lo, s17
; %bb.13:                               ;   in Loop: Header=BB46_9 Depth=1
	v_dual_mov_b32 v9, v5 :: v_dual_mov_b32 v10, v6
	v_mov_b32_e32 v11, v7
	s_delay_alu instid0(VALU_DEP_2) | instskip(NEXT) | instid1(VALU_DEP_2)
	v_dual_mov_b32 v2, v9 :: v_dual_mov_b32 v3, v10
	v_dual_mov_b32 v4, v11 :: v_dual_mov_b32 v5, v12
; %bb.14:                               ;   in Loop: Header=BB46_9 Depth=1
	s_and_not1_saveexec_b32 s17, s17
; %bb.15:                               ;   in Loop: Header=BB46_9 Depth=1
	s_delay_alu instid0(VALU_DEP_1)
	v_dual_mov_b32 v2, v4 :: v_dual_mov_b32 v3, v5
	v_dual_mov_b32 v4, v6 :: v_dual_mov_b32 v5, v7
; %bb.16:                               ;   in Loop: Header=BB46_9 Depth=1
	s_or_b32 exec_lo, exec_lo, s17
	s_and_not1_saveexec_b32 s16, s16
	s_cbranch_execz .LBB46_11
.LBB46_17:                              ;   in Loop: Header=BB46_9 Depth=1
	s_mov_b32 s17, exec_lo
	v_cmpx_eq_u32_e32 1, v31
; %bb.18:                               ;   in Loop: Header=BB46_9 Depth=1
	v_dual_mov_b32 v2, v3 :: v_dual_mov_b32 v3, v4
	v_dual_mov_b32 v4, v5 :: v_dual_mov_b32 v5, v6
; %bb.19:                               ;   in Loop: Header=BB46_9 Depth=1
	s_or_b32 exec_lo, exec_lo, s17
	s_delay_alu instid0(SALU_CYCLE_1) | instskip(NEXT) | instid1(SALU_CYCLE_1)
	s_or_b32 exec_lo, exec_lo, s16
	s_mov_b32 s16, exec_lo
	v_cmpx_gt_i64_e64 s[4:5], v[15:16]
	s_cbranch_execz .LBB46_23
.LBB46_20:                              ;   in Loop: Header=BB46_9 Depth=1
	v_mov_b32_e32 v0, v2
	s_mov_b32 s17, exec_lo
	s_delay_alu instid0(VALU_DEP_1)
	v_cmpx_le_u64_e64 s[0:1], v[0:1]
	s_cbranch_execz .LBB46_22
; %bb.21:                               ;   in Loop: Header=BB46_9 Depth=1
	v_cvt_f32_u32_e32 v2, s0
	s_sub_i32 s18, 0, s0
	s_delay_alu instid0(VALU_DEP_1) | instskip(SKIP_2) | instid1(VALU_DEP_1)
	v_rcp_iflag_f32_e32 v2, v2
	s_waitcnt_depctr 0xfff
	v_mul_f32_e32 v2, 0x4f7ffffe, v2
	v_cvt_u32_f32_e32 v2, v2
	s_delay_alu instid0(VALU_DEP_1) | instskip(NEXT) | instid1(VALU_DEP_1)
	v_mul_lo_u32 v9, s18, v2
	v_mul_hi_u32 v9, v2, v9
	s_delay_alu instid0(VALU_DEP_1) | instskip(NEXT) | instid1(VALU_DEP_1)
	v_add_nc_u32_e32 v2, v2, v9
	v_mul_hi_u32 v2, v0, v2
	s_delay_alu instid0(VALU_DEP_1) | instskip(NEXT) | instid1(VALU_DEP_1)
	v_mul_lo_u32 v2, v2, s0
	v_sub_nc_u32_e32 v0, v0, v2
	s_delay_alu instid0(VALU_DEP_1) | instskip(SKIP_1) | instid1(VALU_DEP_2)
	v_subrev_nc_u32_e32 v2, s0, v0
	v_cmp_le_u32_e32 vcc_lo, s0, v0
	v_cndmask_b32_e32 v0, v0, v2, vcc_lo
	s_delay_alu instid0(VALU_DEP_1) | instskip(SKIP_1) | instid1(VALU_DEP_2)
	v_subrev_nc_u32_e32 v2, s0, v0
	v_cmp_le_u32_e32 vcc_lo, s0, v0
	v_cndmask_b32_e32 v0, v0, v2, vcc_lo
.LBB46_22:                              ;   in Loop: Header=BB46_9 Depth=1
	s_or_b32 exec_lo, exec_lo, s17
	v_add_nc_u32_e32 v2, s15, v41
	s_delay_alu instid0(VALU_DEP_2) | instskip(NEXT) | instid1(VALU_DEP_2)
	v_add_nc_u32_e32 v0, s2, v0
	v_ashrrev_i32_e32 v10, 31, v2
	v_add_co_u32 v9, vcc_lo, s8, v2
	s_delay_alu instid0(VALU_DEP_2)
	v_add_co_ci_u32_e32 v10, vcc_lo, s9, v10, vcc_lo
	global_store_b32 v[9:10], v0, off
.LBB46_23:                              ;   in Loop: Header=BB46_9 Depth=1
	s_or_b32 exec_lo, exec_lo, s16
	v_add_co_u32 v9, vcc_lo, s10, v15
	v_add_co_ci_u32_e32 v10, vcc_lo, 0, v16, vcc_lo
	s_mov_b32 s16, exec_lo
	s_delay_alu instid0(VALU_DEP_1)
	v_cmpx_gt_i64_e64 s[4:5], v[9:10]
	s_cbranch_execz .LBB46_27
; %bb.24:                               ;   in Loop: Header=BB46_9 Depth=1
	v_mov_b32_e32 v0, v3
	s_mov_b32 s17, exec_lo
	s_delay_alu instid0(VALU_DEP_1)
	v_cmpx_le_u64_e64 s[0:1], v[0:1]
	s_cbranch_execz .LBB46_26
; %bb.25:                               ;   in Loop: Header=BB46_9 Depth=1
	v_cvt_f32_u32_e32 v2, s0
	s_sub_i32 s18, 0, s0
	s_delay_alu instid0(VALU_DEP_1) | instskip(SKIP_2) | instid1(VALU_DEP_1)
	v_rcp_iflag_f32_e32 v2, v2
	s_waitcnt_depctr 0xfff
	v_mul_f32_e32 v2, 0x4f7ffffe, v2
	v_cvt_u32_f32_e32 v2, v2
	s_delay_alu instid0(VALU_DEP_1) | instskip(NEXT) | instid1(VALU_DEP_1)
	v_mul_lo_u32 v3, s18, v2
	v_mul_hi_u32 v3, v2, v3
	s_delay_alu instid0(VALU_DEP_1) | instskip(NEXT) | instid1(VALU_DEP_1)
	v_add_nc_u32_e32 v2, v2, v3
	v_mul_hi_u32 v2, v0, v2
	s_delay_alu instid0(VALU_DEP_1) | instskip(NEXT) | instid1(VALU_DEP_1)
	v_mul_lo_u32 v2, v2, s0
	v_sub_nc_u32_e32 v0, v0, v2
	s_delay_alu instid0(VALU_DEP_1) | instskip(SKIP_1) | instid1(VALU_DEP_2)
	v_subrev_nc_u32_e32 v2, s0, v0
	v_cmp_le_u32_e32 vcc_lo, s0, v0
	v_cndmask_b32_e32 v0, v0, v2, vcc_lo
	s_delay_alu instid0(VALU_DEP_1) | instskip(SKIP_1) | instid1(VALU_DEP_2)
	v_subrev_nc_u32_e32 v2, s0, v0
	v_cmp_le_u32_e32 vcc_lo, s0, v0
	v_cndmask_b32_e32 v0, v0, v2, vcc_lo
.LBB46_26:                              ;   in Loop: Header=BB46_9 Depth=1
	s_or_b32 exec_lo, exec_lo, s17
	v_add_nc_u32_e32 v2, s15, v44
	s_delay_alu instid0(VALU_DEP_2) | instskip(NEXT) | instid1(VALU_DEP_2)
	v_add_nc_u32_e32 v0, s2, v0
	v_ashrrev_i32_e32 v3, 31, v2
	v_add_co_u32 v2, vcc_lo, s8, v2
	s_delay_alu instid0(VALU_DEP_2)
	v_add_co_ci_u32_e32 v3, vcc_lo, s9, v3, vcc_lo
	global_store_b32 v[2:3], v0, off
.LBB46_27:                              ;   in Loop: Header=BB46_9 Depth=1
	s_or_b32 exec_lo, exec_lo, s16
	v_add_co_u32 v2, vcc_lo, s12, v15
	v_add_co_ci_u32_e32 v3, vcc_lo, 0, v16, vcc_lo
	s_mov_b32 s16, exec_lo
	s_delay_alu instid0(VALU_DEP_1)
	v_cmpx_gt_i64_e64 s[4:5], v[2:3]
	s_cbranch_execz .LBB46_31
; %bb.28:                               ;   in Loop: Header=BB46_9 Depth=1
	v_mov_b32_e32 v0, v4
	s_mov_b32 s17, exec_lo
	s_delay_alu instid0(VALU_DEP_1)
	v_cmpx_le_u64_e64 s[0:1], v[0:1]
	s_cbranch_execz .LBB46_30
; %bb.29:                               ;   in Loop: Header=BB46_9 Depth=1
	v_cvt_f32_u32_e32 v2, s0
	s_sub_i32 s18, 0, s0
	s_delay_alu instid0(VALU_DEP_1) | instskip(SKIP_2) | instid1(VALU_DEP_1)
	v_rcp_iflag_f32_e32 v2, v2
	s_waitcnt_depctr 0xfff
	v_mul_f32_e32 v2, 0x4f7ffffe, v2
	v_cvt_u32_f32_e32 v2, v2
	s_delay_alu instid0(VALU_DEP_1) | instskip(NEXT) | instid1(VALU_DEP_1)
	v_mul_lo_u32 v3, s18, v2
	v_mul_hi_u32 v3, v2, v3
	s_delay_alu instid0(VALU_DEP_1) | instskip(NEXT) | instid1(VALU_DEP_1)
	v_add_nc_u32_e32 v2, v2, v3
	v_mul_hi_u32 v2, v0, v2
	s_delay_alu instid0(VALU_DEP_1) | instskip(NEXT) | instid1(VALU_DEP_1)
	v_mul_lo_u32 v2, v2, s0
	v_sub_nc_u32_e32 v0, v0, v2
	s_delay_alu instid0(VALU_DEP_1) | instskip(SKIP_1) | instid1(VALU_DEP_2)
	v_subrev_nc_u32_e32 v2, s0, v0
	v_cmp_le_u32_e32 vcc_lo, s0, v0
	v_cndmask_b32_e32 v0, v0, v2, vcc_lo
	s_delay_alu instid0(VALU_DEP_1) | instskip(SKIP_1) | instid1(VALU_DEP_2)
	v_subrev_nc_u32_e32 v2, s0, v0
	v_cmp_le_u32_e32 vcc_lo, s0, v0
	v_cndmask_b32_e32 v0, v0, v2, vcc_lo
.LBB46_30:                              ;   in Loop: Header=BB46_9 Depth=1
	s_or_b32 exec_lo, exec_lo, s17
	v_add_nc_u32_e32 v2, s15, v43
	s_delay_alu instid0(VALU_DEP_2) | instskip(NEXT) | instid1(VALU_DEP_2)
	v_add_nc_u32_e32 v0, s2, v0
	v_ashrrev_i32_e32 v3, 31, v2
	v_add_co_u32 v2, vcc_lo, s8, v2
	s_delay_alu instid0(VALU_DEP_2)
	v_add_co_ci_u32_e32 v3, vcc_lo, s9, v3, vcc_lo
	global_store_b32 v[2:3], v0, off
.LBB46_31:                              ;   in Loop: Header=BB46_9 Depth=1
	s_or_b32 exec_lo, exec_lo, s16
	v_add_co_u32 v2, vcc_lo, s13, v15
	v_add_co_ci_u32_e32 v3, vcc_lo, 0, v16, vcc_lo
	s_mov_b32 s16, exec_lo
	s_delay_alu instid0(VALU_DEP_1)
	v_cmpx_gt_i64_e64 s[4:5], v[2:3]
	s_cbranch_execz .LBB46_8
; %bb.32:                               ;   in Loop: Header=BB46_9 Depth=1
	v_mov_b32_e32 v0, v5
	s_mov_b32 s17, exec_lo
	s_delay_alu instid0(VALU_DEP_1)
	v_cmpx_le_u64_e64 s[0:1], v[0:1]
	s_cbranch_execz .LBB46_7
; %bb.33:                               ;   in Loop: Header=BB46_9 Depth=1
	v_cvt_f32_u32_e32 v2, s0
	s_sub_i32 s18, 0, s0
	s_delay_alu instid0(VALU_DEP_1) | instskip(SKIP_2) | instid1(VALU_DEP_1)
	v_rcp_iflag_f32_e32 v2, v2
	s_waitcnt_depctr 0xfff
	v_mul_f32_e32 v2, 0x4f7ffffe, v2
	v_cvt_u32_f32_e32 v2, v2
	s_delay_alu instid0(VALU_DEP_1) | instskip(NEXT) | instid1(VALU_DEP_1)
	v_mul_lo_u32 v3, s18, v2
	v_mul_hi_u32 v3, v2, v3
	s_delay_alu instid0(VALU_DEP_1) | instskip(NEXT) | instid1(VALU_DEP_1)
	v_add_nc_u32_e32 v2, v2, v3
	v_mul_hi_u32 v2, v0, v2
	s_delay_alu instid0(VALU_DEP_1) | instskip(NEXT) | instid1(VALU_DEP_1)
	v_mul_lo_u32 v2, v2, s0
	v_sub_nc_u32_e32 v0, v0, v2
	s_delay_alu instid0(VALU_DEP_1) | instskip(SKIP_1) | instid1(VALU_DEP_2)
	v_subrev_nc_u32_e32 v2, s0, v0
	v_cmp_le_u32_e32 vcc_lo, s0, v0
	v_cndmask_b32_e32 v0, v0, v2, vcc_lo
	s_delay_alu instid0(VALU_DEP_1) | instskip(SKIP_1) | instid1(VALU_DEP_2)
	v_subrev_nc_u32_e32 v2, s0, v0
	v_cmp_le_u32_e32 vcc_lo, s0, v0
	v_cndmask_b32_e32 v0, v0, v2, vcc_lo
	s_branch .LBB46_7
.LBB46_34:
	s_endpgm
.LBB46_35:
                                        ; implicit-def: $sgpr2_sgpr3
	s_branch .LBB46_4
	.section	.rodata,"a",@progbits
	.p2align	6, 0x0
	.amdhsa_kernel _ZN2at6native12_GLOBAL__N_143distribution_elementwise_grid_stride_kernelIjLi4EZZZNS0_9templates4cuda21random_from_to_kernelIPNS_17CUDAGeneratorImplEEEvRNS_18TensorIteratorBaseEmlT_ENKUlvE_clEvENKUlvE10_clEvEUlP25hiprandStatePhilox4_32_10E0_ZNS1_27distribution_nullary_kernelIjj15HIP_vector_typeIjLj4EES7_SF_ZZZNS5_IS7_EEvS9_mlSA_ENKSB_clEvENKSC_clEvEUljE_EEvS9_T2_RKT3_T4_EUlijE_EEvlNS_15PhiloxCudaStateET1_SK_
		.amdhsa_group_segment_fixed_size 0
		.amdhsa_private_segment_fixed_size 0
		.amdhsa_kernarg_size 336
		.amdhsa_user_sgpr_count 15
		.amdhsa_user_sgpr_dispatch_ptr 0
		.amdhsa_user_sgpr_queue_ptr 0
		.amdhsa_user_sgpr_kernarg_segment_ptr 1
		.amdhsa_user_sgpr_dispatch_id 0
		.amdhsa_user_sgpr_private_segment_size 0
		.amdhsa_wavefront_size32 1
		.amdhsa_uses_dynamic_stack 0
		.amdhsa_enable_private_segment 0
		.amdhsa_system_sgpr_workgroup_id_x 1
		.amdhsa_system_sgpr_workgroup_id_y 0
		.amdhsa_system_sgpr_workgroup_id_z 0
		.amdhsa_system_sgpr_workgroup_info 0
		.amdhsa_system_vgpr_workitem_id 0
		.amdhsa_next_free_vgpr 46
		.amdhsa_next_free_sgpr 23
		.amdhsa_reserve_vcc 1
		.amdhsa_float_round_mode_32 0
		.amdhsa_float_round_mode_16_64 0
		.amdhsa_float_denorm_mode_32 3
		.amdhsa_float_denorm_mode_16_64 3
		.amdhsa_dx10_clamp 1
		.amdhsa_ieee_mode 1
		.amdhsa_fp16_overflow 0
		.amdhsa_workgroup_processor_mode 1
		.amdhsa_memory_ordered 1
		.amdhsa_forward_progress 0
		.amdhsa_shared_vgpr_count 0
		.amdhsa_exception_fp_ieee_invalid_op 0
		.amdhsa_exception_fp_denorm_src 0
		.amdhsa_exception_fp_ieee_div_zero 0
		.amdhsa_exception_fp_ieee_overflow 0
		.amdhsa_exception_fp_ieee_underflow 0
		.amdhsa_exception_fp_ieee_inexact 0
		.amdhsa_exception_int_div_zero 0
	.end_amdhsa_kernel
	.section	.text._ZN2at6native12_GLOBAL__N_143distribution_elementwise_grid_stride_kernelIjLi4EZZZNS0_9templates4cuda21random_from_to_kernelIPNS_17CUDAGeneratorImplEEEvRNS_18TensorIteratorBaseEmlT_ENKUlvE_clEvENKUlvE10_clEvEUlP25hiprandStatePhilox4_32_10E0_ZNS1_27distribution_nullary_kernelIjj15HIP_vector_typeIjLj4EES7_SF_ZZZNS5_IS7_EEvS9_mlSA_ENKSB_clEvENKSC_clEvEUljE_EEvS9_T2_RKT3_T4_EUlijE_EEvlNS_15PhiloxCudaStateET1_SK_,"axG",@progbits,_ZN2at6native12_GLOBAL__N_143distribution_elementwise_grid_stride_kernelIjLi4EZZZNS0_9templates4cuda21random_from_to_kernelIPNS_17CUDAGeneratorImplEEEvRNS_18TensorIteratorBaseEmlT_ENKUlvE_clEvENKUlvE10_clEvEUlP25hiprandStatePhilox4_32_10E0_ZNS1_27distribution_nullary_kernelIjj15HIP_vector_typeIjLj4EES7_SF_ZZZNS5_IS7_EEvS9_mlSA_ENKSB_clEvENKSC_clEvEUljE_EEvS9_T2_RKT3_T4_EUlijE_EEvlNS_15PhiloxCudaStateET1_SK_,comdat
.Lfunc_end46:
	.size	_ZN2at6native12_GLOBAL__N_143distribution_elementwise_grid_stride_kernelIjLi4EZZZNS0_9templates4cuda21random_from_to_kernelIPNS_17CUDAGeneratorImplEEEvRNS_18TensorIteratorBaseEmlT_ENKUlvE_clEvENKUlvE10_clEvEUlP25hiprandStatePhilox4_32_10E0_ZNS1_27distribution_nullary_kernelIjj15HIP_vector_typeIjLj4EES7_SF_ZZZNS5_IS7_EEvS9_mlSA_ENKSB_clEvENKSC_clEvEUljE_EEvS9_T2_RKT3_T4_EUlijE_EEvlNS_15PhiloxCudaStateET1_SK_, .Lfunc_end46-_ZN2at6native12_GLOBAL__N_143distribution_elementwise_grid_stride_kernelIjLi4EZZZNS0_9templates4cuda21random_from_to_kernelIPNS_17CUDAGeneratorImplEEEvRNS_18TensorIteratorBaseEmlT_ENKUlvE_clEvENKUlvE10_clEvEUlP25hiprandStatePhilox4_32_10E0_ZNS1_27distribution_nullary_kernelIjj15HIP_vector_typeIjLj4EES7_SF_ZZZNS5_IS7_EEvS9_mlSA_ENKSB_clEvENKSC_clEvEUljE_EEvS9_T2_RKT3_T4_EUlijE_EEvlNS_15PhiloxCudaStateET1_SK_
                                        ; -- End function
	.section	.AMDGPU.csdata,"",@progbits
; Kernel info:
; codeLenInByte = 3424
; NumSgprs: 25
; NumVgprs: 46
; ScratchSize: 0
; MemoryBound: 0
; FloatMode: 240
; IeeeMode: 1
; LDSByteSize: 0 bytes/workgroup (compile time only)
; SGPRBlocks: 3
; VGPRBlocks: 5
; NumSGPRsForWavesPerEU: 25
; NumVGPRsForWavesPerEU: 46
; Occupancy: 16
; WaveLimiterHint : 0
; COMPUTE_PGM_RSRC2:SCRATCH_EN: 0
; COMPUTE_PGM_RSRC2:USER_SGPR: 15
; COMPUTE_PGM_RSRC2:TRAP_HANDLER: 0
; COMPUTE_PGM_RSRC2:TGID_X_EN: 1
; COMPUTE_PGM_RSRC2:TGID_Y_EN: 0
; COMPUTE_PGM_RSRC2:TGID_Z_EN: 0
; COMPUTE_PGM_RSRC2:TIDIG_COMP_CNT: 0
	.section	.text._ZN2at6native12_GLOBAL__N_143distribution_elementwise_grid_stride_kernelIjLi4EZZZNS0_9templates4cuda21random_from_to_kernelIPNS_17CUDAGeneratorImplEEEvRNS_18TensorIteratorBaseEmlT_ENKUlvE_clEvENKUlvE10_clEvEUlP25hiprandStatePhilox4_32_10E0_ZNS1_27distribution_nullary_kernelIjj15HIP_vector_typeIjLj4EES7_SF_ZZZNS5_IS7_EEvS9_mlSA_ENKSB_clEvENKSC_clEvEUljE_EEvS9_T2_RKT3_T4_EUlijE0_EEvlNS_15PhiloxCudaStateET1_SK_,"axG",@progbits,_ZN2at6native12_GLOBAL__N_143distribution_elementwise_grid_stride_kernelIjLi4EZZZNS0_9templates4cuda21random_from_to_kernelIPNS_17CUDAGeneratorImplEEEvRNS_18TensorIteratorBaseEmlT_ENKUlvE_clEvENKUlvE10_clEvEUlP25hiprandStatePhilox4_32_10E0_ZNS1_27distribution_nullary_kernelIjj15HIP_vector_typeIjLj4EES7_SF_ZZZNS5_IS7_EEvS9_mlSA_ENKSB_clEvENKSC_clEvEUljE_EEvS9_T2_RKT3_T4_EUlijE0_EEvlNS_15PhiloxCudaStateET1_SK_,comdat
	.globl	_ZN2at6native12_GLOBAL__N_143distribution_elementwise_grid_stride_kernelIjLi4EZZZNS0_9templates4cuda21random_from_to_kernelIPNS_17CUDAGeneratorImplEEEvRNS_18TensorIteratorBaseEmlT_ENKUlvE_clEvENKUlvE10_clEvEUlP25hiprandStatePhilox4_32_10E0_ZNS1_27distribution_nullary_kernelIjj15HIP_vector_typeIjLj4EES7_SF_ZZZNS5_IS7_EEvS9_mlSA_ENKSB_clEvENKSC_clEvEUljE_EEvS9_T2_RKT3_T4_EUlijE0_EEvlNS_15PhiloxCudaStateET1_SK_ ; -- Begin function _ZN2at6native12_GLOBAL__N_143distribution_elementwise_grid_stride_kernelIjLi4EZZZNS0_9templates4cuda21random_from_to_kernelIPNS_17CUDAGeneratorImplEEEvRNS_18TensorIteratorBaseEmlT_ENKUlvE_clEvENKUlvE10_clEvEUlP25hiprandStatePhilox4_32_10E0_ZNS1_27distribution_nullary_kernelIjj15HIP_vector_typeIjLj4EES7_SF_ZZZNS5_IS7_EEvS9_mlSA_ENKSB_clEvENKSC_clEvEUljE_EEvS9_T2_RKT3_T4_EUlijE0_EEvlNS_15PhiloxCudaStateET1_SK_
	.p2align	8
	.type	_ZN2at6native12_GLOBAL__N_143distribution_elementwise_grid_stride_kernelIjLi4EZZZNS0_9templates4cuda21random_from_to_kernelIPNS_17CUDAGeneratorImplEEEvRNS_18TensorIteratorBaseEmlT_ENKUlvE_clEvENKUlvE10_clEvEUlP25hiprandStatePhilox4_32_10E0_ZNS1_27distribution_nullary_kernelIjj15HIP_vector_typeIjLj4EES7_SF_ZZZNS5_IS7_EEvS9_mlSA_ENKSB_clEvENKSC_clEvEUljE_EEvS9_T2_RKT3_T4_EUlijE0_EEvlNS_15PhiloxCudaStateET1_SK_,@function
_ZN2at6native12_GLOBAL__N_143distribution_elementwise_grid_stride_kernelIjLi4EZZZNS0_9templates4cuda21random_from_to_kernelIPNS_17CUDAGeneratorImplEEEvRNS_18TensorIteratorBaseEmlT_ENKUlvE_clEvENKUlvE10_clEvEUlP25hiprandStatePhilox4_32_10E0_ZNS1_27distribution_nullary_kernelIjj15HIP_vector_typeIjLj4EES7_SF_ZZZNS5_IS7_EEvS9_mlSA_ENKSB_clEvENKSC_clEvEUljE_EEvS9_T2_RKT3_T4_EUlijE0_EEvlNS_15PhiloxCudaStateET1_SK_: ; @_ZN2at6native12_GLOBAL__N_143distribution_elementwise_grid_stride_kernelIjLi4EZZZNS0_9templates4cuda21random_from_to_kernelIPNS_17CUDAGeneratorImplEEEvRNS_18TensorIteratorBaseEmlT_ENKUlvE_clEvENKUlvE10_clEvEUlP25hiprandStatePhilox4_32_10E0_ZNS1_27distribution_nullary_kernelIjj15HIP_vector_typeIjLj4EES7_SF_ZZZNS5_IS7_EEvS9_mlSA_ENKSB_clEvENKSC_clEvEUljE_EEvS9_T2_RKT3_T4_EUlijE0_EEvlNS_15PhiloxCudaStateET1_SK_
; %bb.0:
	s_clause 0x2
	s_load_b64 s[4:5], s[0:1], 0x10
	s_load_b128 s[16:19], s[0:1], 0x0
	s_load_b32 s2, s[0:1], 0x20
	s_waitcnt lgkmcnt(0)
	v_dual_mov_b32 v2, s4 :: v_dual_mov_b32 v3, s5
	v_dual_mov_b32 v13, s18 :: v_dual_mov_b32 v14, s19
	s_bitcmp0_b32 s2, 0
	s_mov_b32 s2, 0
	s_cbranch_scc1 .LBB47_2
; %bb.1:
	v_dual_mov_b32 v1, s4 :: v_dual_mov_b32 v2, s5
	v_dual_mov_b32 v4, s18 :: v_dual_mov_b32 v5, s19
	s_load_b64 s[4:5], s[0:1], 0x18
	flat_load_b64 v[2:3], v[1:2]
	flat_load_b64 v[13:14], v[4:5]
	s_waitcnt vmcnt(1) lgkmcnt(0)
	v_add_co_u32 v2, vcc_lo, v2, s4
	v_add_co_ci_u32_e32 v3, vcc_lo, s5, v3, vcc_lo
.LBB47_2:
	s_clause 0x1
	s_load_b32 s3, s[0:1], 0x15c
	s_load_b32 s4, s[0:1], 0x150
	s_waitcnt lgkmcnt(0)
	s_and_b32 s5, s3, 0xffff
	s_add_u32 s6, s16, -1
	s_mul_i32 s28, s4, s5
	s_addc_u32 s3, s17, -1
	s_lshl_b32 s29, s28, 2
	s_cmp_lg_u64 s[2:3], 0
	s_cbranch_scc0 .LBB47_87
; %bb.3:
	v_cvt_f32_ubyte0_e32 v1, 0
	v_cvt_f32_u32_e32 v4, s29
	s_sub_u32 s8, 0, s29
	s_subb_u32 s9, 0, 0
	s_delay_alu instid0(VALU_DEP_1) | instskip(NEXT) | instid1(VALU_DEP_1)
	v_fmamk_f32 v1, v1, 0x4f800000, v4
	v_rcp_f32_e32 v1, v1
	s_waitcnt_depctr 0xfff
	v_mul_f32_e32 v1, 0x5f7ffffc, v1
	s_delay_alu instid0(VALU_DEP_1) | instskip(NEXT) | instid1(VALU_DEP_1)
	v_mul_f32_e32 v4, 0x2f800000, v1
	v_trunc_f32_e32 v4, v4
	s_delay_alu instid0(VALU_DEP_1) | instskip(SKIP_1) | instid1(VALU_DEP_2)
	v_fmamk_f32 v1, v4, 0xcf800000, v1
	v_cvt_u32_f32_e32 v4, v4
	v_cvt_u32_f32_e32 v1, v1
	s_delay_alu instid0(VALU_DEP_2) | instskip(NEXT) | instid1(VALU_DEP_2)
	v_readfirstlane_b32 s2, v4
	v_readfirstlane_b32 s7, v1
	s_delay_alu instid0(VALU_DEP_2) | instskip(NEXT) | instid1(VALU_DEP_1)
	s_mul_i32 s10, s8, s2
	s_mul_hi_u32 s12, s8, s7
	s_mul_i32 s11, s9, s7
	s_add_i32 s10, s12, s10
	s_mul_i32 s13, s8, s7
	s_add_i32 s10, s10, s11
	s_mul_hi_u32 s12, s7, s13
	s_mul_hi_u32 s14, s2, s13
	s_mul_i32 s11, s2, s13
	s_mul_hi_u32 s13, s7, s10
	s_mul_i32 s7, s7, s10
	s_mul_hi_u32 s18, s2, s10
	s_add_u32 s7, s12, s7
	s_addc_u32 s12, 0, s13
	s_add_u32 s7, s7, s11
	s_mul_i32 s10, s2, s10
	s_addc_u32 s7, s12, s14
	s_addc_u32 s11, s18, 0
	s_add_u32 s7, s7, s10
	s_addc_u32 s10, 0, s11
	v_add_co_u32 v1, s7, v1, s7
	s_delay_alu instid0(VALU_DEP_1) | instskip(SKIP_1) | instid1(VALU_DEP_1)
	s_cmp_lg_u32 s7, 0
	s_addc_u32 s2, s2, s10
	v_readfirstlane_b32 s7, v1
	s_mul_i32 s10, s8, s2
	s_delay_alu instid0(VALU_DEP_1)
	s_mul_hi_u32 s11, s8, s7
	s_mul_i32 s9, s9, s7
	s_add_i32 s10, s11, s10
	s_mul_i32 s8, s8, s7
	s_add_i32 s10, s10, s9
	s_mul_hi_u32 s11, s2, s8
	s_mul_i32 s12, s2, s8
	s_mul_hi_u32 s8, s7, s8
	s_mul_hi_u32 s13, s7, s10
	s_mul_i32 s7, s7, s10
	s_mul_hi_u32 s9, s2, s10
	s_add_u32 s7, s8, s7
	s_addc_u32 s8, 0, s13
	s_add_u32 s7, s7, s12
	s_mul_i32 s10, s2, s10
	s_addc_u32 s7, s8, s11
	s_addc_u32 s8, s9, 0
	s_add_u32 s7, s7, s10
	s_addc_u32 s8, 0, s8
	v_add_co_u32 v1, s7, v1, s7
	s_delay_alu instid0(VALU_DEP_1) | instskip(SKIP_2) | instid1(VALU_DEP_1)
	s_cmp_lg_u32 s7, 0
	s_addc_u32 s7, s2, s8
	s_ashr_i32 s8, s3, 31
	v_readfirstlane_b32 s10, v1
	s_add_u32 s2, s6, s8
	s_mov_b32 s9, s8
	s_addc_u32 s3, s3, s8
	s_delay_alu instid0(SALU_CYCLE_1) | instskip(NEXT) | instid1(SALU_CYCLE_1)
	s_xor_b64 s[2:3], s[2:3], s[8:9]
	s_mul_i32 s12, s2, s7
	s_mul_hi_u32 s13, s2, s10
	s_mul_hi_u32 s11, s2, s7
	;; [unrolled: 1-line block ×3, first 2 shown]
	s_mul_i32 s10, s3, s10
	s_add_u32 s12, s13, s12
	s_addc_u32 s11, 0, s11
	s_mul_hi_u32 s14, s3, s7
	s_add_u32 s10, s12, s10
	s_mul_i32 s7, s3, s7
	s_addc_u32 s10, s11, s18
	s_addc_u32 s11, s14, 0
	s_add_u32 s7, s10, s7
	s_addc_u32 s10, 0, s11
	s_mul_i32 s12, s29, s7
	s_add_u32 s11, s7, 1
	v_sub_co_u32 v1, s2, s2, s12
	s_mul_hi_u32 s12, s29, s7
	s_addc_u32 s13, s10, 0
	s_mul_i32 s14, s29, s10
	s_delay_alu instid0(VALU_DEP_1)
	v_sub_co_u32 v4, s18, v1, s29
	s_add_u32 s19, s7, 2
	s_addc_u32 s20, s10, 0
	s_add_i32 s12, s12, s14
	s_cmp_lg_u32 s2, 0
	v_readfirstlane_b32 s2, v4
	s_subb_u32 s3, s3, s12
	s_cmp_lg_u32 s18, 0
	s_subb_u32 s12, s3, 0
	s_delay_alu instid0(VALU_DEP_1) | instskip(SKIP_4) | instid1(SALU_CYCLE_1)
	s_cmp_ge_u32 s2, s29
	s_cselect_b32 s2, -1, 0
	s_cmp_eq_u32 s12, 0
	v_readfirstlane_b32 s12, v1
	s_cselect_b32 s2, s2, -1
	s_cmp_lg_u32 s2, 0
	s_cselect_b32 s2, s19, s11
	s_cselect_b32 s11, s20, s13
	s_cmp_ge_u32 s12, s29
	s_cselect_b32 s12, -1, 0
	s_cmp_eq_u32 s3, 0
	s_cselect_b32 s3, s12, -1
	s_delay_alu instid0(SALU_CYCLE_1) | instskip(SKIP_2) | instid1(SALU_CYCLE_1)
	s_cmp_lg_u32 s3, 0
	s_cselect_b32 s3, s11, s10
	s_cselect_b32 s2, s2, s7
	s_xor_b64 s[2:3], s[2:3], s[8:9]
	s_delay_alu instid0(SALU_CYCLE_1)
	s_sub_u32 s2, s2, s8
	s_subb_u32 s3, s3, s8
	s_cbranch_execnz .LBB47_5
.LBB47_4:
	v_cvt_f32_u32_e32 v1, s29
	s_sub_i32 s3, 0, s29
	s_delay_alu instid0(VALU_DEP_1) | instskip(SKIP_2) | instid1(VALU_DEP_1)
	v_rcp_iflag_f32_e32 v1, v1
	s_waitcnt_depctr 0xfff
	v_mul_f32_e32 v1, 0x4f7ffffe, v1
	v_cvt_u32_f32_e32 v1, v1
	s_delay_alu instid0(VALU_DEP_1) | instskip(NEXT) | instid1(VALU_DEP_1)
	v_readfirstlane_b32 s2, v1
	s_mul_i32 s3, s3, s2
	s_delay_alu instid0(SALU_CYCLE_1) | instskip(NEXT) | instid1(SALU_CYCLE_1)
	s_mul_hi_u32 s3, s2, s3
	s_add_i32 s2, s2, s3
	s_delay_alu instid0(SALU_CYCLE_1) | instskip(NEXT) | instid1(SALU_CYCLE_1)
	s_mul_hi_u32 s2, s6, s2
	s_mul_i32 s3, s2, s29
	s_delay_alu instid0(SALU_CYCLE_1)
	s_sub_i32 s3, s6, s3
	s_add_i32 s6, s2, 1
	s_sub_i32 s7, s3, s29
	s_cmp_ge_u32 s3, s29
	s_cselect_b32 s2, s6, s2
	s_cselect_b32 s3, s7, s3
	s_add_i32 s6, s2, 1
	s_cmp_ge_u32 s3, s29
	s_mov_b32 s3, 0
	s_cselect_b32 s2, s6, s2
.LBB47_5:
	v_mov_b32_e32 v1, 0
	s_add_u32 s2, s2, 1
	s_addc_u32 s3, s3, 0
	s_mul_hi_u32 s6, s28, s2
	s_mul_i32 s3, s28, s3
	v_mad_u64_u32 v[15:16], null, s5, s15, v[0:1]
	s_mul_hi_u32 s4, s4, s5
	s_add_i32 s3, s6, s3
	s_mul_i32 s4, s4, s2
	s_mul_i32 s2, s28, s2
	s_add_i32 s3, s3, s4
	s_mov_b32 s4, exec_lo
	s_lshl_b64 s[2:3], s[2:3], 2
	s_delay_alu instid0(SALU_CYCLE_1)
	v_cmpx_gt_i64_e64 s[2:3], v[15:16]
	s_cbranch_execz .LBB47_86
; %bb.6:
	v_alignbit_b32 v19, v3, v2, 2
	v_mad_u64_u32 v[6:7], null, 0xcd9e8d57, v15, 0
	v_lshrrev_b32_e32 v20, 2, v3
	s_waitcnt vmcnt(0)
	v_dual_mov_b32 v11, v14 :: v_dual_add_nc_u32 v28, 0x8ff34781, v13
	v_mad_u64_u32 v[4:5], null, 0xd2511f53, v19, 0
	v_add_co_u32 v22, null, 0x9e3779b9, v13
	v_xor3_b32 v3, v13, v7, v20
	s_delay_alu instid0(VALU_DEP_4) | instskip(SKIP_2) | instid1(VALU_DEP_4)
	v_add_co_u32 v21, null, 0xbb67ae85, v11
	v_add_co_u32 v23, null, 0x3c6ef372, v13
	v_xor_b32_e32 v0, v5, v14
	v_mad_u64_u32 v[7:8], null, 0xd2511f53, v3, 0
	v_add_co_u32 v24, null, 0x76cf5d0a, v11
	s_delay_alu instid0(VALU_DEP_3) | instskip(SKIP_2) | instid1(VALU_DEP_3)
	v_xor_b32_e32 v0, v0, v16
	v_add_co_u32 v25, null, 0x32370b8f, v11
	v_add_co_u32 v26, null, 0xdaa66d2b, v13
	v_mad_u64_u32 v[9:10], null, 0xcd9e8d57, v0, 0
	v_xor3_b32 v0, v21, v8, v4
	v_dual_mov_b32 v38, v15 :: v_dual_and_b32 v27, 3, v2
	v_add_co_u32 v29, null, 0x78dde6e4, v13
	s_delay_alu instid0(VALU_DEP_3) | instskip(SKIP_3) | instid1(VALU_DEP_3)
	v_mad_u64_u32 v[3:4], null, 0xcd9e8d57, v0, 0
	v_xor3_b32 v8, v22, v10, v6
	v_add_co_u32 v31, null, 0xed9eba14, v11
	v_add_co_u32 v33, null, 0xa9066899, v11
	v_mad_u64_u32 v[5:6], null, 0xd2511f53, v8, 0
	v_xor3_b32 v0, v23, v4, v9
	v_add_co_u32 v34, null, 0x1715609d, v13
	v_add_co_u32 v35, null, 0xb54cda56, v13
	;; [unrolled: 1-line block ×3, first 2 shown]
	v_xor3_b32 v4, v24, v6, v7
	v_mad_u64_u32 v[6:7], null, 0xd2511f53, v0, 0
	s_load_b256 s[4:11], s[0:1], 0x30
	v_add_co_u32 v32, null, 0x5384540f, v13
	s_delay_alu instid0(VALU_DEP_3) | instskip(SKIP_1) | instid1(VALU_DEP_4)
	v_mad_u64_u32 v[8:9], null, 0xcd9e8d57, v4, 0
	v_add_co_u32 v39, null, 0x1fd5c5a3, v11
	v_xor3_b32 v0, v25, v7, v5
	v_add_co_u32 v36, null, 0xf1bbcdc8, v13
	v_add_co_u32 v40, null, 0xdb3d7428, v11
	v_xor3_b32 v7, v26, v9, v3
	s_delay_alu instid0(VALU_DEP_4) | instskip(SKIP_2) | instid1(VALU_DEP_2)
	v_mad_u64_u32 v[2:3], null, 0xcd9e8d57, v0, 0
	s_add_u32 s18, s0, 48
	s_load_b64 s[20:21], s[0:1], 0x148
	v_mad_u64_u32 v[4:5], null, 0xd2511f53, v7, 0
	s_clause 0x1
	s_load_b64 s[22:23], s[0:1], 0xf4
	s_load_b128 s[12:15], s[0:1], 0x138
	s_addc_u32 s19, s1, 0
	v_xor3_b32 v0, v29, v3, v8
	s_waitcnt lgkmcnt(0)
	s_add_i32 s24, s4, -1
	v_mov_b32_e32 v41, v16
	s_cmp_gt_u32 s24, 1
	v_xor3_b32 v3, v31, v5, v6
	v_mad_u64_u32 v[5:6], null, 0xd2511f53, v0, 0
	s_cselect_b32 s11, -1, 0
	s_cmp_lg_u32 s4, 0
	s_delay_alu instid0(VALU_DEP_2) | instskip(SKIP_2) | instid1(VALU_DEP_2)
	v_mad_u64_u32 v[7:8], null, 0xcd9e8d57, v3, 0
	s_cselect_b32 s21, -1, 0
	s_add_u32 s0, s0, 0xf4
	v_xor3_b32 v0, v33, v6, v4
	s_addc_u32 s1, s1, 0
	s_min_u32 s25, s24, 15
	s_cmp_gt_u32 s4, 1
	s_delay_alu instid0(VALU_DEP_2) | instskip(SKIP_3) | instid1(VALU_DEP_2)
	v_xor3_b32 v4, v34, v8, v2
	v_mad_u64_u32 v[2:3], null, 0xcd9e8d57, v0, 0
	s_cselect_b32 s4, -1, 0
	s_add_i32 s25, s25, 1
	v_mad_u64_u32 v[8:9], null, 0xd2511f53, v4, 0
	s_lshl_b32 s31, s28, 1
	s_and_b32 s33, s25, 3
	s_delay_alu instid0(VALU_DEP_2) | instskip(SKIP_3) | instid1(VALU_DEP_2)
	v_xor3_b32 v0, v35, v3, v7
	s_cmp_lg_u32 s24, 2
	s_mov_b32 s30, 0
	s_cselect_b32 s34, -1, 0
	v_xor3_b32 v7, v37, v9, v5
	v_mad_u64_u32 v[3:4], null, 0xd2511f53, v0, 0
	s_and_b32 s35, s25, 28
	s_cmp_lg_u32 s33, 0
	s_delay_alu instid0(VALU_DEP_2) | instskip(SKIP_2) | instid1(VALU_DEP_2)
	v_mad_u64_u32 v[5:6], null, 0xcd9e8d57, v7, 0
	s_mul_i32 s36, s28, 3
	s_cselect_b32 s37, -1, 0
	v_xor3_b32 v0, v39, v4, v8
	s_delay_alu instid0(VALU_DEP_2) | instskip(NEXT) | instid1(VALU_DEP_2)
	v_xor3_b32 v2, v32, v6, v2
	v_mad_u64_u32 v[6:7], null, 0xcd9e8d57, v0, 0
	s_delay_alu instid0(VALU_DEP_2) | instskip(NEXT) | instid1(VALU_DEP_2)
	v_mad_u64_u32 v[8:9], null, 0xd2511f53, v2, 0
	v_xor3_b32 v0, v36, v7, v5
	s_delay_alu instid0(VALU_DEP_2) | instskip(NEXT) | instid1(VALU_DEP_2)
	v_xor3_b32 v2, v40, v9, v3
	v_mad_u64_u32 v[9:10], null, 0xd2511f53, v0, 0
	v_add_nc_u32_e32 v30, 0x96a522ad, v14
	s_delay_alu instid0(VALU_DEP_3) | instskip(NEXT) | instid1(VALU_DEP_3)
	v_mad_u64_u32 v[3:4], null, 0xcd9e8d57, v2, 0
	v_mov_b32_e32 v5, v9
	s_delay_alu instid0(VALU_DEP_2) | instskip(NEXT) | instid1(VALU_DEP_4)
	v_xor3_b32 v2, v4, v6, v28
	v_xor3_b32 v4, v10, v8, v30
	s_branch .LBB47_9
.LBB47_7:                               ;   in Loop: Header=BB47_9 Depth=1
	s_or_b32 exec_lo, exec_lo, s24
	s_delay_alu instid0(VALU_DEP_1)
	v_add_nc_u32_e32 v0, s20, v0
	global_store_b32 v2, v0, s[12:13]
.LBB47_8:                               ;   in Loop: Header=BB47_9 Depth=1
	s_or_b32 exec_lo, exec_lo, s38
	v_add_co_u32 v15, vcc_lo, v15, s29
	v_add_co_ci_u32_e32 v16, vcc_lo, 0, v16, vcc_lo
	v_mov_b32_e32 v9, v17
	v_dual_mov_b32 v2, v6 :: v_dual_mov_b32 v3, v7
	s_delay_alu instid0(VALU_DEP_3) | instskip(NEXT) | instid1(VALU_DEP_3)
	v_cmp_le_i64_e32 vcc_lo, s[2:3], v[15:16]
	v_dual_mov_b32 v4, v8 :: v_dual_mov_b32 v5, v9
	s_waitcnt_vscnt null, 0x0
	s_barrier
	buffer_gl0_inv
	s_or_b32 s30, vcc_lo, s30
	s_delay_alu instid0(SALU_CYCLE_1)
	s_and_not1_b32 exec_lo, exec_lo, s30
	s_cbranch_execz .LBB47_86
.LBB47_9:                               ; =>This Loop Header: Depth=1
                                        ;     Child Loop BB47_24 Depth 2
                                        ;     Child Loop BB47_29 Depth 2
                                        ;     Child Loop BB47_41 Depth 2
                                        ;     Child Loop BB47_46 Depth 2
                                        ;     Child Loop BB47_58 Depth 2
                                        ;     Child Loop BB47_63 Depth 2
                                        ;     Child Loop BB47_75 Depth 2
                                        ;     Child Loop BB47_80 Depth 2
	v_add_co_u32 v19, vcc_lo, v19, 1
	s_delay_alu instid0(VALU_DEP_1) | instskip(SKIP_1) | instid1(VALU_DEP_3)
	v_cndmask_b32_e64 v0, 0, 1, vcc_lo
	v_add_co_ci_u32_e32 v20, vcc_lo, 0, v20, vcc_lo
	v_mad_u64_u32 v[6:7], null, 0xd2511f53, v19, 0
	s_mov_b32 s24, exec_lo
	s_delay_alu instid0(VALU_DEP_2) | instskip(SKIP_1) | instid1(VALU_DEP_1)
	v_cmp_eq_u32_e32 vcc_lo, 0, v20
	v_cndmask_b32_e32 v0, 0, v0, vcc_lo
	v_add_nc_u32_e32 v38, v0, v38
	s_delay_alu instid0(VALU_DEP_1) | instskip(SKIP_2) | instid1(VALU_DEP_1)
	v_cmp_eq_u32_e32 vcc_lo, 0, v38
	v_mad_u64_u32 v[8:9], null, 0xcd9e8d57, v38, 0
	v_cndmask_b32_e32 v0, 0, v0, vcc_lo
	v_add_nc_u32_e32 v41, v0, v41
	v_xor_b32_e32 v0, v7, v14
	s_delay_alu instid0(VALU_DEP_4) | instskip(NEXT) | instid1(VALU_DEP_2)
	v_xor3_b32 v7, v9, v13, v20
	v_xor_b32_e32 v0, v41, v0
	s_delay_alu instid0(VALU_DEP_2) | instskip(NEXT) | instid1(VALU_DEP_2)
	v_mad_u64_u32 v[9:10], null, 0xd2511f53, v7, 0
	v_mad_u64_u32 v[11:12], null, 0xcd9e8d57, v0, 0
	s_delay_alu instid0(VALU_DEP_2) | instskip(NEXT) | instid1(VALU_DEP_2)
	v_xor3_b32 v0, v21, v10, v6
	v_xor3_b32 v8, v22, v12, v8
	s_delay_alu instid0(VALU_DEP_2) | instskip(NEXT) | instid1(VALU_DEP_2)
	v_mad_u64_u32 v[6:7], null, 0xcd9e8d57, v0, 0
	v_mad_u64_u32 v[17:18], null, 0xd2511f53, v8, 0
	s_delay_alu instid0(VALU_DEP_2) | instskip(NEXT) | instid1(VALU_DEP_2)
	v_xor3_b32 v0, v23, v7, v11
	v_xor3_b32 v11, v24, v18, v9
	;; [unrolled: 6-line block ×9, first 2 shown]
	s_delay_alu instid0(VALU_DEP_2)
	v_mov_b32_e32 v8, v12
	v_cmpx_lt_i32_e32 1, v27
	s_xor_b32 s24, exec_lo, s24
	s_cbranch_execnz .LBB47_12
; %bb.10:                               ;   in Loop: Header=BB47_9 Depth=1
	s_and_not1_saveexec_b32 s24, s24
	s_cbranch_execnz .LBB47_17
.LBB47_11:                              ;   in Loop: Header=BB47_9 Depth=1
	s_or_b32 exec_lo, exec_lo, s24
	s_delay_alu instid0(SALU_CYCLE_1)
	s_mov_b32 s38, exec_lo
	v_cmpx_gt_i64_e64 s[16:17], v[15:16]
	s_cbranch_execnz .LBB47_20
	s_branch .LBB47_36
.LBB47_12:                              ;   in Loop: Header=BB47_9 Depth=1
	s_mov_b32 s25, exec_lo
	v_cmpx_lt_i32_e32 2, v27
	s_xor_b32 s25, exec_lo, s25
; %bb.13:                               ;   in Loop: Header=BB47_9 Depth=1
	v_dual_mov_b32 v9, v5 :: v_dual_mov_b32 v10, v6
	v_mov_b32_e32 v11, v7
	s_delay_alu instid0(VALU_DEP_2) | instskip(NEXT) | instid1(VALU_DEP_2)
	v_dual_mov_b32 v2, v9 :: v_dual_mov_b32 v3, v10
	v_dual_mov_b32 v4, v11 :: v_dual_mov_b32 v5, v12
; %bb.14:                               ;   in Loop: Header=BB47_9 Depth=1
	s_and_not1_saveexec_b32 s25, s25
; %bb.15:                               ;   in Loop: Header=BB47_9 Depth=1
	s_delay_alu instid0(VALU_DEP_1)
	v_dual_mov_b32 v2, v4 :: v_dual_mov_b32 v3, v5
	v_dual_mov_b32 v4, v6 :: v_dual_mov_b32 v5, v7
; %bb.16:                               ;   in Loop: Header=BB47_9 Depth=1
	s_or_b32 exec_lo, exec_lo, s25
	s_and_not1_saveexec_b32 s24, s24
	s_cbranch_execz .LBB47_11
.LBB47_17:                              ;   in Loop: Header=BB47_9 Depth=1
	s_mov_b32 s25, exec_lo
	v_cmpx_eq_u32_e32 1, v27
; %bb.18:                               ;   in Loop: Header=BB47_9 Depth=1
	v_dual_mov_b32 v2, v3 :: v_dual_mov_b32 v3, v4
	v_dual_mov_b32 v4, v5 :: v_dual_mov_b32 v5, v6
; %bb.19:                               ;   in Loop: Header=BB47_9 Depth=1
	s_or_b32 exec_lo, exec_lo, s25
	s_delay_alu instid0(SALU_CYCLE_1) | instskip(NEXT) | instid1(SALU_CYCLE_1)
	s_or_b32 exec_lo, exec_lo, s24
	s_mov_b32 s38, exec_lo
	v_cmpx_gt_i64_e64 s[16:17], v[15:16]
	s_cbranch_execz .LBB47_36
.LBB47_20:                              ;   in Loop: Header=BB47_9 Depth=1
	s_and_not1_b32 vcc_lo, exec_lo, s11
	s_cbranch_vccnz .LBB47_26
; %bb.21:                               ;   in Loop: Header=BB47_9 Depth=1
	v_mov_b32_e32 v9, 0
	s_and_not1_b32 vcc_lo, exec_lo, s21
	s_cbranch_vccnz .LBB47_30
; %bb.22:                               ;   in Loop: Header=BB47_9 Depth=1
	s_and_not1_b32 vcc_lo, exec_lo, s34
	s_mov_b32 s24, 0
	s_cbranch_vccnz .LBB47_27
; %bb.23:                               ;   in Loop: Header=BB47_9 Depth=1
	v_dual_mov_b32 v9, 0 :: v_dual_mov_b32 v0, v15
	s_mov_b32 s39, 0
	s_mov_b64 s[24:25], s[18:19]
	s_mov_b64 s[26:27], s[0:1]
.LBB47_24:                              ;   Parent Loop BB47_9 Depth=1
                                        ; =>  This Inner Loop Header: Depth=2
	s_clause 0x1
	s_load_b256 s[40:47], s[24:25], 0x4
	s_load_b128 s[48:51], s[24:25], 0x24
	s_load_b128 s[52:55], s[26:27], 0x0
	s_add_u32 s24, s24, 48
	s_addc_u32 s25, s25, 0
	s_add_i32 s39, s39, 4
	s_add_u32 s26, s26, 16
	s_addc_u32 s27, s27, 0
	s_cmp_lg_u32 s35, s39
	s_waitcnt lgkmcnt(0)
	v_mul_hi_u32 v10, s41, v0
	s_delay_alu instid0(VALU_DEP_1) | instskip(NEXT) | instid1(VALU_DEP_1)
	v_add_nc_u32_e32 v10, v0, v10
	v_lshrrev_b32_e32 v10, s42, v10
	s_delay_alu instid0(VALU_DEP_1) | instskip(SKIP_1) | instid1(VALU_DEP_2)
	v_mul_hi_u32 v11, s44, v10
	v_mul_lo_u32 v42, v10, s40
	v_add_nc_u32_e32 v11, v10, v11
	s_delay_alu instid0(VALU_DEP_2) | instskip(NEXT) | instid1(VALU_DEP_2)
	v_sub_nc_u32_e32 v42, v0, v42
	v_lshrrev_b32_e32 v11, s45, v11
	s_delay_alu instid0(VALU_DEP_2) | instskip(NEXT) | instid1(VALU_DEP_2)
	v_mul_lo_u32 v42, v42, s52
	v_mul_hi_u32 v12, s47, v11
	v_mul_lo_u32 v43, v11, s43
	s_delay_alu instid0(VALU_DEP_2) | instskip(NEXT) | instid1(VALU_DEP_2)
	v_add_nc_u32_e32 v12, v11, v12
	v_sub_nc_u32_e32 v10, v10, v43
	s_delay_alu instid0(VALU_DEP_2) | instskip(NEXT) | instid1(VALU_DEP_2)
	v_lshrrev_b32_e32 v12, s48, v12
	v_mul_lo_u32 v10, v10, s53
	s_delay_alu instid0(VALU_DEP_2) | instskip(NEXT) | instid1(VALU_DEP_2)
	v_mul_hi_u32 v18, s50, v12
	v_add3_u32 v9, v42, v9, v10
	s_delay_alu instid0(VALU_DEP_2) | instskip(NEXT) | instid1(VALU_DEP_1)
	v_add_nc_u32_e32 v18, v12, v18
	v_lshrrev_b32_e32 v0, s51, v18
	v_mul_lo_u32 v18, v12, s46
	s_delay_alu instid0(VALU_DEP_2) | instskip(NEXT) | instid1(VALU_DEP_2)
	v_mul_lo_u32 v44, v0, s49
	v_sub_nc_u32_e32 v11, v11, v18
	s_delay_alu instid0(VALU_DEP_2) | instskip(NEXT) | instid1(VALU_DEP_2)
	v_sub_nc_u32_e32 v12, v12, v44
	v_mul_lo_u32 v11, v11, s54
	s_delay_alu instid0(VALU_DEP_2) | instskip(NEXT) | instid1(VALU_DEP_1)
	v_mul_lo_u32 v12, v12, s55
	v_add3_u32 v9, v11, v9, v12
	s_cbranch_scc1 .LBB47_24
; %bb.25:                               ;   in Loop: Header=BB47_9 Depth=1
	s_mov_b32 s24, s35
	s_and_not1_b32 vcc_lo, exec_lo, s37
	s_cbranch_vccz .LBB47_28
	s_branch .LBB47_30
.LBB47_26:                              ;   in Loop: Header=BB47_9 Depth=1
                                        ; implicit-def: $vgpr9
	s_branch .LBB47_31
.LBB47_27:                              ;   in Loop: Header=BB47_9 Depth=1
	v_mov_b32_e32 v0, v15
	s_and_not1_b32 vcc_lo, exec_lo, s37
	s_cbranch_vccnz .LBB47_30
.LBB47_28:                              ;   in Loop: Header=BB47_9 Depth=1
	s_lshl_b32 s25, s24, 2
	s_mul_i32 s26, s24, 12
	s_add_u32 s24, s0, s25
	s_addc_u32 s25, s1, 0
	s_add_u32 s26, s18, s26
	s_addc_u32 s27, s19, 0
	s_mov_b32 s39, s33
	.p2align	6
.LBB47_29:                              ;   Parent Loop BB47_9 Depth=1
                                        ; =>  This Inner Loop Header: Depth=2
	s_clause 0x1
	s_load_b64 s[40:41], s[26:27], 0x4
	s_load_b32 s42, s[26:27], 0xc
	s_add_u32 s26, s26, 12
	s_addc_u32 s27, s27, 0
	s_waitcnt lgkmcnt(0)
	v_mul_hi_u32 v10, s41, v0
	s_load_b32 s41, s[24:25], 0x0
	s_add_u32 s24, s24, 4
	s_addc_u32 s25, s25, 0
	s_add_i32 s39, s39, -1
	s_delay_alu instid0(SALU_CYCLE_1) | instskip(NEXT) | instid1(VALU_DEP_1)
	s_cmp_lg_u32 s39, 0
	v_add_nc_u32_e32 v10, v0, v10
	s_delay_alu instid0(VALU_DEP_1) | instskip(NEXT) | instid1(VALU_DEP_1)
	v_lshrrev_b32_e32 v12, s42, v10
	v_mul_lo_u32 v10, v12, s40
	s_delay_alu instid0(VALU_DEP_1) | instskip(SKIP_1) | instid1(VALU_DEP_1)
	v_sub_nc_u32_e32 v0, v0, v10
	s_waitcnt lgkmcnt(0)
	v_mad_u64_u32 v[10:11], null, v0, s41, v[9:10]
	s_delay_alu instid0(VALU_DEP_1)
	v_dual_mov_b32 v0, v12 :: v_dual_mov_b32 v9, v10
	s_cbranch_scc1 .LBB47_29
.LBB47_30:                              ;   in Loop: Header=BB47_9 Depth=1
	s_cbranch_execnz .LBB47_33
.LBB47_31:                              ;   in Loop: Header=BB47_9 Depth=1
	v_mul_hi_u32 v0, v15, s6
	s_and_not1_b32 vcc_lo, exec_lo, s4
	s_delay_alu instid0(VALU_DEP_1) | instskip(NEXT) | instid1(VALU_DEP_1)
	v_add_nc_u32_e32 v0, v0, v15
	v_lshrrev_b32_e32 v0, s7, v0
	s_delay_alu instid0(VALU_DEP_1) | instskip(NEXT) | instid1(VALU_DEP_1)
	v_mul_lo_u32 v9, v0, s5
	v_sub_nc_u32_e32 v9, v15, v9
	s_delay_alu instid0(VALU_DEP_1)
	v_mul_lo_u32 v9, v9, s22
	s_cbranch_vccnz .LBB47_33
; %bb.32:                               ;   in Loop: Header=BB47_9 Depth=1
	v_mul_hi_u32 v10, s9, v0
	s_delay_alu instid0(VALU_DEP_1) | instskip(NEXT) | instid1(VALU_DEP_1)
	v_add_nc_u32_e32 v10, v0, v10
	v_lshrrev_b32_e32 v10, s10, v10
	s_delay_alu instid0(VALU_DEP_1) | instskip(NEXT) | instid1(VALU_DEP_1)
	v_mul_lo_u32 v10, v10, s8
	v_sub_nc_u32_e32 v0, v0, v10
	s_delay_alu instid0(VALU_DEP_1) | instskip(NEXT) | instid1(VALU_DEP_1)
	v_mad_u64_u32 v[10:11], null, v0, s23, v[9:10]
	v_mov_b32_e32 v9, v10
.LBB47_33:                              ;   in Loop: Header=BB47_9 Depth=1
	v_mov_b32_e32 v0, v2
	s_mov_b32 s24, exec_lo
	s_delay_alu instid0(VALU_DEP_1)
	v_cmpx_le_u64_e64 s[14:15], v[0:1]
	s_cbranch_execz .LBB47_35
; %bb.34:                               ;   in Loop: Header=BB47_9 Depth=1
	v_cvt_f32_u32_e32 v2, s14
	s_sub_i32 s25, 0, s14
	s_delay_alu instid0(VALU_DEP_1) | instskip(SKIP_2) | instid1(VALU_DEP_1)
	v_rcp_iflag_f32_e32 v2, v2
	s_waitcnt_depctr 0xfff
	v_mul_f32_e32 v2, 0x4f7ffffe, v2
	v_cvt_u32_f32_e32 v2, v2
	s_delay_alu instid0(VALU_DEP_1) | instskip(NEXT) | instid1(VALU_DEP_1)
	v_mul_lo_u32 v10, s25, v2
	v_mul_hi_u32 v10, v2, v10
	s_delay_alu instid0(VALU_DEP_1) | instskip(NEXT) | instid1(VALU_DEP_1)
	v_add_nc_u32_e32 v2, v2, v10
	v_mul_hi_u32 v2, v0, v2
	s_delay_alu instid0(VALU_DEP_1) | instskip(NEXT) | instid1(VALU_DEP_1)
	v_mul_lo_u32 v2, v2, s14
	v_sub_nc_u32_e32 v0, v0, v2
	s_delay_alu instid0(VALU_DEP_1) | instskip(SKIP_1) | instid1(VALU_DEP_2)
	v_subrev_nc_u32_e32 v2, s14, v0
	v_cmp_le_u32_e32 vcc_lo, s14, v0
	v_cndmask_b32_e32 v0, v0, v2, vcc_lo
	s_delay_alu instid0(VALU_DEP_1) | instskip(SKIP_1) | instid1(VALU_DEP_2)
	v_subrev_nc_u32_e32 v2, s14, v0
	v_cmp_le_u32_e32 vcc_lo, s14, v0
	v_cndmask_b32_e32 v0, v0, v2, vcc_lo
.LBB47_35:                              ;   in Loop: Header=BB47_9 Depth=1
	s_or_b32 exec_lo, exec_lo, s24
	s_delay_alu instid0(VALU_DEP_1)
	v_add_nc_u32_e32 v0, s20, v0
	global_store_b32 v9, v0, s[12:13]
.LBB47_36:                              ;   in Loop: Header=BB47_9 Depth=1
	s_or_b32 exec_lo, exec_lo, s38
	v_add_co_u32 v9, vcc_lo, v15, s28
	v_add_co_ci_u32_e32 v10, vcc_lo, 0, v16, vcc_lo
	s_mov_b32 s38, exec_lo
	s_delay_alu instid0(VALU_DEP_1)
	v_cmpx_gt_i64_e64 s[16:17], v[9:10]
	s_cbranch_execz .LBB47_53
; %bb.37:                               ;   in Loop: Header=BB47_9 Depth=1
	s_and_not1_b32 vcc_lo, exec_lo, s11
	s_cbranch_vccnz .LBB47_43
; %bb.38:                               ;   in Loop: Header=BB47_9 Depth=1
	v_mov_b32_e32 v2, 0
	s_and_not1_b32 vcc_lo, exec_lo, s21
	s_cbranch_vccnz .LBB47_47
; %bb.39:                               ;   in Loop: Header=BB47_9 Depth=1
	s_and_not1_b32 vcc_lo, exec_lo, s34
	s_mov_b32 s24, 0
	s_cbranch_vccnz .LBB47_44
; %bb.40:                               ;   in Loop: Header=BB47_9 Depth=1
	v_mov_b32_e32 v2, 0
	v_mov_b32_e32 v0, v9
	s_mov_b32 s39, 0
	s_mov_b64 s[24:25], s[18:19]
	s_mov_b64 s[26:27], s[0:1]
.LBB47_41:                              ;   Parent Loop BB47_9 Depth=1
                                        ; =>  This Inner Loop Header: Depth=2
	s_clause 0x1
	s_load_b256 s[40:47], s[24:25], 0x4
	s_load_b128 s[48:51], s[24:25], 0x24
	s_load_b128 s[52:55], s[26:27], 0x0
	s_add_u32 s24, s24, 48
	s_addc_u32 s25, s25, 0
	s_add_i32 s39, s39, 4
	s_add_u32 s26, s26, 16
	s_addc_u32 s27, s27, 0
	s_cmp_eq_u32 s35, s39
	s_waitcnt lgkmcnt(0)
	v_mul_hi_u32 v10, s41, v0
	s_delay_alu instid0(VALU_DEP_1) | instskip(NEXT) | instid1(VALU_DEP_1)
	v_add_nc_u32_e32 v10, v0, v10
	v_lshrrev_b32_e32 v10, s42, v10
	s_delay_alu instid0(VALU_DEP_1) | instskip(SKIP_1) | instid1(VALU_DEP_2)
	v_mul_hi_u32 v11, s44, v10
	v_mul_lo_u32 v42, v10, s40
	v_add_nc_u32_e32 v11, v10, v11
	s_delay_alu instid0(VALU_DEP_2) | instskip(NEXT) | instid1(VALU_DEP_2)
	v_sub_nc_u32_e32 v42, v0, v42
	v_lshrrev_b32_e32 v11, s45, v11
	s_delay_alu instid0(VALU_DEP_2) | instskip(NEXT) | instid1(VALU_DEP_2)
	v_mul_lo_u32 v42, v42, s52
	v_mul_hi_u32 v12, s47, v11
	v_mul_lo_u32 v43, v11, s43
	s_delay_alu instid0(VALU_DEP_2) | instskip(NEXT) | instid1(VALU_DEP_2)
	v_add_nc_u32_e32 v12, v11, v12
	v_sub_nc_u32_e32 v10, v10, v43
	s_delay_alu instid0(VALU_DEP_2) | instskip(NEXT) | instid1(VALU_DEP_2)
	v_lshrrev_b32_e32 v12, s48, v12
	v_mul_lo_u32 v10, v10, s53
	s_delay_alu instid0(VALU_DEP_2) | instskip(NEXT) | instid1(VALU_DEP_2)
	v_mul_hi_u32 v18, s50, v12
	v_add3_u32 v2, v42, v2, v10
	s_delay_alu instid0(VALU_DEP_2) | instskip(NEXT) | instid1(VALU_DEP_1)
	v_add_nc_u32_e32 v18, v12, v18
	v_lshrrev_b32_e32 v0, s51, v18
	v_mul_lo_u32 v18, v12, s46
	s_delay_alu instid0(VALU_DEP_2) | instskip(NEXT) | instid1(VALU_DEP_2)
	v_mul_lo_u32 v44, v0, s49
	v_sub_nc_u32_e32 v11, v11, v18
	s_delay_alu instid0(VALU_DEP_2) | instskip(NEXT) | instid1(VALU_DEP_2)
	v_sub_nc_u32_e32 v12, v12, v44
	v_mul_lo_u32 v11, v11, s54
	s_delay_alu instid0(VALU_DEP_2) | instskip(NEXT) | instid1(VALU_DEP_1)
	v_mul_lo_u32 v12, v12, s55
	v_add3_u32 v2, v11, v2, v12
	s_cbranch_scc0 .LBB47_41
; %bb.42:                               ;   in Loop: Header=BB47_9 Depth=1
	s_mov_b32 s24, s35
	s_and_not1_b32 vcc_lo, exec_lo, s37
	s_cbranch_vccz .LBB47_45
	s_branch .LBB47_47
.LBB47_43:                              ;   in Loop: Header=BB47_9 Depth=1
                                        ; implicit-def: $vgpr2
	s_branch .LBB47_48
.LBB47_44:                              ;   in Loop: Header=BB47_9 Depth=1
	v_mov_b32_e32 v0, v9
	s_and_not1_b32 vcc_lo, exec_lo, s37
	s_cbranch_vccnz .LBB47_47
.LBB47_45:                              ;   in Loop: Header=BB47_9 Depth=1
	s_lshl_b32 s25, s24, 2
	s_mul_i32 s26, s24, 12
	s_add_u32 s24, s0, s25
	s_addc_u32 s25, s1, 0
	s_add_u32 s26, s18, s26
	s_addc_u32 s27, s19, 0
	s_mov_b32 s39, s33
	.p2align	6
.LBB47_46:                              ;   Parent Loop BB47_9 Depth=1
                                        ; =>  This Inner Loop Header: Depth=2
	s_clause 0x1
	s_load_b64 s[40:41], s[26:27], 0x4
	s_load_b32 s42, s[26:27], 0xc
	s_add_u32 s26, s26, 12
	s_addc_u32 s27, s27, 0
	s_waitcnt lgkmcnt(0)
	v_mul_hi_u32 v10, s41, v0
	s_load_b32 s41, s[24:25], 0x0
	s_add_u32 s24, s24, 4
	s_addc_u32 s25, s25, 0
	s_add_i32 s39, s39, -1
	s_delay_alu instid0(SALU_CYCLE_1) | instskip(NEXT) | instid1(VALU_DEP_1)
	s_cmp_lg_u32 s39, 0
	v_add_nc_u32_e32 v10, v0, v10
	s_delay_alu instid0(VALU_DEP_1) | instskip(NEXT) | instid1(VALU_DEP_1)
	v_lshrrev_b32_e32 v12, s42, v10
	v_mul_lo_u32 v10, v12, s40
	s_delay_alu instid0(VALU_DEP_1) | instskip(SKIP_1) | instid1(VALU_DEP_1)
	v_sub_nc_u32_e32 v0, v0, v10
	s_waitcnt lgkmcnt(0)
	v_mad_u64_u32 v[10:11], null, v0, s41, v[2:3]
	v_mov_b32_e32 v0, v12
	s_delay_alu instid0(VALU_DEP_2)
	v_mov_b32_e32 v2, v10
	s_cbranch_scc1 .LBB47_46
.LBB47_47:                              ;   in Loop: Header=BB47_9 Depth=1
	s_cbranch_execnz .LBB47_50
.LBB47_48:                              ;   in Loop: Header=BB47_9 Depth=1
	v_mul_hi_u32 v0, v9, s6
	s_and_not1_b32 vcc_lo, exec_lo, s4
	s_delay_alu instid0(VALU_DEP_1) | instskip(NEXT) | instid1(VALU_DEP_1)
	v_add_nc_u32_e32 v0, v0, v9
	v_lshrrev_b32_e32 v0, s7, v0
	s_delay_alu instid0(VALU_DEP_1) | instskip(NEXT) | instid1(VALU_DEP_1)
	v_mul_lo_u32 v2, v0, s5
	v_sub_nc_u32_e32 v2, v9, v2
	s_delay_alu instid0(VALU_DEP_1)
	v_mul_lo_u32 v2, v2, s22
	s_cbranch_vccnz .LBB47_50
; %bb.49:                               ;   in Loop: Header=BB47_9 Depth=1
	v_mul_hi_u32 v9, s9, v0
	s_delay_alu instid0(VALU_DEP_1) | instskip(NEXT) | instid1(VALU_DEP_1)
	v_add_nc_u32_e32 v9, v0, v9
	v_lshrrev_b32_e32 v9, s10, v9
	s_delay_alu instid0(VALU_DEP_1) | instskip(NEXT) | instid1(VALU_DEP_1)
	v_mul_lo_u32 v9, v9, s8
	v_sub_nc_u32_e32 v0, v0, v9
	s_delay_alu instid0(VALU_DEP_1) | instskip(NEXT) | instid1(VALU_DEP_1)
	v_mad_u64_u32 v[9:10], null, v0, s23, v[2:3]
	v_mov_b32_e32 v2, v9
.LBB47_50:                              ;   in Loop: Header=BB47_9 Depth=1
	v_mov_b32_e32 v0, v3
	s_mov_b32 s24, exec_lo
	s_delay_alu instid0(VALU_DEP_1)
	v_cmpx_le_u64_e64 s[14:15], v[0:1]
	s_cbranch_execz .LBB47_52
; %bb.51:                               ;   in Loop: Header=BB47_9 Depth=1
	v_cvt_f32_u32_e32 v3, s14
	s_sub_i32 s25, 0, s14
	s_delay_alu instid0(VALU_DEP_1) | instskip(SKIP_2) | instid1(VALU_DEP_1)
	v_rcp_iflag_f32_e32 v3, v3
	s_waitcnt_depctr 0xfff
	v_mul_f32_e32 v3, 0x4f7ffffe, v3
	v_cvt_u32_f32_e32 v3, v3
	s_delay_alu instid0(VALU_DEP_1) | instskip(NEXT) | instid1(VALU_DEP_1)
	v_mul_lo_u32 v9, s25, v3
	v_mul_hi_u32 v9, v3, v9
	s_delay_alu instid0(VALU_DEP_1) | instskip(NEXT) | instid1(VALU_DEP_1)
	v_add_nc_u32_e32 v3, v3, v9
	v_mul_hi_u32 v3, v0, v3
	s_delay_alu instid0(VALU_DEP_1) | instskip(NEXT) | instid1(VALU_DEP_1)
	v_mul_lo_u32 v3, v3, s14
	v_sub_nc_u32_e32 v0, v0, v3
	s_delay_alu instid0(VALU_DEP_1) | instskip(SKIP_1) | instid1(VALU_DEP_2)
	v_subrev_nc_u32_e32 v3, s14, v0
	v_cmp_le_u32_e32 vcc_lo, s14, v0
	v_cndmask_b32_e32 v0, v0, v3, vcc_lo
	s_delay_alu instid0(VALU_DEP_1) | instskip(SKIP_1) | instid1(VALU_DEP_2)
	v_subrev_nc_u32_e32 v3, s14, v0
	v_cmp_le_u32_e32 vcc_lo, s14, v0
	v_cndmask_b32_e32 v0, v0, v3, vcc_lo
.LBB47_52:                              ;   in Loop: Header=BB47_9 Depth=1
	s_or_b32 exec_lo, exec_lo, s24
	s_delay_alu instid0(VALU_DEP_1)
	v_add_nc_u32_e32 v0, s20, v0
	global_store_b32 v2, v0, s[12:13]
.LBB47_53:                              ;   in Loop: Header=BB47_9 Depth=1
	s_or_b32 exec_lo, exec_lo, s38
	v_add_co_u32 v9, vcc_lo, v15, s31
	v_add_co_ci_u32_e32 v10, vcc_lo, 0, v16, vcc_lo
	s_mov_b32 s38, exec_lo
	s_delay_alu instid0(VALU_DEP_1)
	v_cmpx_gt_i64_e64 s[16:17], v[9:10]
	s_cbranch_execz .LBB47_70
; %bb.54:                               ;   in Loop: Header=BB47_9 Depth=1
	s_and_not1_b32 vcc_lo, exec_lo, s11
	s_cbranch_vccnz .LBB47_60
; %bb.55:                               ;   in Loop: Header=BB47_9 Depth=1
	v_mov_b32_e32 v2, 0
	s_and_not1_b32 vcc_lo, exec_lo, s21
	s_cbranch_vccnz .LBB47_64
; %bb.56:                               ;   in Loop: Header=BB47_9 Depth=1
	s_and_not1_b32 vcc_lo, exec_lo, s34
	s_mov_b32 s24, 0
	s_cbranch_vccnz .LBB47_61
; %bb.57:                               ;   in Loop: Header=BB47_9 Depth=1
	v_mov_b32_e32 v2, 0
	v_mov_b32_e32 v0, v9
	s_mov_b32 s39, 0
	s_mov_b64 s[24:25], s[18:19]
	s_mov_b64 s[26:27], s[0:1]
.LBB47_58:                              ;   Parent Loop BB47_9 Depth=1
                                        ; =>  This Inner Loop Header: Depth=2
	s_clause 0x1
	s_load_b256 s[40:47], s[24:25], 0x4
	s_load_b128 s[48:51], s[24:25], 0x24
	s_load_b128 s[52:55], s[26:27], 0x0
	s_add_u32 s24, s24, 48
	s_addc_u32 s25, s25, 0
	s_add_i32 s39, s39, 4
	s_add_u32 s26, s26, 16
	s_addc_u32 s27, s27, 0
	s_cmp_eq_u32 s35, s39
	s_waitcnt lgkmcnt(0)
	v_mul_hi_u32 v3, s41, v0
	s_delay_alu instid0(VALU_DEP_1) | instskip(NEXT) | instid1(VALU_DEP_1)
	v_add_nc_u32_e32 v3, v0, v3
	v_lshrrev_b32_e32 v3, s42, v3
	s_delay_alu instid0(VALU_DEP_1) | instskip(SKIP_1) | instid1(VALU_DEP_2)
	v_mul_hi_u32 v10, s44, v3
	v_mul_lo_u32 v18, v3, s40
	v_add_nc_u32_e32 v10, v3, v10
	s_delay_alu instid0(VALU_DEP_2) | instskip(NEXT) | instid1(VALU_DEP_2)
	v_sub_nc_u32_e32 v18, v0, v18
	v_lshrrev_b32_e32 v10, s45, v10
	s_delay_alu instid0(VALU_DEP_2) | instskip(NEXT) | instid1(VALU_DEP_2)
	v_mul_lo_u32 v18, v18, s52
	v_mul_hi_u32 v11, s47, v10
	v_mul_lo_u32 v42, v10, s43
	s_delay_alu instid0(VALU_DEP_2) | instskip(NEXT) | instid1(VALU_DEP_2)
	v_add_nc_u32_e32 v11, v10, v11
	v_sub_nc_u32_e32 v3, v3, v42
	s_delay_alu instid0(VALU_DEP_2) | instskip(NEXT) | instid1(VALU_DEP_2)
	v_lshrrev_b32_e32 v11, s48, v11
	v_mul_lo_u32 v3, v3, s53
	s_delay_alu instid0(VALU_DEP_2) | instskip(NEXT) | instid1(VALU_DEP_2)
	v_mul_hi_u32 v12, s50, v11
	v_add3_u32 v2, v18, v2, v3
	s_delay_alu instid0(VALU_DEP_2) | instskip(NEXT) | instid1(VALU_DEP_1)
	v_add_nc_u32_e32 v12, v11, v12
	v_lshrrev_b32_e32 v0, s51, v12
	v_mul_lo_u32 v12, v11, s46
	s_delay_alu instid0(VALU_DEP_2) | instskip(NEXT) | instid1(VALU_DEP_2)
	v_mul_lo_u32 v43, v0, s49
	v_sub_nc_u32_e32 v10, v10, v12
	s_delay_alu instid0(VALU_DEP_2) | instskip(NEXT) | instid1(VALU_DEP_2)
	v_sub_nc_u32_e32 v11, v11, v43
	v_mul_lo_u32 v10, v10, s54
	s_delay_alu instid0(VALU_DEP_2) | instskip(NEXT) | instid1(VALU_DEP_1)
	v_mul_lo_u32 v11, v11, s55
	v_add3_u32 v2, v10, v2, v11
	s_cbranch_scc0 .LBB47_58
; %bb.59:                               ;   in Loop: Header=BB47_9 Depth=1
	s_mov_b32 s24, s35
	s_and_not1_b32 vcc_lo, exec_lo, s37
	s_cbranch_vccz .LBB47_62
	s_branch .LBB47_64
.LBB47_60:                              ;   in Loop: Header=BB47_9 Depth=1
                                        ; implicit-def: $vgpr2
	s_branch .LBB47_65
.LBB47_61:                              ;   in Loop: Header=BB47_9 Depth=1
	v_mov_b32_e32 v0, v9
	s_and_not1_b32 vcc_lo, exec_lo, s37
	s_cbranch_vccnz .LBB47_64
.LBB47_62:                              ;   in Loop: Header=BB47_9 Depth=1
	s_lshl_b32 s25, s24, 2
	s_mul_i32 s26, s24, 12
	s_add_u32 s24, s0, s25
	s_addc_u32 s25, s1, 0
	s_add_u32 s26, s18, s26
	s_addc_u32 s27, s19, 0
	s_mov_b32 s39, s33
	.p2align	6
.LBB47_63:                              ;   Parent Loop BB47_9 Depth=1
                                        ; =>  This Inner Loop Header: Depth=2
	s_clause 0x1
	s_load_b64 s[40:41], s[26:27], 0x4
	s_load_b32 s42, s[26:27], 0xc
	s_add_u32 s26, s26, 12
	s_addc_u32 s27, s27, 0
	s_waitcnt lgkmcnt(0)
	v_mul_hi_u32 v3, s41, v0
	s_load_b32 s41, s[24:25], 0x0
	s_add_u32 s24, s24, 4
	s_addc_u32 s25, s25, 0
	s_add_i32 s39, s39, -1
	s_delay_alu instid0(SALU_CYCLE_1) | instskip(NEXT) | instid1(VALU_DEP_1)
	s_cmp_lg_u32 s39, 0
	v_add_nc_u32_e32 v3, v0, v3
	s_delay_alu instid0(VALU_DEP_1) | instskip(NEXT) | instid1(VALU_DEP_1)
	v_lshrrev_b32_e32 v3, s42, v3
	v_mul_lo_u32 v10, v3, s40
	s_delay_alu instid0(VALU_DEP_1) | instskip(SKIP_1) | instid1(VALU_DEP_1)
	v_sub_nc_u32_e32 v0, v0, v10
	s_waitcnt lgkmcnt(0)
	v_mad_u64_u32 v[10:11], null, v0, s41, v[2:3]
	v_mov_b32_e32 v0, v3
	s_delay_alu instid0(VALU_DEP_2)
	v_mov_b32_e32 v2, v10
	s_cbranch_scc1 .LBB47_63
.LBB47_64:                              ;   in Loop: Header=BB47_9 Depth=1
	s_cbranch_execnz .LBB47_67
.LBB47_65:                              ;   in Loop: Header=BB47_9 Depth=1
	v_mul_hi_u32 v0, v9, s6
	s_and_not1_b32 vcc_lo, exec_lo, s4
	s_delay_alu instid0(VALU_DEP_1) | instskip(NEXT) | instid1(VALU_DEP_1)
	v_add_nc_u32_e32 v0, v0, v9
	v_lshrrev_b32_e32 v0, s7, v0
	s_delay_alu instid0(VALU_DEP_1) | instskip(NEXT) | instid1(VALU_DEP_1)
	v_mul_lo_u32 v2, v0, s5
	v_sub_nc_u32_e32 v2, v9, v2
	s_delay_alu instid0(VALU_DEP_1)
	v_mul_lo_u32 v2, v2, s22
	s_cbranch_vccnz .LBB47_67
; %bb.66:                               ;   in Loop: Header=BB47_9 Depth=1
	v_mul_hi_u32 v3, s9, v0
	s_delay_alu instid0(VALU_DEP_1) | instskip(NEXT) | instid1(VALU_DEP_1)
	v_add_nc_u32_e32 v3, v0, v3
	v_lshrrev_b32_e32 v3, s10, v3
	s_delay_alu instid0(VALU_DEP_1) | instskip(NEXT) | instid1(VALU_DEP_1)
	v_mul_lo_u32 v3, v3, s8
	v_sub_nc_u32_e32 v0, v0, v3
	s_delay_alu instid0(VALU_DEP_1) | instskip(NEXT) | instid1(VALU_DEP_1)
	v_mad_u64_u32 v[9:10], null, v0, s23, v[2:3]
	v_mov_b32_e32 v2, v9
.LBB47_67:                              ;   in Loop: Header=BB47_9 Depth=1
	v_mov_b32_e32 v0, v4
	s_mov_b32 s24, exec_lo
	s_delay_alu instid0(VALU_DEP_1)
	v_cmpx_le_u64_e64 s[14:15], v[0:1]
	s_cbranch_execz .LBB47_69
; %bb.68:                               ;   in Loop: Header=BB47_9 Depth=1
	v_cvt_f32_u32_e32 v3, s14
	s_sub_i32 s25, 0, s14
	s_delay_alu instid0(VALU_DEP_1) | instskip(SKIP_2) | instid1(VALU_DEP_1)
	v_rcp_iflag_f32_e32 v3, v3
	s_waitcnt_depctr 0xfff
	v_mul_f32_e32 v3, 0x4f7ffffe, v3
	v_cvt_u32_f32_e32 v3, v3
	s_delay_alu instid0(VALU_DEP_1) | instskip(NEXT) | instid1(VALU_DEP_1)
	v_mul_lo_u32 v4, s25, v3
	v_mul_hi_u32 v4, v3, v4
	s_delay_alu instid0(VALU_DEP_1) | instskip(NEXT) | instid1(VALU_DEP_1)
	v_add_nc_u32_e32 v3, v3, v4
	v_mul_hi_u32 v3, v0, v3
	s_delay_alu instid0(VALU_DEP_1) | instskip(NEXT) | instid1(VALU_DEP_1)
	v_mul_lo_u32 v3, v3, s14
	v_sub_nc_u32_e32 v0, v0, v3
	s_delay_alu instid0(VALU_DEP_1) | instskip(SKIP_1) | instid1(VALU_DEP_2)
	v_subrev_nc_u32_e32 v3, s14, v0
	v_cmp_le_u32_e32 vcc_lo, s14, v0
	v_cndmask_b32_e32 v0, v0, v3, vcc_lo
	s_delay_alu instid0(VALU_DEP_1) | instskip(SKIP_1) | instid1(VALU_DEP_2)
	v_subrev_nc_u32_e32 v3, s14, v0
	v_cmp_le_u32_e32 vcc_lo, s14, v0
	v_cndmask_b32_e32 v0, v0, v3, vcc_lo
.LBB47_69:                              ;   in Loop: Header=BB47_9 Depth=1
	s_or_b32 exec_lo, exec_lo, s24
	s_delay_alu instid0(VALU_DEP_1)
	v_add_nc_u32_e32 v0, s20, v0
	global_store_b32 v2, v0, s[12:13]
.LBB47_70:                              ;   in Loop: Header=BB47_9 Depth=1
	s_or_b32 exec_lo, exec_lo, s38
	v_add_co_u32 v3, vcc_lo, v15, s36
	v_add_co_ci_u32_e32 v4, vcc_lo, 0, v16, vcc_lo
	s_mov_b32 s38, exec_lo
	s_delay_alu instid0(VALU_DEP_1)
	v_cmpx_gt_i64_e64 s[16:17], v[3:4]
	s_cbranch_execz .LBB47_8
; %bb.71:                               ;   in Loop: Header=BB47_9 Depth=1
	s_and_not1_b32 vcc_lo, exec_lo, s11
	s_cbranch_vccnz .LBB47_77
; %bb.72:                               ;   in Loop: Header=BB47_9 Depth=1
	v_mov_b32_e32 v2, 0
	s_and_not1_b32 vcc_lo, exec_lo, s21
	s_cbranch_vccnz .LBB47_81
; %bb.73:                               ;   in Loop: Header=BB47_9 Depth=1
	s_and_not1_b32 vcc_lo, exec_lo, s34
	s_mov_b32 s24, 0
	s_cbranch_vccnz .LBB47_78
; %bb.74:                               ;   in Loop: Header=BB47_9 Depth=1
	v_mov_b32_e32 v2, 0
	v_mov_b32_e32 v0, v3
	s_mov_b32 s39, 0
	s_mov_b64 s[24:25], s[18:19]
	s_mov_b64 s[26:27], s[0:1]
.LBB47_75:                              ;   Parent Loop BB47_9 Depth=1
                                        ; =>  This Inner Loop Header: Depth=2
	s_clause 0x1
	s_load_b256 s[40:47], s[24:25], 0x4
	s_load_b128 s[48:51], s[24:25], 0x24
	s_load_b128 s[52:55], s[26:27], 0x0
	s_add_u32 s24, s24, 48
	s_addc_u32 s25, s25, 0
	s_add_i32 s39, s39, 4
	s_add_u32 s26, s26, 16
	s_addc_u32 s27, s27, 0
	s_cmp_eq_u32 s35, s39
	s_waitcnt lgkmcnt(0)
	v_mul_hi_u32 v4, s41, v0
	s_delay_alu instid0(VALU_DEP_1) | instskip(NEXT) | instid1(VALU_DEP_1)
	v_add_nc_u32_e32 v4, v0, v4
	v_lshrrev_b32_e32 v4, s42, v4
	s_delay_alu instid0(VALU_DEP_1) | instskip(SKIP_1) | instid1(VALU_DEP_2)
	v_mul_hi_u32 v9, s44, v4
	v_mul_lo_u32 v12, v4, s40
	v_add_nc_u32_e32 v9, v4, v9
	s_delay_alu instid0(VALU_DEP_2) | instskip(NEXT) | instid1(VALU_DEP_2)
	v_sub_nc_u32_e32 v12, v0, v12
	v_lshrrev_b32_e32 v9, s45, v9
	s_delay_alu instid0(VALU_DEP_2) | instskip(NEXT) | instid1(VALU_DEP_2)
	v_mul_lo_u32 v12, v12, s52
	v_mul_hi_u32 v10, s47, v9
	v_mul_lo_u32 v18, v9, s43
	s_delay_alu instid0(VALU_DEP_2) | instskip(NEXT) | instid1(VALU_DEP_2)
	v_add_nc_u32_e32 v10, v9, v10
	v_sub_nc_u32_e32 v4, v4, v18
	s_delay_alu instid0(VALU_DEP_2) | instskip(NEXT) | instid1(VALU_DEP_2)
	v_lshrrev_b32_e32 v10, s48, v10
	v_mul_lo_u32 v4, v4, s53
	s_delay_alu instid0(VALU_DEP_2) | instskip(NEXT) | instid1(VALU_DEP_2)
	v_mul_hi_u32 v11, s50, v10
	v_add3_u32 v2, v12, v2, v4
	s_delay_alu instid0(VALU_DEP_2) | instskip(NEXT) | instid1(VALU_DEP_1)
	v_add_nc_u32_e32 v11, v10, v11
	v_lshrrev_b32_e32 v0, s51, v11
	v_mul_lo_u32 v11, v10, s46
	s_delay_alu instid0(VALU_DEP_2) | instskip(NEXT) | instid1(VALU_DEP_2)
	v_mul_lo_u32 v42, v0, s49
	v_sub_nc_u32_e32 v9, v9, v11
	s_delay_alu instid0(VALU_DEP_2) | instskip(NEXT) | instid1(VALU_DEP_2)
	v_sub_nc_u32_e32 v10, v10, v42
	v_mul_lo_u32 v9, v9, s54
	s_delay_alu instid0(VALU_DEP_2) | instskip(NEXT) | instid1(VALU_DEP_1)
	v_mul_lo_u32 v10, v10, s55
	v_add3_u32 v2, v9, v2, v10
	s_cbranch_scc0 .LBB47_75
; %bb.76:                               ;   in Loop: Header=BB47_9 Depth=1
	s_mov_b32 s24, s35
	s_and_not1_b32 vcc_lo, exec_lo, s37
	s_cbranch_vccz .LBB47_79
	s_branch .LBB47_81
.LBB47_77:                              ;   in Loop: Header=BB47_9 Depth=1
                                        ; implicit-def: $vgpr2
	s_branch .LBB47_82
.LBB47_78:                              ;   in Loop: Header=BB47_9 Depth=1
	v_mov_b32_e32 v0, v3
	s_and_not1_b32 vcc_lo, exec_lo, s37
	s_cbranch_vccnz .LBB47_81
.LBB47_79:                              ;   in Loop: Header=BB47_9 Depth=1
	s_lshl_b32 s25, s24, 2
	s_mul_i32 s26, s24, 12
	s_add_u32 s24, s0, s25
	s_addc_u32 s25, s1, 0
	s_add_u32 s26, s18, s26
	s_addc_u32 s27, s19, 0
	s_mov_b32 s39, s33
	.p2align	6
.LBB47_80:                              ;   Parent Loop BB47_9 Depth=1
                                        ; =>  This Inner Loop Header: Depth=2
	s_clause 0x1
	s_load_b64 s[40:41], s[26:27], 0x4
	s_load_b32 s42, s[26:27], 0xc
	s_add_u32 s26, s26, 12
	s_addc_u32 s27, s27, 0
	s_waitcnt lgkmcnt(0)
	v_mul_hi_u32 v4, s41, v0
	s_load_b32 s41, s[24:25], 0x0
	s_add_u32 s24, s24, 4
	s_addc_u32 s25, s25, 0
	s_add_i32 s39, s39, -1
	s_delay_alu instid0(SALU_CYCLE_1) | instskip(NEXT) | instid1(VALU_DEP_1)
	s_cmp_lg_u32 s39, 0
	v_add_nc_u32_e32 v4, v0, v4
	s_delay_alu instid0(VALU_DEP_1) | instskip(NEXT) | instid1(VALU_DEP_1)
	v_lshrrev_b32_e32 v4, s42, v4
	v_mul_lo_u32 v9, v4, s40
	s_delay_alu instid0(VALU_DEP_1) | instskip(SKIP_1) | instid1(VALU_DEP_1)
	v_sub_nc_u32_e32 v0, v0, v9
	s_waitcnt lgkmcnt(0)
	v_mad_u64_u32 v[9:10], null, v0, s41, v[2:3]
	v_mov_b32_e32 v0, v4
	s_delay_alu instid0(VALU_DEP_2)
	v_mov_b32_e32 v2, v9
	s_cbranch_scc1 .LBB47_80
.LBB47_81:                              ;   in Loop: Header=BB47_9 Depth=1
	s_cbranch_execnz .LBB47_84
.LBB47_82:                              ;   in Loop: Header=BB47_9 Depth=1
	v_mul_hi_u32 v0, v3, s6
	s_and_not1_b32 vcc_lo, exec_lo, s4
	s_delay_alu instid0(VALU_DEP_1) | instskip(NEXT) | instid1(VALU_DEP_1)
	v_add_nc_u32_e32 v0, v0, v3
	v_lshrrev_b32_e32 v0, s7, v0
	s_delay_alu instid0(VALU_DEP_1) | instskip(NEXT) | instid1(VALU_DEP_1)
	v_mul_lo_u32 v2, v0, s5
	v_sub_nc_u32_e32 v2, v3, v2
	s_delay_alu instid0(VALU_DEP_1)
	v_mul_lo_u32 v2, v2, s22
	s_cbranch_vccnz .LBB47_84
; %bb.83:                               ;   in Loop: Header=BB47_9 Depth=1
	v_mul_hi_u32 v3, s9, v0
	s_delay_alu instid0(VALU_DEP_1) | instskip(NEXT) | instid1(VALU_DEP_1)
	v_add_nc_u32_e32 v3, v0, v3
	v_lshrrev_b32_e32 v3, s10, v3
	s_delay_alu instid0(VALU_DEP_1) | instskip(NEXT) | instid1(VALU_DEP_1)
	v_mul_lo_u32 v3, v3, s8
	v_sub_nc_u32_e32 v0, v0, v3
	s_delay_alu instid0(VALU_DEP_1) | instskip(NEXT) | instid1(VALU_DEP_1)
	v_mad_u64_u32 v[3:4], null, v0, s23, v[2:3]
	v_mov_b32_e32 v2, v3
.LBB47_84:                              ;   in Loop: Header=BB47_9 Depth=1
	v_mov_b32_e32 v0, v5
	s_mov_b32 s24, exec_lo
	s_delay_alu instid0(VALU_DEP_1)
	v_cmpx_le_u64_e64 s[14:15], v[0:1]
	s_cbranch_execz .LBB47_7
; %bb.85:                               ;   in Loop: Header=BB47_9 Depth=1
	v_cvt_f32_u32_e32 v3, s14
	s_sub_i32 s25, 0, s14
	s_delay_alu instid0(VALU_DEP_1) | instskip(SKIP_2) | instid1(VALU_DEP_1)
	v_rcp_iflag_f32_e32 v3, v3
	s_waitcnt_depctr 0xfff
	v_mul_f32_e32 v3, 0x4f7ffffe, v3
	v_cvt_u32_f32_e32 v3, v3
	s_delay_alu instid0(VALU_DEP_1) | instskip(NEXT) | instid1(VALU_DEP_1)
	v_mul_lo_u32 v4, s25, v3
	v_mul_hi_u32 v4, v3, v4
	s_delay_alu instid0(VALU_DEP_1) | instskip(NEXT) | instid1(VALU_DEP_1)
	v_add_nc_u32_e32 v3, v3, v4
	v_mul_hi_u32 v3, v0, v3
	s_delay_alu instid0(VALU_DEP_1) | instskip(NEXT) | instid1(VALU_DEP_1)
	v_mul_lo_u32 v3, v3, s14
	v_sub_nc_u32_e32 v0, v0, v3
	s_delay_alu instid0(VALU_DEP_1) | instskip(SKIP_1) | instid1(VALU_DEP_2)
	v_subrev_nc_u32_e32 v3, s14, v0
	v_cmp_le_u32_e32 vcc_lo, s14, v0
	v_cndmask_b32_e32 v0, v0, v3, vcc_lo
	s_delay_alu instid0(VALU_DEP_1) | instskip(SKIP_1) | instid1(VALU_DEP_2)
	v_subrev_nc_u32_e32 v3, s14, v0
	v_cmp_le_u32_e32 vcc_lo, s14, v0
	v_cndmask_b32_e32 v0, v0, v3, vcc_lo
	s_branch .LBB47_7
.LBB47_86:
	s_endpgm
.LBB47_87:
                                        ; implicit-def: $sgpr2_sgpr3
	s_branch .LBB47_4
	.section	.rodata,"a",@progbits
	.p2align	6, 0x0
	.amdhsa_kernel _ZN2at6native12_GLOBAL__N_143distribution_elementwise_grid_stride_kernelIjLi4EZZZNS0_9templates4cuda21random_from_to_kernelIPNS_17CUDAGeneratorImplEEEvRNS_18TensorIteratorBaseEmlT_ENKUlvE_clEvENKUlvE10_clEvEUlP25hiprandStatePhilox4_32_10E0_ZNS1_27distribution_nullary_kernelIjj15HIP_vector_typeIjLj4EES7_SF_ZZZNS5_IS7_EEvS9_mlSA_ENKSB_clEvENKSC_clEvEUljE_EEvS9_T2_RKT3_T4_EUlijE0_EEvlNS_15PhiloxCudaStateET1_SK_
		.amdhsa_group_segment_fixed_size 0
		.amdhsa_private_segment_fixed_size 0
		.amdhsa_kernarg_size 592
		.amdhsa_user_sgpr_count 15
		.amdhsa_user_sgpr_dispatch_ptr 0
		.amdhsa_user_sgpr_queue_ptr 0
		.amdhsa_user_sgpr_kernarg_segment_ptr 1
		.amdhsa_user_sgpr_dispatch_id 0
		.amdhsa_user_sgpr_private_segment_size 0
		.amdhsa_wavefront_size32 1
		.amdhsa_uses_dynamic_stack 0
		.amdhsa_enable_private_segment 0
		.amdhsa_system_sgpr_workgroup_id_x 1
		.amdhsa_system_sgpr_workgroup_id_y 0
		.amdhsa_system_sgpr_workgroup_id_z 0
		.amdhsa_system_sgpr_workgroup_info 0
		.amdhsa_system_vgpr_workitem_id 0
		.amdhsa_next_free_vgpr 45
		.amdhsa_next_free_sgpr 56
		.amdhsa_reserve_vcc 1
		.amdhsa_float_round_mode_32 0
		.amdhsa_float_round_mode_16_64 0
		.amdhsa_float_denorm_mode_32 3
		.amdhsa_float_denorm_mode_16_64 3
		.amdhsa_dx10_clamp 1
		.amdhsa_ieee_mode 1
		.amdhsa_fp16_overflow 0
		.amdhsa_workgroup_processor_mode 1
		.amdhsa_memory_ordered 1
		.amdhsa_forward_progress 0
		.amdhsa_shared_vgpr_count 0
		.amdhsa_exception_fp_ieee_invalid_op 0
		.amdhsa_exception_fp_denorm_src 0
		.amdhsa_exception_fp_ieee_div_zero 0
		.amdhsa_exception_fp_ieee_overflow 0
		.amdhsa_exception_fp_ieee_underflow 0
		.amdhsa_exception_fp_ieee_inexact 0
		.amdhsa_exception_int_div_zero 0
	.end_amdhsa_kernel
	.section	.text._ZN2at6native12_GLOBAL__N_143distribution_elementwise_grid_stride_kernelIjLi4EZZZNS0_9templates4cuda21random_from_to_kernelIPNS_17CUDAGeneratorImplEEEvRNS_18TensorIteratorBaseEmlT_ENKUlvE_clEvENKUlvE10_clEvEUlP25hiprandStatePhilox4_32_10E0_ZNS1_27distribution_nullary_kernelIjj15HIP_vector_typeIjLj4EES7_SF_ZZZNS5_IS7_EEvS9_mlSA_ENKSB_clEvENKSC_clEvEUljE_EEvS9_T2_RKT3_T4_EUlijE0_EEvlNS_15PhiloxCudaStateET1_SK_,"axG",@progbits,_ZN2at6native12_GLOBAL__N_143distribution_elementwise_grid_stride_kernelIjLi4EZZZNS0_9templates4cuda21random_from_to_kernelIPNS_17CUDAGeneratorImplEEEvRNS_18TensorIteratorBaseEmlT_ENKUlvE_clEvENKUlvE10_clEvEUlP25hiprandStatePhilox4_32_10E0_ZNS1_27distribution_nullary_kernelIjj15HIP_vector_typeIjLj4EES7_SF_ZZZNS5_IS7_EEvS9_mlSA_ENKSB_clEvENKSC_clEvEUljE_EEvS9_T2_RKT3_T4_EUlijE0_EEvlNS_15PhiloxCudaStateET1_SK_,comdat
.Lfunc_end47:
	.size	_ZN2at6native12_GLOBAL__N_143distribution_elementwise_grid_stride_kernelIjLi4EZZZNS0_9templates4cuda21random_from_to_kernelIPNS_17CUDAGeneratorImplEEEvRNS_18TensorIteratorBaseEmlT_ENKUlvE_clEvENKUlvE10_clEvEUlP25hiprandStatePhilox4_32_10E0_ZNS1_27distribution_nullary_kernelIjj15HIP_vector_typeIjLj4EES7_SF_ZZZNS5_IS7_EEvS9_mlSA_ENKSB_clEvENKSC_clEvEUljE_EEvS9_T2_RKT3_T4_EUlijE0_EEvlNS_15PhiloxCudaStateET1_SK_, .Lfunc_end47-_ZN2at6native12_GLOBAL__N_143distribution_elementwise_grid_stride_kernelIjLi4EZZZNS0_9templates4cuda21random_from_to_kernelIPNS_17CUDAGeneratorImplEEEvRNS_18TensorIteratorBaseEmlT_ENKUlvE_clEvENKUlvE10_clEvEUlP25hiprandStatePhilox4_32_10E0_ZNS1_27distribution_nullary_kernelIjj15HIP_vector_typeIjLj4EES7_SF_ZZZNS5_IS7_EEvS9_mlSA_ENKSB_clEvENKSC_clEvEUljE_EEvS9_T2_RKT3_T4_EUlijE0_EEvlNS_15PhiloxCudaStateET1_SK_
                                        ; -- End function
	.section	.AMDGPU.csdata,"",@progbits
; Kernel info:
; codeLenInByte = 5748
; NumSgprs: 58
; NumVgprs: 45
; ScratchSize: 0
; MemoryBound: 0
; FloatMode: 240
; IeeeMode: 1
; LDSByteSize: 0 bytes/workgroup (compile time only)
; SGPRBlocks: 7
; VGPRBlocks: 5
; NumSGPRsForWavesPerEU: 58
; NumVGPRsForWavesPerEU: 45
; Occupancy: 16
; WaveLimiterHint : 1
; COMPUTE_PGM_RSRC2:SCRATCH_EN: 0
; COMPUTE_PGM_RSRC2:USER_SGPR: 15
; COMPUTE_PGM_RSRC2:TRAP_HANDLER: 0
; COMPUTE_PGM_RSRC2:TGID_X_EN: 1
; COMPUTE_PGM_RSRC2:TGID_Y_EN: 0
; COMPUTE_PGM_RSRC2:TGID_Z_EN: 0
; COMPUTE_PGM_RSRC2:TIDIG_COMP_CNT: 0
	.section	.text._ZN2at6native12_GLOBAL__N_143distribution_elementwise_grid_stride_kernelImLi2EZZZNS0_9templates4cuda21random_from_to_kernelIPNS_17CUDAGeneratorImplEEEvRNS_18TensorIteratorBaseEmlT_ENKUlvE_clEvENKUlvE11_clEvEUlP25hiprandStatePhilox4_32_10E_ZNS1_27distribution_nullary_kernelImm15HIP_vector_typeIyLj2EES7_SF_ZZZNS5_IS7_EEvS9_mlSA_ENKSB_clEvENKSC_clEvEUlmE_EEvS9_T2_RKT3_T4_EUlimE_EEvlNS_15PhiloxCudaStateET1_SK_,"axG",@progbits,_ZN2at6native12_GLOBAL__N_143distribution_elementwise_grid_stride_kernelImLi2EZZZNS0_9templates4cuda21random_from_to_kernelIPNS_17CUDAGeneratorImplEEEvRNS_18TensorIteratorBaseEmlT_ENKUlvE_clEvENKUlvE11_clEvEUlP25hiprandStatePhilox4_32_10E_ZNS1_27distribution_nullary_kernelImm15HIP_vector_typeIyLj2EES7_SF_ZZZNS5_IS7_EEvS9_mlSA_ENKSB_clEvENKSC_clEvEUlmE_EEvS9_T2_RKT3_T4_EUlimE_EEvlNS_15PhiloxCudaStateET1_SK_,comdat
	.globl	_ZN2at6native12_GLOBAL__N_143distribution_elementwise_grid_stride_kernelImLi2EZZZNS0_9templates4cuda21random_from_to_kernelIPNS_17CUDAGeneratorImplEEEvRNS_18TensorIteratorBaseEmlT_ENKUlvE_clEvENKUlvE11_clEvEUlP25hiprandStatePhilox4_32_10E_ZNS1_27distribution_nullary_kernelImm15HIP_vector_typeIyLj2EES7_SF_ZZZNS5_IS7_EEvS9_mlSA_ENKSB_clEvENKSC_clEvEUlmE_EEvS9_T2_RKT3_T4_EUlimE_EEvlNS_15PhiloxCudaStateET1_SK_ ; -- Begin function _ZN2at6native12_GLOBAL__N_143distribution_elementwise_grid_stride_kernelImLi2EZZZNS0_9templates4cuda21random_from_to_kernelIPNS_17CUDAGeneratorImplEEEvRNS_18TensorIteratorBaseEmlT_ENKUlvE_clEvENKUlvE11_clEvEUlP25hiprandStatePhilox4_32_10E_ZNS1_27distribution_nullary_kernelImm15HIP_vector_typeIyLj2EES7_SF_ZZZNS5_IS7_EEvS9_mlSA_ENKSB_clEvENKSC_clEvEUlmE_EEvS9_T2_RKT3_T4_EUlimE_EEvlNS_15PhiloxCudaStateET1_SK_
	.p2align	8
	.type	_ZN2at6native12_GLOBAL__N_143distribution_elementwise_grid_stride_kernelImLi2EZZZNS0_9templates4cuda21random_from_to_kernelIPNS_17CUDAGeneratorImplEEEvRNS_18TensorIteratorBaseEmlT_ENKUlvE_clEvENKUlvE11_clEvEUlP25hiprandStatePhilox4_32_10E_ZNS1_27distribution_nullary_kernelImm15HIP_vector_typeIyLj2EES7_SF_ZZZNS5_IS7_EEvS9_mlSA_ENKSB_clEvENKSC_clEvEUlmE_EEvS9_T2_RKT3_T4_EUlimE_EEvlNS_15PhiloxCudaStateET1_SK_,@function
_ZN2at6native12_GLOBAL__N_143distribution_elementwise_grid_stride_kernelImLi2EZZZNS0_9templates4cuda21random_from_to_kernelIPNS_17CUDAGeneratorImplEEEvRNS_18TensorIteratorBaseEmlT_ENKUlvE_clEvENKUlvE11_clEvEUlP25hiprandStatePhilox4_32_10E_ZNS1_27distribution_nullary_kernelImm15HIP_vector_typeIyLj2EES7_SF_ZZZNS5_IS7_EEvS9_mlSA_ENKSB_clEvENKSC_clEvEUlmE_EEvS9_T2_RKT3_T4_EUlimE_EEvlNS_15PhiloxCudaStateET1_SK_: ; @_ZN2at6native12_GLOBAL__N_143distribution_elementwise_grid_stride_kernelImLi2EZZZNS0_9templates4cuda21random_from_to_kernelIPNS_17CUDAGeneratorImplEEEvRNS_18TensorIteratorBaseEmlT_ENKUlvE_clEvENKUlvE11_clEvEUlP25hiprandStatePhilox4_32_10E_ZNS1_27distribution_nullary_kernelImm15HIP_vector_typeIyLj2EES7_SF_ZZZNS5_IS7_EEvS9_mlSA_ENKSB_clEvENKSC_clEvEUlmE_EEvS9_T2_RKT3_T4_EUlimE_EEvlNS_15PhiloxCudaStateET1_SK_
; %bb.0:
	s_clause 0x2
	s_load_b64 s[8:9], s[0:1], 0x10
	s_load_b128 s[4:7], s[0:1], 0x0
	s_load_b32 s2, s[0:1], 0x20
	s_waitcnt lgkmcnt(0)
	v_dual_mov_b32 v2, s8 :: v_dual_mov_b32 v3, s9
	v_dual_mov_b32 v12, s7 :: v_dual_mov_b32 v11, s6
	s_bitcmp0_b32 s2, 0
	s_mov_b32 s2, 0
	s_cbranch_scc1 .LBB48_2
; %bb.1:
	v_dual_mov_b32 v1, s8 :: v_dual_mov_b32 v2, s9
	v_dual_mov_b32 v4, s6 :: v_dual_mov_b32 v5, s7
	s_load_b64 s[6:7], s[0:1], 0x18
	flat_load_b64 v[2:3], v[1:2]
	flat_load_b64 v[11:12], v[4:5]
	s_waitcnt vmcnt(1) lgkmcnt(0)
	v_add_co_u32 v2, vcc_lo, v2, s6
	v_add_co_ci_u32_e32 v3, vcc_lo, s7, v3, vcc_lo
.LBB48_2:
	s_clause 0x1
	s_load_b32 s3, s[0:1], 0x5c
	s_load_b32 s16, s[0:1], 0x50
	s_waitcnt lgkmcnt(0)
	s_and_b32 s14, s3, 0xffff
	s_add_u32 s6, s4, -1
	s_mul_i32 s12, s16, s14
	s_addc_u32 s3, s5, -1
	s_lshl_b32 s13, s12, 1
	s_cmp_lg_u64 s[2:3], 0
	s_cbranch_scc0 .LBB48_31
; %bb.3:
	v_cvt_f32_ubyte0_e32 v1, 0
	v_cvt_f32_u32_e32 v4, s13
	s_sub_u32 s8, 0, s13
	s_subb_u32 s9, 0, 0
	s_delay_alu instid0(VALU_DEP_1) | instskip(NEXT) | instid1(VALU_DEP_1)
	v_fmamk_f32 v1, v1, 0x4f800000, v4
	v_rcp_f32_e32 v1, v1
	s_waitcnt_depctr 0xfff
	v_mul_f32_e32 v1, 0x5f7ffffc, v1
	s_delay_alu instid0(VALU_DEP_1) | instskip(NEXT) | instid1(VALU_DEP_1)
	v_mul_f32_e32 v4, 0x2f800000, v1
	v_trunc_f32_e32 v4, v4
	s_delay_alu instid0(VALU_DEP_1) | instskip(SKIP_1) | instid1(VALU_DEP_2)
	v_fmamk_f32 v1, v4, 0xcf800000, v1
	v_cvt_u32_f32_e32 v4, v4
	v_cvt_u32_f32_e32 v1, v1
	s_delay_alu instid0(VALU_DEP_2) | instskip(NEXT) | instid1(VALU_DEP_2)
	v_readfirstlane_b32 s2, v4
	v_readfirstlane_b32 s7, v1
	s_delay_alu instid0(VALU_DEP_2) | instskip(NEXT) | instid1(VALU_DEP_1)
	s_mul_i32 s10, s8, s2
	s_mul_hi_u32 s17, s8, s7
	s_mul_i32 s11, s9, s7
	s_add_i32 s10, s17, s10
	s_mul_i32 s18, s8, s7
	s_add_i32 s10, s10, s11
	s_mul_hi_u32 s17, s7, s18
	s_mul_hi_u32 s19, s2, s18
	s_mul_i32 s11, s2, s18
	s_mul_hi_u32 s18, s7, s10
	s_mul_i32 s7, s7, s10
	s_mul_hi_u32 s20, s2, s10
	s_add_u32 s7, s17, s7
	s_addc_u32 s17, 0, s18
	s_add_u32 s7, s7, s11
	s_mul_i32 s10, s2, s10
	s_addc_u32 s7, s17, s19
	s_addc_u32 s11, s20, 0
	s_add_u32 s7, s7, s10
	s_addc_u32 s10, 0, s11
	v_add_co_u32 v1, s7, v1, s7
	s_delay_alu instid0(VALU_DEP_1) | instskip(SKIP_1) | instid1(VALU_DEP_1)
	s_cmp_lg_u32 s7, 0
	s_addc_u32 s2, s2, s10
	v_readfirstlane_b32 s7, v1
	s_mul_i32 s10, s8, s2
	s_delay_alu instid0(VALU_DEP_1)
	s_mul_hi_u32 s11, s8, s7
	s_mul_i32 s9, s9, s7
	s_add_i32 s10, s11, s10
	s_mul_i32 s8, s8, s7
	s_add_i32 s10, s10, s9
	s_mul_hi_u32 s11, s2, s8
	s_mul_i32 s17, s2, s8
	s_mul_hi_u32 s8, s7, s8
	s_mul_hi_u32 s18, s7, s10
	s_mul_i32 s7, s7, s10
	s_mul_hi_u32 s9, s2, s10
	s_add_u32 s7, s8, s7
	s_addc_u32 s8, 0, s18
	s_add_u32 s7, s7, s17
	s_mul_i32 s10, s2, s10
	s_addc_u32 s7, s8, s11
	s_addc_u32 s8, s9, 0
	s_add_u32 s7, s7, s10
	s_addc_u32 s8, 0, s8
	v_add_co_u32 v1, s7, v1, s7
	s_delay_alu instid0(VALU_DEP_1) | instskip(SKIP_2) | instid1(VALU_DEP_1)
	s_cmp_lg_u32 s7, 0
	s_addc_u32 s7, s2, s8
	s_ashr_i32 s8, s3, 31
	v_readfirstlane_b32 s10, v1
	s_add_u32 s2, s6, s8
	s_mov_b32 s9, s8
	s_addc_u32 s3, s3, s8
	s_delay_alu instid0(SALU_CYCLE_1) | instskip(NEXT) | instid1(SALU_CYCLE_1)
	s_xor_b64 s[2:3], s[2:3], s[8:9]
	s_mul_i32 s17, s2, s7
	s_mul_hi_u32 s18, s2, s10
	s_mul_hi_u32 s11, s2, s7
	;; [unrolled: 1-line block ×3, first 2 shown]
	s_mul_i32 s10, s3, s10
	s_add_u32 s17, s18, s17
	s_addc_u32 s11, 0, s11
	s_mul_hi_u32 s19, s3, s7
	s_add_u32 s10, s17, s10
	s_mul_i32 s7, s3, s7
	s_addc_u32 s10, s11, s20
	s_addc_u32 s11, s19, 0
	s_add_u32 s7, s10, s7
	s_addc_u32 s10, 0, s11
	s_mul_i32 s17, s13, s7
	s_add_u32 s11, s7, 1
	v_sub_co_u32 v1, s2, s2, s17
	s_mul_hi_u32 s17, s13, s7
	s_addc_u32 s18, s10, 0
	s_mul_i32 s19, s13, s10
	s_delay_alu instid0(VALU_DEP_1)
	v_sub_co_u32 v4, s20, v1, s13
	s_add_u32 s21, s7, 2
	s_addc_u32 s22, s10, 0
	s_add_i32 s17, s17, s19
	s_cmp_lg_u32 s2, 0
	v_readfirstlane_b32 s2, v4
	s_subb_u32 s3, s3, s17
	s_cmp_lg_u32 s20, 0
	s_subb_u32 s17, s3, 0
	s_delay_alu instid0(VALU_DEP_1) | instskip(SKIP_4) | instid1(SALU_CYCLE_1)
	s_cmp_ge_u32 s2, s13
	s_cselect_b32 s2, -1, 0
	s_cmp_eq_u32 s17, 0
	v_readfirstlane_b32 s17, v1
	s_cselect_b32 s2, s2, -1
	s_cmp_lg_u32 s2, 0
	s_cselect_b32 s2, s21, s11
	s_cselect_b32 s11, s22, s18
	s_cmp_ge_u32 s17, s13
	s_cselect_b32 s17, -1, 0
	s_cmp_eq_u32 s3, 0
	s_cselect_b32 s3, s17, -1
	s_delay_alu instid0(SALU_CYCLE_1) | instskip(SKIP_2) | instid1(SALU_CYCLE_1)
	s_cmp_lg_u32 s3, 0
	s_cselect_b32 s3, s11, s10
	s_cselect_b32 s2, s2, s7
	s_xor_b64 s[2:3], s[2:3], s[8:9]
	s_delay_alu instid0(SALU_CYCLE_1)
	s_sub_u32 s2, s2, s8
	s_subb_u32 s3, s3, s8
	s_cbranch_execnz .LBB48_5
.LBB48_4:
	v_cvt_f32_u32_e32 v1, s13
	s_sub_i32 s3, 0, s13
	s_delay_alu instid0(VALU_DEP_1) | instskip(SKIP_2) | instid1(VALU_DEP_1)
	v_rcp_iflag_f32_e32 v1, v1
	s_waitcnt_depctr 0xfff
	v_mul_f32_e32 v1, 0x4f7ffffe, v1
	v_cvt_u32_f32_e32 v1, v1
	s_delay_alu instid0(VALU_DEP_1) | instskip(NEXT) | instid1(VALU_DEP_1)
	v_readfirstlane_b32 s2, v1
	s_mul_i32 s3, s3, s2
	s_delay_alu instid0(SALU_CYCLE_1) | instskip(NEXT) | instid1(SALU_CYCLE_1)
	s_mul_hi_u32 s3, s2, s3
	s_add_i32 s2, s2, s3
	s_delay_alu instid0(SALU_CYCLE_1) | instskip(NEXT) | instid1(SALU_CYCLE_1)
	s_mul_hi_u32 s2, s6, s2
	s_mul_i32 s3, s2, s13
	s_delay_alu instid0(SALU_CYCLE_1)
	s_sub_i32 s3, s6, s3
	s_add_i32 s6, s2, 1
	s_sub_i32 s7, s3, s13
	s_cmp_ge_u32 s3, s13
	s_cselect_b32 s2, s6, s2
	s_cselect_b32 s3, s7, s3
	s_add_i32 s6, s2, 1
	s_cmp_ge_u32 s3, s13
	s_mov_b32 s3, 0
	s_cselect_b32 s2, s6, s2
.LBB48_5:
	v_mov_b32_e32 v13, 0
	s_add_u32 s2, s2, 1
	s_addc_u32 s3, s3, 0
	s_mul_hi_u32 s6, s16, s14
	s_mul_hi_u32 s7, s12, s2
	v_mov_b32_e32 v1, v13
	s_mul_i32 s3, s12, s3
	s_mul_i32 s6, s6, s2
	s_add_i32 s3, s7, s3
	s_mul_i32 s2, s12, s2
	v_mad_u64_u32 v[15:16], null, s14, s15, v[0:1]
	s_add_i32 s3, s3, s6
	s_mov_b32 s6, exec_lo
	s_lshl_b64 s[2:3], s[2:3], 1
	s_delay_alu instid0(VALU_DEP_1) | instid1(SALU_CYCLE_1)
	v_cmpx_gt_i64_e64 s[2:3], v[15:16]
	s_cbranch_execz .LBB48_30
; %bb.6:
	v_alignbit_b32 v19, v3, v2, 2
	v_mad_u64_u32 v[6:7], null, 0xcd9e8d57, v15, 0
	v_lshrrev_b32_e32 v20, 2, v3
	s_waitcnt vmcnt(0)
	v_dual_mov_b32 v14, v12 :: v_dual_and_b32 v35, 3, v2
	v_mad_u64_u32 v[4:5], null, 0xd2511f53, v19, 0
	v_add_co_u32 v22, null, 0x9e3779b9, v11
	v_xor3_b32 v3, v11, v7, v20
	s_delay_alu instid0(VALU_DEP_4) | instskip(SKIP_2) | instid1(VALU_DEP_4)
	v_add_co_u32 v21, null, 0xbb67ae85, v14
	v_add_co_u32 v23, null, 0x3c6ef372, v11
	v_xor_b32_e32 v1, v5, v12
	v_mad_u64_u32 v[7:8], null, 0xd2511f53, v3, 0
	v_add_co_u32 v24, null, 0x76cf5d0a, v14
	s_delay_alu instid0(VALU_DEP_3) | instskip(SKIP_2) | instid1(VALU_DEP_3)
	v_xor_b32_e32 v1, v1, v16
	v_add_co_u32 v25, null, 0x32370b8f, v14
	v_add_co_u32 v26, null, 0xdaa66d2b, v11
	v_mad_u64_u32 v[9:10], null, 0xcd9e8d57, v1, 0
	v_xor3_b32 v1, v21, v8, v4
	v_add_co_u32 v27, null, 0x78dde6e4, v11
	v_add_co_u32 v28, null, 0xed9eba14, v14
	s_delay_alu instid0(VALU_DEP_3) | instskip(SKIP_3) | instid1(VALU_DEP_3)
	v_mad_u64_u32 v[3:4], null, 0xcd9e8d57, v1, 0
	v_xor3_b32 v8, v22, v10, v6
	v_add_co_u32 v29, null, 0xa9066899, v14
	v_add_co_u32 v30, null, 0x1715609d, v11
	v_mad_u64_u32 v[5:6], null, 0xd2511f53, v8, 0
	v_xor3_b32 v1, v23, v4, v9
	v_add_co_u32 v31, null, 0xb54cda56, v11
	v_add_co_u32 v32, null, 0x646e171e, v14
	;; [unrolled: 1-line block ×3, first 2 shown]
	v_xor3_b32 v4, v24, v6, v7
	v_mad_u64_u32 v[6:7], null, 0xd2511f53, v1, 0
	v_add_co_u32 v34, null, 0x5384540f, v11
	s_delay_alu instid0(VALU_DEP_3)
	v_mad_u64_u32 v[8:9], null, 0xcd9e8d57, v4, 0
	s_clause 0x2
	s_load_b64 s[6:7], s[0:1], 0x30
	s_load_b32 s17, s[0:1], 0x38
	s_load_b128 s[8:11], s[0:1], 0x40
	v_add_co_u32 v37, null, 0xf1bbcdc8, v11
	v_xor3_b32 v1, v25, v7, v5
	v_add_co_u32 v38, null, 0xdb3d7428, v14
	v_xor3_b32 v5, v26, v9, v3
	v_dual_mov_b32 v40, v15 :: v_dual_add_nc_u32 v39, 0x96a522ad, v12
	s_delay_alu instid0(VALU_DEP_4) | instskip(NEXT) | instid1(VALU_DEP_3)
	v_mad_u64_u32 v[3:4], null, 0xcd9e8d57, v1, 0
	v_mad_u64_u32 v[9:10], null, 0xd2511f53, v5, 0
	v_mov_b32_e32 v43, v16
	s_mov_b32 s1, 0
	s_delay_alu instid0(VALU_DEP_3) | instskip(NEXT) | instid1(VALU_DEP_3)
	v_xor3_b32 v1, v27, v4, v8
	v_xor3_b32 v8, v28, v10, v6
	s_waitcnt lgkmcnt(0)
	s_mul_i32 s0, s16, s17
	s_delay_alu instid0(VALU_DEP_2) | instskip(NEXT) | instid1(VALU_DEP_2)
	v_mad_u64_u32 v[4:5], null, 0xd2511f53, v1, 0
	v_mad_u64_u32 v[6:7], null, 0xcd9e8d57, v8, 0
	s_mul_i32 s0, s0, s14
	s_delay_alu instid0(VALU_DEP_2) | instskip(NEXT) | instid1(VALU_DEP_2)
	v_xor3_b32 v1, v29, v5, v9
	v_xor3_b32 v3, v30, v7, v3
	s_delay_alu instid0(VALU_DEP_2) | instskip(NEXT) | instid1(VALU_DEP_2)
	v_mad_u64_u32 v[7:8], null, 0xcd9e8d57, v1, 0
	v_mad_u64_u32 v[9:10], null, 0xd2511f53, v3, 0
	s_delay_alu instid0(VALU_DEP_2) | instskip(NEXT) | instid1(VALU_DEP_2)
	v_xor3_b32 v1, v31, v8, v6
	v_xor3_b32 v8, v32, v10, v4
	s_delay_alu instid0(VALU_DEP_2) | instskip(NEXT) | instid1(VALU_DEP_2)
	v_mad_u64_u32 v[3:4], null, 0xd2511f53, v1, 0
	v_mad_u64_u32 v[5:6], null, 0xcd9e8d57, v8, 0
	;; [unrolled: 6-line block ×3, first 2 shown]
	v_mad_u64_u32 v[17:18], null, s15, s14, v[0:1]
	s_add_i32 s15, s15, s16
	s_delay_alu instid0(VALU_DEP_3) | instskip(NEXT) | instid1(VALU_DEP_3)
	v_xor3_b32 v1, v37, v7, v5
	v_xor3_b32 v7, v38, v9, v3
	s_delay_alu instid0(VALU_DEP_3) | instskip(NEXT) | instid1(VALU_DEP_3)
	v_mul_lo_u32 v41, s17, v17
	v_mad_u64_u32 v[3:4], null, s15, s14, v[0:1]
	v_mad_u64_u32 v[4:5], null, 0xd2511f53, v1, 0
	s_delay_alu instid0(VALU_DEP_4) | instskip(SKIP_2) | instid1(VALU_DEP_4)
	v_mad_u64_u32 v[1:2], null, 0xcd9e8d57, v7, 0
	v_add_nc_u32_e32 v36, 0x8ff34781, v11
	s_lshl_b32 s14, s0, 1
	v_mul_lo_u32 v42, s17, v3
	s_mov_b32 s15, 0
	s_delay_alu instid0(VALU_DEP_4) | instskip(NEXT) | instid1(VALU_DEP_4)
	v_mov_b32_e32 v3, v4
	v_xor3_b32 v0, v2, v6, v36
	v_xor3_b32 v2, v5, v8, v39
	s_branch .LBB48_9
.LBB48_7:                               ;   in Loop: Header=BB48_9 Depth=1
	s_or_b32 exec_lo, exec_lo, s0
	v_add_nc_u32_e32 v0, s15, v42
	s_delay_alu instid0(VALU_DEP_1) | instskip(SKIP_1) | instid1(VALU_DEP_2)
	v_ashrrev_i32_e32 v1, 31, v0
	v_add_co_u32 v0, vcc_lo, s6, v0
	v_add_co_ci_u32_e32 v1, vcc_lo, s7, v1, vcc_lo
	v_add_co_u32 v2, vcc_lo, v7, s10
	v_add_co_ci_u32_e32 v3, vcc_lo, s11, v8, vcc_lo
	global_store_b64 v[0:1], v[2:3], off
.LBB48_8:                               ;   in Loop: Header=BB48_9 Depth=1
	s_or_b32 exec_lo, exec_lo, s16
	v_add_co_u32 v15, vcc_lo, v15, s13
	v_add_co_ci_u32_e32 v16, vcc_lo, 0, v16, vcc_lo
	v_mov_b32_e32 v7, v17
	v_dual_mov_b32 v0, v4 :: v_dual_mov_b32 v1, v5
	s_delay_alu instid0(VALU_DEP_3) | instskip(NEXT) | instid1(VALU_DEP_3)
	v_cmp_le_i64_e32 vcc_lo, s[2:3], v[15:16]
	v_dual_mov_b32 v2, v6 :: v_dual_mov_b32 v3, v7
	s_add_i32 s15, s15, s14
	s_waitcnt_vscnt null, 0x0
	s_barrier
	s_or_b32 s1, vcc_lo, s1
	buffer_gl0_inv
	s_and_not1_b32 exec_lo, exec_lo, s1
	s_cbranch_execz .LBB48_30
.LBB48_9:                               ; =>This Inner Loop Header: Depth=1
	v_add_co_u32 v19, vcc_lo, v19, 1
	s_delay_alu instid0(VALU_DEP_1) | instskip(SKIP_2) | instid1(VALU_DEP_1)
	v_cndmask_b32_e64 v4, 0, 1, vcc_lo
	v_add_co_ci_u32_e32 v20, vcc_lo, 0, v20, vcc_lo
	s_mov_b32 s0, exec_lo
	v_cmp_eq_u32_e32 vcc_lo, 0, v20
	s_delay_alu instid0(VALU_DEP_3) | instskip(NEXT) | instid1(VALU_DEP_1)
	v_cndmask_b32_e32 v4, 0, v4, vcc_lo
	v_add_nc_u32_e32 v40, v4, v40
	s_delay_alu instid0(VALU_DEP_1) | instskip(SKIP_2) | instid1(VALU_DEP_2)
	v_cmp_eq_u32_e32 vcc_lo, 0, v40
	v_mad_u64_u32 v[6:7], null, 0xcd9e8d57, v40, 0
	v_cndmask_b32_e32 v4, 0, v4, vcc_lo
	v_xor3_b32 v9, v7, v11, v20
	s_delay_alu instid0(VALU_DEP_2) | instskip(SKIP_1) | instid1(VALU_DEP_3)
	v_add_nc_u32_e32 v43, v4, v43
	v_mad_u64_u32 v[4:5], null, 0xd2511f53, v19, 0
	v_mad_u64_u32 v[7:8], null, 0xd2511f53, v9, 0
	s_delay_alu instid0(VALU_DEP_2) | instskip(NEXT) | instid1(VALU_DEP_2)
	v_xor_b32_e32 v5, v5, v12
	v_xor3_b32 v8, v21, v8, v4
	s_delay_alu instid0(VALU_DEP_2) | instskip(NEXT) | instid1(VALU_DEP_1)
	v_xor_b32_e32 v5, v43, v5
	v_mad_u64_u32 v[9:10], null, 0xcd9e8d57, v5, 0
	s_delay_alu instid0(VALU_DEP_3) | instskip(NEXT) | instid1(VALU_DEP_2)
	v_mad_u64_u32 v[4:5], null, 0xcd9e8d57, v8, 0
	v_xor3_b32 v6, v22, v10, v6
	s_delay_alu instid0(VALU_DEP_2) | instskip(NEXT) | instid1(VALU_DEP_2)
	v_xor3_b32 v8, v23, v5, v9
	v_mad_u64_u32 v[17:18], null, 0xd2511f53, v6, 0
	s_delay_alu instid0(VALU_DEP_2) | instskip(NEXT) | instid1(VALU_DEP_2)
	v_mad_u64_u32 v[5:6], null, 0xd2511f53, v8, 0
	v_xor3_b32 v9, v24, v18, v7
	s_delay_alu instid0(VALU_DEP_2) | instskip(NEXT) | instid1(VALU_DEP_2)
	v_xor3_b32 v6, v25, v6, v17
	v_mad_u64_u32 v[7:8], null, 0xcd9e8d57, v9, 0
	s_delay_alu instid0(VALU_DEP_1) | instskip(NEXT) | instid1(VALU_DEP_3)
	v_xor3_b32 v4, v26, v8, v4
	v_mad_u64_u32 v[8:9], null, 0xcd9e8d57, v6, 0
	s_delay_alu instid0(VALU_DEP_2) | instskip(NEXT) | instid1(VALU_DEP_2)
	v_mad_u64_u32 v[17:18], null, 0xd2511f53, v4, 0
	v_xor3_b32 v6, v27, v9, v7
	s_delay_alu instid0(VALU_DEP_2) | instskip(NEXT) | instid1(VALU_DEP_2)
	v_xor3_b32 v9, v28, v18, v5
	v_mad_u64_u32 v[4:5], null, 0xd2511f53, v6, 0
	s_delay_alu instid0(VALU_DEP_2) | instskip(NEXT) | instid1(VALU_DEP_2)
	v_mad_u64_u32 v[6:7], null, 0xcd9e8d57, v9, 0
	v_xor3_b32 v5, v29, v5, v17
	s_delay_alu instid0(VALU_DEP_2) | instskip(NEXT) | instid1(VALU_DEP_2)
	v_xor3_b32 v14, v30, v7, v8
	v_mad_u64_u32 v[7:8], null, 0xcd9e8d57, v5, 0
	s_delay_alu instid0(VALU_DEP_2) | instskip(NEXT) | instid1(VALU_DEP_2)
	v_mad_u64_u32 v[9:10], null, 0xd2511f53, v14, 0
	v_xor3_b32 v6, v31, v8, v6
	s_delay_alu instid0(VALU_DEP_2) | instskip(NEXT) | instid1(VALU_DEP_2)
	v_xor3_b32 v8, v32, v10, v4
	v_mad_u64_u32 v[4:5], null, 0xd2511f53, v6, 0
	s_delay_alu instid0(VALU_DEP_2) | instskip(NEXT) | instid1(VALU_DEP_2)
	v_mad_u64_u32 v[17:18], null, 0xcd9e8d57, v8, 0
	v_xor3_b32 v5, v33, v5, v9
	s_delay_alu instid0(VALU_DEP_2) | instskip(NEXT) | instid1(VALU_DEP_2)
	v_xor3_b32 v6, v34, v18, v7
	v_mad_u64_u32 v[7:8], null, 0xcd9e8d57, v5, 0
	s_delay_alu instid0(VALU_DEP_2) | instskip(NEXT) | instid1(VALU_DEP_2)
	v_mad_u64_u32 v[9:10], null, 0xd2511f53, v6, 0
	v_xor3_b32 v5, v37, v8, v17
	s_delay_alu instid0(VALU_DEP_2) | instskip(NEXT) | instid1(VALU_DEP_2)
	v_xor3_b32 v4, v38, v10, v4
	v_mad_u64_u32 v[17:18], null, 0xd2511f53, v5, 0
	s_delay_alu instid0(VALU_DEP_2) | instskip(NEXT) | instid1(VALU_DEP_2)
	v_mad_u64_u32 v[5:6], null, 0xcd9e8d57, v4, 0
	v_xor3_b32 v10, v18, v9, v39
	s_delay_alu instid0(VALU_DEP_2) | instskip(NEXT) | instid1(VALU_DEP_2)
	v_xor3_b32 v4, v6, v7, v36
	v_mov_b32_e32 v6, v10
	v_cmpx_lt_i32_e32 1, v35
	s_xor_b32 s0, exec_lo, s0
	s_cbranch_execnz .LBB48_12
; %bb.10:                               ;   in Loop: Header=BB48_9 Depth=1
	s_and_not1_saveexec_b32 s0, s0
	s_cbranch_execnz .LBB48_17
.LBB48_11:                              ;   in Loop: Header=BB48_9 Depth=1
	s_or_b32 exec_lo, exec_lo, s0
	s_delay_alu instid0(SALU_CYCLE_1)
	s_mov_b32 s16, exec_lo
	v_cmpx_gt_i64_e64 s[4:5], v[15:16]
	s_cbranch_execnz .LBB48_20
	s_branch .LBB48_25
.LBB48_12:                              ;   in Loop: Header=BB48_9 Depth=1
	s_mov_b32 s16, exec_lo
	v_cmpx_lt_i32_e32 2, v35
	s_xor_b32 s16, exec_lo, s16
; %bb.13:                               ;   in Loop: Header=BB48_9 Depth=1
	v_dual_mov_b32 v7, v3 :: v_dual_mov_b32 v8, v4
	v_mov_b32_e32 v9, v5
	s_delay_alu instid0(VALU_DEP_2) | instskip(NEXT) | instid1(VALU_DEP_2)
	v_dual_mov_b32 v0, v7 :: v_dual_mov_b32 v1, v8
	v_dual_mov_b32 v2, v9 :: v_dual_mov_b32 v3, v10
; %bb.14:                               ;   in Loop: Header=BB48_9 Depth=1
	s_and_not1_saveexec_b32 s16, s16
; %bb.15:                               ;   in Loop: Header=BB48_9 Depth=1
	s_delay_alu instid0(VALU_DEP_1)
	v_dual_mov_b32 v0, v2 :: v_dual_mov_b32 v1, v3
	v_dual_mov_b32 v2, v4 :: v_dual_mov_b32 v3, v5
; %bb.16:                               ;   in Loop: Header=BB48_9 Depth=1
	s_or_b32 exec_lo, exec_lo, s16
	s_and_not1_saveexec_b32 s0, s0
	s_cbranch_execz .LBB48_11
.LBB48_17:                              ;   in Loop: Header=BB48_9 Depth=1
	s_mov_b32 s16, exec_lo
	v_cmpx_eq_u32_e32 1, v35
; %bb.18:                               ;   in Loop: Header=BB48_9 Depth=1
	v_dual_mov_b32 v0, v1 :: v_dual_mov_b32 v1, v2
	v_dual_mov_b32 v2, v3 :: v_dual_mov_b32 v3, v4
; %bb.19:                               ;   in Loop: Header=BB48_9 Depth=1
	s_or_b32 exec_lo, exec_lo, s16
	s_delay_alu instid0(SALU_CYCLE_1) | instskip(NEXT) | instid1(SALU_CYCLE_1)
	s_or_b32 exec_lo, exec_lo, s0
	s_mov_b32 s16, exec_lo
	v_cmpx_gt_i64_e64 s[4:5], v[15:16]
	s_cbranch_execz .LBB48_25
.LBB48_20:                              ;   in Loop: Header=BB48_9 Depth=1
	v_or_b32_e32 v14, s9, v0
                                        ; implicit-def: $vgpr7_vgpr8
	s_mov_b32 s0, exec_lo
	s_delay_alu instid0(VALU_DEP_1)
	v_cmpx_ne_u64_e32 0, v[13:14]
	s_xor_b32 s17, exec_lo, s0
	s_cbranch_execz .LBB48_22
; %bb.21:                               ;   in Loop: Header=BB48_9 Depth=1
	v_cvt_f32_u32_e32 v7, s8
	v_cvt_f32_u32_e32 v8, s9
	s_sub_u32 s0, 0, s8
	s_subb_u32 s18, 0, s9
	s_delay_alu instid0(VALU_DEP_1) | instskip(NEXT) | instid1(VALU_DEP_1)
	v_fmac_f32_e32 v7, 0x4f800000, v8
	v_rcp_f32_e32 v7, v7
	s_waitcnt_depctr 0xfff
	v_mul_f32_e32 v7, 0x5f7ffffc, v7
	s_delay_alu instid0(VALU_DEP_1) | instskip(NEXT) | instid1(VALU_DEP_1)
	v_mul_f32_e32 v8, 0x2f800000, v7
	v_trunc_f32_e32 v8, v8
	s_delay_alu instid0(VALU_DEP_1) | instskip(SKIP_1) | instid1(VALU_DEP_2)
	v_fmac_f32_e32 v7, 0xcf800000, v8
	v_cvt_u32_f32_e32 v8, v8
	v_cvt_u32_f32_e32 v7, v7
	s_delay_alu instid0(VALU_DEP_2) | instskip(NEXT) | instid1(VALU_DEP_2)
	v_mul_lo_u32 v9, s0, v8
	v_mul_hi_u32 v10, s0, v7
	v_mul_lo_u32 v14, s18, v7
	s_delay_alu instid0(VALU_DEP_2) | instskip(SKIP_1) | instid1(VALU_DEP_2)
	v_add_nc_u32_e32 v9, v10, v9
	v_mul_lo_u32 v10, s0, v7
	v_add_nc_u32_e32 v9, v9, v14
	s_delay_alu instid0(VALU_DEP_2) | instskip(NEXT) | instid1(VALU_DEP_2)
	v_mul_hi_u32 v14, v7, v10
	v_mul_lo_u32 v18, v7, v9
	v_mul_hi_u32 v44, v7, v9
	v_mul_hi_u32 v45, v8, v10
	v_mul_lo_u32 v10, v8, v10
	v_mul_hi_u32 v46, v8, v9
	v_mul_lo_u32 v9, v8, v9
	v_add_co_u32 v14, vcc_lo, v14, v18
	v_add_co_ci_u32_e32 v18, vcc_lo, 0, v44, vcc_lo
	s_delay_alu instid0(VALU_DEP_2) | instskip(NEXT) | instid1(VALU_DEP_2)
	v_add_co_u32 v10, vcc_lo, v14, v10
	v_add_co_ci_u32_e32 v10, vcc_lo, v18, v45, vcc_lo
	v_add_co_ci_u32_e32 v14, vcc_lo, 0, v46, vcc_lo
	s_delay_alu instid0(VALU_DEP_2) | instskip(NEXT) | instid1(VALU_DEP_2)
	v_add_co_u32 v9, vcc_lo, v10, v9
	v_add_co_ci_u32_e32 v10, vcc_lo, 0, v14, vcc_lo
	s_delay_alu instid0(VALU_DEP_2) | instskip(NEXT) | instid1(VALU_DEP_2)
	v_add_co_u32 v7, vcc_lo, v7, v9
	v_add_co_ci_u32_e32 v8, vcc_lo, v8, v10, vcc_lo
	s_delay_alu instid0(VALU_DEP_2) | instskip(SKIP_1) | instid1(VALU_DEP_3)
	v_mul_hi_u32 v9, s0, v7
	v_mul_lo_u32 v14, s18, v7
	v_mul_lo_u32 v10, s0, v8
	s_delay_alu instid0(VALU_DEP_1) | instskip(SKIP_1) | instid1(VALU_DEP_2)
	v_add_nc_u32_e32 v9, v9, v10
	v_mul_lo_u32 v10, s0, v7
	v_add_nc_u32_e32 v9, v9, v14
	s_delay_alu instid0(VALU_DEP_2) | instskip(NEXT) | instid1(VALU_DEP_2)
	v_mul_hi_u32 v14, v7, v10
	v_mul_lo_u32 v18, v7, v9
	v_mul_hi_u32 v44, v7, v9
	v_mul_hi_u32 v45, v8, v10
	v_mul_lo_u32 v10, v8, v10
	v_mul_hi_u32 v46, v8, v9
	v_mul_lo_u32 v9, v8, v9
	v_add_co_u32 v14, vcc_lo, v14, v18
	v_add_co_ci_u32_e32 v18, vcc_lo, 0, v44, vcc_lo
	s_delay_alu instid0(VALU_DEP_2) | instskip(NEXT) | instid1(VALU_DEP_2)
	v_add_co_u32 v10, vcc_lo, v14, v10
	v_add_co_ci_u32_e32 v10, vcc_lo, v18, v45, vcc_lo
	v_add_co_ci_u32_e32 v14, vcc_lo, 0, v46, vcc_lo
	s_delay_alu instid0(VALU_DEP_2) | instskip(NEXT) | instid1(VALU_DEP_2)
	v_add_co_u32 v9, vcc_lo, v10, v9
	v_add_co_ci_u32_e32 v10, vcc_lo, 0, v14, vcc_lo
	s_delay_alu instid0(VALU_DEP_2) | instskip(NEXT) | instid1(VALU_DEP_2)
	v_add_co_u32 v14, vcc_lo, v7, v9
	v_add_co_ci_u32_e32 v18, vcc_lo, v8, v10, vcc_lo
	s_delay_alu instid0(VALU_DEP_2) | instskip(SKIP_1) | instid1(VALU_DEP_3)
	v_mul_hi_u32 v46, v1, v14
	v_mad_u64_u32 v[9:10], null, v0, v14, 0
	v_mad_u64_u32 v[7:8], null, v1, v18, 0
	;; [unrolled: 1-line block ×3, first 2 shown]
	s_delay_alu instid0(VALU_DEP_2) | instskip(NEXT) | instid1(VALU_DEP_3)
	v_add_co_u32 v7, vcc_lo, v46, v7
	v_add_co_ci_u32_e32 v8, vcc_lo, 0, v8, vcc_lo
	s_delay_alu instid0(VALU_DEP_2) | instskip(NEXT) | instid1(VALU_DEP_2)
	v_add_co_u32 v7, vcc_lo, v7, v9
	v_add_co_ci_u32_e32 v7, vcc_lo, v8, v10, vcc_lo
	v_add_co_ci_u32_e32 v8, vcc_lo, 0, v45, vcc_lo
	s_delay_alu instid0(VALU_DEP_2) | instskip(NEXT) | instid1(VALU_DEP_2)
	v_add_co_u32 v9, vcc_lo, v7, v44
	v_add_co_ci_u32_e32 v10, vcc_lo, 0, v8, vcc_lo
	s_delay_alu instid0(VALU_DEP_2) | instskip(SKIP_1) | instid1(VALU_DEP_3)
	v_mul_lo_u32 v14, s9, v9
	v_mad_u64_u32 v[7:8], null, s8, v9, 0
	v_mul_lo_u32 v9, s8, v10
	s_delay_alu instid0(VALU_DEP_2) | instskip(NEXT) | instid1(VALU_DEP_2)
	v_sub_co_u32 v7, vcc_lo, v1, v7
	v_add3_u32 v8, v8, v9, v14
	s_delay_alu instid0(VALU_DEP_1) | instskip(NEXT) | instid1(VALU_DEP_1)
	v_sub_nc_u32_e32 v9, v0, v8
	v_subrev_co_ci_u32_e64 v9, s0, s9, v9, vcc_lo
	v_sub_co_ci_u32_e32 v0, vcc_lo, v0, v8, vcc_lo
	v_sub_co_u32 v8, vcc_lo, v7, s8
	s_delay_alu instid0(VALU_DEP_1) | instskip(SKIP_3) | instid1(VALU_DEP_3)
	v_subrev_co_ci_u32_e64 v10, s0, 0, v9, vcc_lo
	v_cmp_le_u32_e64 s0, s8, v7
	v_subrev_co_ci_u32_e32 v9, vcc_lo, s9, v9, vcc_lo
	v_cmp_le_u32_e32 vcc_lo, s9, v0
	v_cndmask_b32_e64 v14, 0, -1, s0
	v_cmp_le_u32_e64 s0, s8, v8
	v_cndmask_b32_e64 v45, 0, -1, vcc_lo
	v_cmp_eq_u32_e32 vcc_lo, s9, v10
	s_delay_alu instid0(VALU_DEP_3) | instskip(SKIP_1) | instid1(VALU_DEP_1)
	v_cndmask_b32_e64 v18, 0, -1, s0
	v_cmp_le_u32_e64 s0, s9, v10
	v_cndmask_b32_e64 v44, 0, -1, s0
	v_cmp_eq_u32_e64 s0, s9, v0
	s_delay_alu instid0(VALU_DEP_2) | instskip(SKIP_2) | instid1(VALU_DEP_3)
	v_cndmask_b32_e32 v18, v44, v18, vcc_lo
	v_sub_co_u32 v44, vcc_lo, v8, s8
	v_subrev_co_ci_u32_e32 v9, vcc_lo, 0, v9, vcc_lo
	v_cmp_ne_u32_e32 vcc_lo, 0, v18
	v_cndmask_b32_e64 v14, v45, v14, s0
	s_delay_alu instid0(VALU_DEP_3) | instskip(NEXT) | instid1(VALU_DEP_2)
	v_dual_cndmask_b32 v9, v10, v9 :: v_dual_cndmask_b32 v10, v8, v44
	v_cmp_ne_u32_e32 vcc_lo, 0, v14
	s_delay_alu instid0(VALU_DEP_2)
	v_dual_cndmask_b32 v8, v0, v9 :: v_dual_cndmask_b32 v7, v7, v10
.LBB48_22:                              ;   in Loop: Header=BB48_9 Depth=1
	s_and_not1_saveexec_b32 s0, s17
	s_cbranch_execz .LBB48_24
; %bb.23:                               ;   in Loop: Header=BB48_9 Depth=1
	v_cvt_f32_u32_e32 v0, s8
	s_sub_i32 s17, 0, s8
	v_mov_b32_e32 v8, v13
	s_delay_alu instid0(VALU_DEP_2) | instskip(SKIP_2) | instid1(VALU_DEP_1)
	v_rcp_iflag_f32_e32 v0, v0
	s_waitcnt_depctr 0xfff
	v_mul_f32_e32 v0, 0x4f7ffffe, v0
	v_cvt_u32_f32_e32 v0, v0
	s_delay_alu instid0(VALU_DEP_1) | instskip(NEXT) | instid1(VALU_DEP_1)
	v_mul_lo_u32 v7, s17, v0
	v_mul_hi_u32 v7, v0, v7
	s_delay_alu instid0(VALU_DEP_1) | instskip(NEXT) | instid1(VALU_DEP_1)
	v_add_nc_u32_e32 v0, v0, v7
	v_mul_hi_u32 v0, v1, v0
	s_delay_alu instid0(VALU_DEP_1) | instskip(NEXT) | instid1(VALU_DEP_1)
	v_mul_lo_u32 v0, v0, s8
	v_sub_nc_u32_e32 v0, v1, v0
	s_delay_alu instid0(VALU_DEP_1) | instskip(SKIP_1) | instid1(VALU_DEP_2)
	v_subrev_nc_u32_e32 v1, s8, v0
	v_cmp_le_u32_e32 vcc_lo, s8, v0
	v_cndmask_b32_e32 v0, v0, v1, vcc_lo
	s_delay_alu instid0(VALU_DEP_1) | instskip(SKIP_1) | instid1(VALU_DEP_2)
	v_subrev_nc_u32_e32 v1, s8, v0
	v_cmp_le_u32_e32 vcc_lo, s8, v0
	v_cndmask_b32_e32 v7, v0, v1, vcc_lo
.LBB48_24:                              ;   in Loop: Header=BB48_9 Depth=1
	s_or_b32 exec_lo, exec_lo, s0
	v_add_nc_u32_e32 v0, s15, v41
	s_delay_alu instid0(VALU_DEP_1) | instskip(SKIP_1) | instid1(VALU_DEP_2)
	v_ashrrev_i32_e32 v1, 31, v0
	v_add_co_u32 v0, vcc_lo, s6, v0
	v_add_co_ci_u32_e32 v1, vcc_lo, s7, v1, vcc_lo
	v_add_co_u32 v7, vcc_lo, v7, s10
	v_add_co_ci_u32_e32 v8, vcc_lo, s11, v8, vcc_lo
	global_store_b64 v[0:1], v[7:8], off
.LBB48_25:                              ;   in Loop: Header=BB48_9 Depth=1
	s_or_b32 exec_lo, exec_lo, s16
	v_add_co_u32 v0, vcc_lo, s12, v15
	v_add_co_ci_u32_e32 v1, vcc_lo, 0, v16, vcc_lo
	s_mov_b32 s16, exec_lo
	s_delay_alu instid0(VALU_DEP_1)
	v_cmpx_gt_i64_e64 s[4:5], v[0:1]
	s_cbranch_execz .LBB48_8
; %bb.26:                               ;   in Loop: Header=BB48_9 Depth=1
	v_or_b32_e32 v14, s9, v2
                                        ; implicit-def: $vgpr7_vgpr8
	s_mov_b32 s0, exec_lo
	s_delay_alu instid0(VALU_DEP_1)
	v_cmpx_ne_u64_e32 0, v[13:14]
	s_xor_b32 s17, exec_lo, s0
	s_cbranch_execz .LBB48_28
; %bb.27:                               ;   in Loop: Header=BB48_9 Depth=1
	v_cvt_f32_u32_e32 v0, s8
	v_cvt_f32_u32_e32 v1, s9
	s_sub_u32 s0, 0, s8
	s_subb_u32 s18, 0, s9
	s_delay_alu instid0(VALU_DEP_1) | instskip(NEXT) | instid1(VALU_DEP_1)
	v_fmac_f32_e32 v0, 0x4f800000, v1
	v_rcp_f32_e32 v0, v0
	s_waitcnt_depctr 0xfff
	v_mul_f32_e32 v0, 0x5f7ffffc, v0
	s_delay_alu instid0(VALU_DEP_1) | instskip(NEXT) | instid1(VALU_DEP_1)
	v_mul_f32_e32 v1, 0x2f800000, v0
	v_trunc_f32_e32 v1, v1
	s_delay_alu instid0(VALU_DEP_1) | instskip(SKIP_1) | instid1(VALU_DEP_2)
	v_fmac_f32_e32 v0, 0xcf800000, v1
	v_cvt_u32_f32_e32 v1, v1
	v_cvt_u32_f32_e32 v0, v0
	s_delay_alu instid0(VALU_DEP_2) | instskip(NEXT) | instid1(VALU_DEP_2)
	v_mul_lo_u32 v7, s0, v1
	v_mul_hi_u32 v8, s0, v0
	v_mul_lo_u32 v9, s18, v0
	s_delay_alu instid0(VALU_DEP_2) | instskip(SKIP_1) | instid1(VALU_DEP_2)
	v_add_nc_u32_e32 v7, v8, v7
	v_mul_lo_u32 v8, s0, v0
	v_add_nc_u32_e32 v7, v7, v9
	s_delay_alu instid0(VALU_DEP_2) | instskip(NEXT) | instid1(VALU_DEP_2)
	v_mul_hi_u32 v9, v0, v8
	v_mul_lo_u32 v10, v0, v7
	v_mul_hi_u32 v14, v0, v7
	v_mul_hi_u32 v18, v1, v8
	v_mul_lo_u32 v8, v1, v8
	v_mul_hi_u32 v44, v1, v7
	v_mul_lo_u32 v7, v1, v7
	v_add_co_u32 v9, vcc_lo, v9, v10
	v_add_co_ci_u32_e32 v10, vcc_lo, 0, v14, vcc_lo
	s_delay_alu instid0(VALU_DEP_2) | instskip(NEXT) | instid1(VALU_DEP_2)
	v_add_co_u32 v8, vcc_lo, v9, v8
	v_add_co_ci_u32_e32 v8, vcc_lo, v10, v18, vcc_lo
	v_add_co_ci_u32_e32 v9, vcc_lo, 0, v44, vcc_lo
	s_delay_alu instid0(VALU_DEP_2) | instskip(NEXT) | instid1(VALU_DEP_2)
	v_add_co_u32 v7, vcc_lo, v8, v7
	v_add_co_ci_u32_e32 v8, vcc_lo, 0, v9, vcc_lo
	s_delay_alu instid0(VALU_DEP_2) | instskip(NEXT) | instid1(VALU_DEP_2)
	v_add_co_u32 v0, vcc_lo, v0, v7
	v_add_co_ci_u32_e32 v1, vcc_lo, v1, v8, vcc_lo
	s_delay_alu instid0(VALU_DEP_2) | instskip(SKIP_1) | instid1(VALU_DEP_3)
	v_mul_hi_u32 v7, s0, v0
	v_mul_lo_u32 v9, s18, v0
	v_mul_lo_u32 v8, s0, v1
	s_delay_alu instid0(VALU_DEP_1) | instskip(SKIP_1) | instid1(VALU_DEP_2)
	v_add_nc_u32_e32 v7, v7, v8
	v_mul_lo_u32 v8, s0, v0
	v_add_nc_u32_e32 v7, v7, v9
	s_delay_alu instid0(VALU_DEP_2) | instskip(NEXT) | instid1(VALU_DEP_2)
	v_mul_hi_u32 v9, v0, v8
	v_mul_lo_u32 v10, v0, v7
	v_mul_hi_u32 v14, v0, v7
	v_mul_hi_u32 v18, v1, v8
	v_mul_lo_u32 v8, v1, v8
	v_mul_hi_u32 v44, v1, v7
	v_mul_lo_u32 v7, v1, v7
	v_add_co_u32 v9, vcc_lo, v9, v10
	v_add_co_ci_u32_e32 v10, vcc_lo, 0, v14, vcc_lo
	s_delay_alu instid0(VALU_DEP_2) | instskip(NEXT) | instid1(VALU_DEP_2)
	v_add_co_u32 v8, vcc_lo, v9, v8
	v_add_co_ci_u32_e32 v8, vcc_lo, v10, v18, vcc_lo
	v_add_co_ci_u32_e32 v9, vcc_lo, 0, v44, vcc_lo
	s_delay_alu instid0(VALU_DEP_2) | instskip(NEXT) | instid1(VALU_DEP_2)
	v_add_co_u32 v7, vcc_lo, v8, v7
	v_add_co_ci_u32_e32 v8, vcc_lo, 0, v9, vcc_lo
	s_delay_alu instid0(VALU_DEP_2) | instskip(NEXT) | instid1(VALU_DEP_2)
	v_add_co_u32 v9, vcc_lo, v0, v7
	v_add_co_ci_u32_e32 v14, vcc_lo, v1, v8, vcc_lo
	s_delay_alu instid0(VALU_DEP_2) | instskip(SKIP_1) | instid1(VALU_DEP_3)
	v_mul_hi_u32 v18, v3, v9
	v_mad_u64_u32 v[7:8], null, v2, v9, 0
	v_mad_u64_u32 v[0:1], null, v3, v14, 0
	;; [unrolled: 1-line block ×3, first 2 shown]
	s_delay_alu instid0(VALU_DEP_2) | instskip(NEXT) | instid1(VALU_DEP_3)
	v_add_co_u32 v0, vcc_lo, v18, v0
	v_add_co_ci_u32_e32 v1, vcc_lo, 0, v1, vcc_lo
	s_delay_alu instid0(VALU_DEP_2) | instskip(NEXT) | instid1(VALU_DEP_2)
	v_add_co_u32 v0, vcc_lo, v0, v7
	v_add_co_ci_u32_e32 v0, vcc_lo, v1, v8, vcc_lo
	v_add_co_ci_u32_e32 v1, vcc_lo, 0, v10, vcc_lo
	s_delay_alu instid0(VALU_DEP_2) | instskip(NEXT) | instid1(VALU_DEP_2)
	v_add_co_u32 v7, vcc_lo, v0, v9
	v_add_co_ci_u32_e32 v8, vcc_lo, 0, v1, vcc_lo
	s_delay_alu instid0(VALU_DEP_2) | instskip(SKIP_1) | instid1(VALU_DEP_3)
	v_mul_lo_u32 v9, s9, v7
	v_mad_u64_u32 v[0:1], null, s8, v7, 0
	v_mul_lo_u32 v7, s8, v8
	s_delay_alu instid0(VALU_DEP_2) | instskip(NEXT) | instid1(VALU_DEP_2)
	v_sub_co_u32 v0, vcc_lo, v3, v0
	v_add3_u32 v1, v1, v7, v9
	s_delay_alu instid0(VALU_DEP_1) | instskip(NEXT) | instid1(VALU_DEP_1)
	v_sub_nc_u32_e32 v7, v2, v1
	v_subrev_co_ci_u32_e64 v3, s0, s9, v7, vcc_lo
	v_sub_co_ci_u32_e32 v1, vcc_lo, v2, v1, vcc_lo
	v_sub_co_u32 v2, vcc_lo, v0, s8
	s_delay_alu instid0(VALU_DEP_1) | instskip(SKIP_3) | instid1(VALU_DEP_3)
	v_subrev_co_ci_u32_e64 v7, s0, 0, v3, vcc_lo
	v_cmp_le_u32_e64 s0, s8, v0
	v_subrev_co_ci_u32_e32 v3, vcc_lo, s9, v3, vcc_lo
	v_cmp_le_u32_e32 vcc_lo, s9, v1
	v_cndmask_b32_e64 v8, 0, -1, s0
	v_cmp_le_u32_e64 s0, s8, v2
	v_cndmask_b32_e64 v14, 0, -1, vcc_lo
	v_cmp_eq_u32_e32 vcc_lo, s9, v7
	s_delay_alu instid0(VALU_DEP_3) | instskip(SKIP_1) | instid1(VALU_DEP_1)
	v_cndmask_b32_e64 v9, 0, -1, s0
	v_cmp_le_u32_e64 s0, s9, v7
	v_cndmask_b32_e64 v10, 0, -1, s0
	v_cmp_eq_u32_e64 s0, s9, v1
	s_delay_alu instid0(VALU_DEP_2) | instskip(SKIP_2) | instid1(VALU_DEP_3)
	v_cndmask_b32_e32 v9, v10, v9, vcc_lo
	v_sub_co_u32 v10, vcc_lo, v2, s8
	v_subrev_co_ci_u32_e32 v3, vcc_lo, 0, v3, vcc_lo
	v_cmp_ne_u32_e32 vcc_lo, 0, v9
	v_cndmask_b32_e64 v8, v14, v8, s0
	s_delay_alu instid0(VALU_DEP_3) | instskip(NEXT) | instid1(VALU_DEP_2)
	v_dual_cndmask_b32 v3, v7, v3 :: v_dual_cndmask_b32 v2, v2, v10
	v_cmp_ne_u32_e32 vcc_lo, 0, v8
	s_delay_alu instid0(VALU_DEP_2)
	v_dual_cndmask_b32 v8, v1, v3 :: v_dual_cndmask_b32 v7, v0, v2
                                        ; implicit-def: $vgpr0_vgpr1_vgpr2_vgpr3
.LBB48_28:                              ;   in Loop: Header=BB48_9 Depth=1
	s_and_not1_saveexec_b32 s0, s17
	s_cbranch_execz .LBB48_7
; %bb.29:                               ;   in Loop: Header=BB48_9 Depth=1
	v_cvt_f32_u32_e32 v0, s8
	s_sub_i32 s17, 0, s8
	v_mov_b32_e32 v8, v13
	s_delay_alu instid0(VALU_DEP_2) | instskip(SKIP_2) | instid1(VALU_DEP_1)
	v_rcp_iflag_f32_e32 v0, v0
	s_waitcnt_depctr 0xfff
	v_mul_f32_e32 v0, 0x4f7ffffe, v0
	v_cvt_u32_f32_e32 v0, v0
	s_delay_alu instid0(VALU_DEP_1) | instskip(NEXT) | instid1(VALU_DEP_1)
	v_mul_lo_u32 v1, s17, v0
	v_mul_hi_u32 v1, v0, v1
	s_delay_alu instid0(VALU_DEP_1) | instskip(NEXT) | instid1(VALU_DEP_1)
	v_add_nc_u32_e32 v0, v0, v1
	v_mul_hi_u32 v0, v3, v0
	s_delay_alu instid0(VALU_DEP_1) | instskip(NEXT) | instid1(VALU_DEP_1)
	v_mul_lo_u32 v0, v0, s8
	v_sub_nc_u32_e32 v0, v3, v0
	s_delay_alu instid0(VALU_DEP_1) | instskip(SKIP_1) | instid1(VALU_DEP_2)
	v_subrev_nc_u32_e32 v1, s8, v0
	v_cmp_le_u32_e32 vcc_lo, s8, v0
	v_cndmask_b32_e32 v0, v0, v1, vcc_lo
	s_delay_alu instid0(VALU_DEP_1) | instskip(SKIP_1) | instid1(VALU_DEP_2)
	v_subrev_nc_u32_e32 v1, s8, v0
	v_cmp_le_u32_e32 vcc_lo, s8, v0
	v_cndmask_b32_e32 v7, v0, v1, vcc_lo
	s_branch .LBB48_7
.LBB48_30:
	s_endpgm
.LBB48_31:
                                        ; implicit-def: $sgpr2_sgpr3
	s_branch .LBB48_4
	.section	.rodata,"a",@progbits
	.p2align	6, 0x0
	.amdhsa_kernel _ZN2at6native12_GLOBAL__N_143distribution_elementwise_grid_stride_kernelImLi2EZZZNS0_9templates4cuda21random_from_to_kernelIPNS_17CUDAGeneratorImplEEEvRNS_18TensorIteratorBaseEmlT_ENKUlvE_clEvENKUlvE11_clEvEUlP25hiprandStatePhilox4_32_10E_ZNS1_27distribution_nullary_kernelImm15HIP_vector_typeIyLj2EES7_SF_ZZZNS5_IS7_EEvS9_mlSA_ENKSB_clEvENKSC_clEvEUlmE_EEvS9_T2_RKT3_T4_EUlimE_EEvlNS_15PhiloxCudaStateET1_SK_
		.amdhsa_group_segment_fixed_size 0
		.amdhsa_private_segment_fixed_size 0
		.amdhsa_kernarg_size 336
		.amdhsa_user_sgpr_count 15
		.amdhsa_user_sgpr_dispatch_ptr 0
		.amdhsa_user_sgpr_queue_ptr 0
		.amdhsa_user_sgpr_kernarg_segment_ptr 1
		.amdhsa_user_sgpr_dispatch_id 0
		.amdhsa_user_sgpr_private_segment_size 0
		.amdhsa_wavefront_size32 1
		.amdhsa_uses_dynamic_stack 0
		.amdhsa_enable_private_segment 0
		.amdhsa_system_sgpr_workgroup_id_x 1
		.amdhsa_system_sgpr_workgroup_id_y 0
		.amdhsa_system_sgpr_workgroup_id_z 0
		.amdhsa_system_sgpr_workgroup_info 0
		.amdhsa_system_vgpr_workitem_id 0
		.amdhsa_next_free_vgpr 47
		.amdhsa_next_free_sgpr 23
		.amdhsa_reserve_vcc 1
		.amdhsa_float_round_mode_32 0
		.amdhsa_float_round_mode_16_64 0
		.amdhsa_float_denorm_mode_32 3
		.amdhsa_float_denorm_mode_16_64 3
		.amdhsa_dx10_clamp 1
		.amdhsa_ieee_mode 1
		.amdhsa_fp16_overflow 0
		.amdhsa_workgroup_processor_mode 1
		.amdhsa_memory_ordered 1
		.amdhsa_forward_progress 0
		.amdhsa_shared_vgpr_count 0
		.amdhsa_exception_fp_ieee_invalid_op 0
		.amdhsa_exception_fp_denorm_src 0
		.amdhsa_exception_fp_ieee_div_zero 0
		.amdhsa_exception_fp_ieee_overflow 0
		.amdhsa_exception_fp_ieee_underflow 0
		.amdhsa_exception_fp_ieee_inexact 0
		.amdhsa_exception_int_div_zero 0
	.end_amdhsa_kernel
	.section	.text._ZN2at6native12_GLOBAL__N_143distribution_elementwise_grid_stride_kernelImLi2EZZZNS0_9templates4cuda21random_from_to_kernelIPNS_17CUDAGeneratorImplEEEvRNS_18TensorIteratorBaseEmlT_ENKUlvE_clEvENKUlvE11_clEvEUlP25hiprandStatePhilox4_32_10E_ZNS1_27distribution_nullary_kernelImm15HIP_vector_typeIyLj2EES7_SF_ZZZNS5_IS7_EEvS9_mlSA_ENKSB_clEvENKSC_clEvEUlmE_EEvS9_T2_RKT3_T4_EUlimE_EEvlNS_15PhiloxCudaStateET1_SK_,"axG",@progbits,_ZN2at6native12_GLOBAL__N_143distribution_elementwise_grid_stride_kernelImLi2EZZZNS0_9templates4cuda21random_from_to_kernelIPNS_17CUDAGeneratorImplEEEvRNS_18TensorIteratorBaseEmlT_ENKUlvE_clEvENKUlvE11_clEvEUlP25hiprandStatePhilox4_32_10E_ZNS1_27distribution_nullary_kernelImm15HIP_vector_typeIyLj2EES7_SF_ZZZNS5_IS7_EEvS9_mlSA_ENKSB_clEvENKSC_clEvEUlmE_EEvS9_T2_RKT3_T4_EUlimE_EEvlNS_15PhiloxCudaStateET1_SK_,comdat
.Lfunc_end48:
	.size	_ZN2at6native12_GLOBAL__N_143distribution_elementwise_grid_stride_kernelImLi2EZZZNS0_9templates4cuda21random_from_to_kernelIPNS_17CUDAGeneratorImplEEEvRNS_18TensorIteratorBaseEmlT_ENKUlvE_clEvENKUlvE11_clEvEUlP25hiprandStatePhilox4_32_10E_ZNS1_27distribution_nullary_kernelImm15HIP_vector_typeIyLj2EES7_SF_ZZZNS5_IS7_EEvS9_mlSA_ENKSB_clEvENKSC_clEvEUlmE_EEvS9_T2_RKT3_T4_EUlimE_EEvlNS_15PhiloxCudaStateET1_SK_, .Lfunc_end48-_ZN2at6native12_GLOBAL__N_143distribution_elementwise_grid_stride_kernelImLi2EZZZNS0_9templates4cuda21random_from_to_kernelIPNS_17CUDAGeneratorImplEEEvRNS_18TensorIteratorBaseEmlT_ENKUlvE_clEvENKUlvE11_clEvEUlP25hiprandStatePhilox4_32_10E_ZNS1_27distribution_nullary_kernelImm15HIP_vector_typeIyLj2EES7_SF_ZZZNS5_IS7_EEvS9_mlSA_ENKSB_clEvENKSC_clEvEUlmE_EEvS9_T2_RKT3_T4_EUlimE_EEvlNS_15PhiloxCudaStateET1_SK_
                                        ; -- End function
	.section	.AMDGPU.csdata,"",@progbits
; Kernel info:
; codeLenInByte = 4440
; NumSgprs: 25
; NumVgprs: 47
; ScratchSize: 0
; MemoryBound: 0
; FloatMode: 240
; IeeeMode: 1
; LDSByteSize: 0 bytes/workgroup (compile time only)
; SGPRBlocks: 3
; VGPRBlocks: 5
; NumSGPRsForWavesPerEU: 25
; NumVGPRsForWavesPerEU: 47
; Occupancy: 16
; WaveLimiterHint : 0
; COMPUTE_PGM_RSRC2:SCRATCH_EN: 0
; COMPUTE_PGM_RSRC2:USER_SGPR: 15
; COMPUTE_PGM_RSRC2:TRAP_HANDLER: 0
; COMPUTE_PGM_RSRC2:TGID_X_EN: 1
; COMPUTE_PGM_RSRC2:TGID_Y_EN: 0
; COMPUTE_PGM_RSRC2:TGID_Z_EN: 0
; COMPUTE_PGM_RSRC2:TIDIG_COMP_CNT: 0
	.section	.text._ZN2at6native12_GLOBAL__N_143distribution_elementwise_grid_stride_kernelImLi2EZZZNS0_9templates4cuda21random_from_to_kernelIPNS_17CUDAGeneratorImplEEEvRNS_18TensorIteratorBaseEmlT_ENKUlvE_clEvENKUlvE11_clEvEUlP25hiprandStatePhilox4_32_10E_ZNS1_27distribution_nullary_kernelImm15HIP_vector_typeIyLj2EES7_SF_ZZZNS5_IS7_EEvS9_mlSA_ENKSB_clEvENKSC_clEvEUlmE_EEvS9_T2_RKT3_T4_EUlimE0_EEvlNS_15PhiloxCudaStateET1_SK_,"axG",@progbits,_ZN2at6native12_GLOBAL__N_143distribution_elementwise_grid_stride_kernelImLi2EZZZNS0_9templates4cuda21random_from_to_kernelIPNS_17CUDAGeneratorImplEEEvRNS_18TensorIteratorBaseEmlT_ENKUlvE_clEvENKUlvE11_clEvEUlP25hiprandStatePhilox4_32_10E_ZNS1_27distribution_nullary_kernelImm15HIP_vector_typeIyLj2EES7_SF_ZZZNS5_IS7_EEvS9_mlSA_ENKSB_clEvENKSC_clEvEUlmE_EEvS9_T2_RKT3_T4_EUlimE0_EEvlNS_15PhiloxCudaStateET1_SK_,comdat
	.globl	_ZN2at6native12_GLOBAL__N_143distribution_elementwise_grid_stride_kernelImLi2EZZZNS0_9templates4cuda21random_from_to_kernelIPNS_17CUDAGeneratorImplEEEvRNS_18TensorIteratorBaseEmlT_ENKUlvE_clEvENKUlvE11_clEvEUlP25hiprandStatePhilox4_32_10E_ZNS1_27distribution_nullary_kernelImm15HIP_vector_typeIyLj2EES7_SF_ZZZNS5_IS7_EEvS9_mlSA_ENKSB_clEvENKSC_clEvEUlmE_EEvS9_T2_RKT3_T4_EUlimE0_EEvlNS_15PhiloxCudaStateET1_SK_ ; -- Begin function _ZN2at6native12_GLOBAL__N_143distribution_elementwise_grid_stride_kernelImLi2EZZZNS0_9templates4cuda21random_from_to_kernelIPNS_17CUDAGeneratorImplEEEvRNS_18TensorIteratorBaseEmlT_ENKUlvE_clEvENKUlvE11_clEvEUlP25hiprandStatePhilox4_32_10E_ZNS1_27distribution_nullary_kernelImm15HIP_vector_typeIyLj2EES7_SF_ZZZNS5_IS7_EEvS9_mlSA_ENKSB_clEvENKSC_clEvEUlmE_EEvS9_T2_RKT3_T4_EUlimE0_EEvlNS_15PhiloxCudaStateET1_SK_
	.p2align	8
	.type	_ZN2at6native12_GLOBAL__N_143distribution_elementwise_grid_stride_kernelImLi2EZZZNS0_9templates4cuda21random_from_to_kernelIPNS_17CUDAGeneratorImplEEEvRNS_18TensorIteratorBaseEmlT_ENKUlvE_clEvENKUlvE11_clEvEUlP25hiprandStatePhilox4_32_10E_ZNS1_27distribution_nullary_kernelImm15HIP_vector_typeIyLj2EES7_SF_ZZZNS5_IS7_EEvS9_mlSA_ENKSB_clEvENKSC_clEvEUlmE_EEvS9_T2_RKT3_T4_EUlimE0_EEvlNS_15PhiloxCudaStateET1_SK_,@function
_ZN2at6native12_GLOBAL__N_143distribution_elementwise_grid_stride_kernelImLi2EZZZNS0_9templates4cuda21random_from_to_kernelIPNS_17CUDAGeneratorImplEEEvRNS_18TensorIteratorBaseEmlT_ENKUlvE_clEvENKUlvE11_clEvEUlP25hiprandStatePhilox4_32_10E_ZNS1_27distribution_nullary_kernelImm15HIP_vector_typeIyLj2EES7_SF_ZZZNS5_IS7_EEvS9_mlSA_ENKSB_clEvENKSC_clEvEUlmE_EEvS9_T2_RKT3_T4_EUlimE0_EEvlNS_15PhiloxCudaStateET1_SK_: ; @_ZN2at6native12_GLOBAL__N_143distribution_elementwise_grid_stride_kernelImLi2EZZZNS0_9templates4cuda21random_from_to_kernelIPNS_17CUDAGeneratorImplEEEvRNS_18TensorIteratorBaseEmlT_ENKUlvE_clEvENKUlvE11_clEvEUlP25hiprandStatePhilox4_32_10E_ZNS1_27distribution_nullary_kernelImm15HIP_vector_typeIyLj2EES7_SF_ZZZNS5_IS7_EEvS9_mlSA_ENKSB_clEvENKSC_clEvEUlmE_EEvS9_T2_RKT3_T4_EUlimE0_EEvlNS_15PhiloxCudaStateET1_SK_
; %bb.0:
	s_clause 0x2
	s_load_b64 s[4:5], s[0:1], 0x10
	s_load_b128 s[16:19], s[0:1], 0x0
	s_load_b32 s2, s[0:1], 0x20
	s_waitcnt lgkmcnt(0)
	v_dual_mov_b32 v2, s4 :: v_dual_mov_b32 v3, s5
	v_dual_mov_b32 v11, s18 :: v_dual_mov_b32 v12, s19
	s_bitcmp0_b32 s2, 0
	s_mov_b32 s2, 0
	s_cbranch_scc1 .LBB49_2
; %bb.1:
	v_dual_mov_b32 v1, s4 :: v_dual_mov_b32 v2, s5
	v_dual_mov_b32 v4, s18 :: v_dual_mov_b32 v5, s19
	s_load_b64 s[4:5], s[0:1], 0x18
	flat_load_b64 v[2:3], v[1:2]
	flat_load_b64 v[11:12], v[4:5]
	s_waitcnt vmcnt(1) lgkmcnt(0)
	v_add_co_u32 v2, vcc_lo, v2, s4
	v_add_co_ci_u32_e32 v3, vcc_lo, s5, v3, vcc_lo
.LBB49_2:
	s_clause 0x1
	s_load_b32 s3, s[0:1], 0x15c
	s_load_b32 s5, s[0:1], 0x150
	s_waitcnt lgkmcnt(0)
	s_and_b32 s4, s3, 0xffff
	s_add_u32 s6, s16, -1
	s_mul_i32 s28, s5, s4
	s_addc_u32 s3, s17, -1
	s_lshl_b32 s29, s28, 1
	s_cmp_lg_u64 s[2:3], 0
	s_cbranch_scc0 .LBB49_57
; %bb.3:
	v_cvt_f32_ubyte0_e32 v1, 0
	v_cvt_f32_u32_e32 v4, s29
	s_sub_u32 s8, 0, s29
	s_subb_u32 s9, 0, 0
	s_delay_alu instid0(VALU_DEP_1) | instskip(NEXT) | instid1(VALU_DEP_1)
	v_fmamk_f32 v1, v1, 0x4f800000, v4
	v_rcp_f32_e32 v1, v1
	s_waitcnt_depctr 0xfff
	v_mul_f32_e32 v1, 0x5f7ffffc, v1
	s_delay_alu instid0(VALU_DEP_1) | instskip(NEXT) | instid1(VALU_DEP_1)
	v_mul_f32_e32 v4, 0x2f800000, v1
	v_trunc_f32_e32 v4, v4
	s_delay_alu instid0(VALU_DEP_1) | instskip(SKIP_1) | instid1(VALU_DEP_2)
	v_fmamk_f32 v1, v4, 0xcf800000, v1
	v_cvt_u32_f32_e32 v4, v4
	v_cvt_u32_f32_e32 v1, v1
	s_delay_alu instid0(VALU_DEP_2) | instskip(NEXT) | instid1(VALU_DEP_2)
	v_readfirstlane_b32 s2, v4
	v_readfirstlane_b32 s7, v1
	s_delay_alu instid0(VALU_DEP_2) | instskip(NEXT) | instid1(VALU_DEP_1)
	s_mul_i32 s10, s8, s2
	s_mul_hi_u32 s12, s8, s7
	s_mul_i32 s11, s9, s7
	s_add_i32 s10, s12, s10
	s_mul_i32 s13, s8, s7
	s_add_i32 s10, s10, s11
	s_mul_hi_u32 s12, s7, s13
	s_mul_hi_u32 s14, s2, s13
	s_mul_i32 s11, s2, s13
	s_mul_hi_u32 s13, s7, s10
	s_mul_i32 s7, s7, s10
	s_mul_hi_u32 s18, s2, s10
	s_add_u32 s7, s12, s7
	s_addc_u32 s12, 0, s13
	s_add_u32 s7, s7, s11
	s_mul_i32 s10, s2, s10
	s_addc_u32 s7, s12, s14
	s_addc_u32 s11, s18, 0
	s_add_u32 s7, s7, s10
	s_addc_u32 s10, 0, s11
	v_add_co_u32 v1, s7, v1, s7
	s_delay_alu instid0(VALU_DEP_1) | instskip(SKIP_1) | instid1(VALU_DEP_1)
	s_cmp_lg_u32 s7, 0
	s_addc_u32 s2, s2, s10
	v_readfirstlane_b32 s7, v1
	s_mul_i32 s10, s8, s2
	s_delay_alu instid0(VALU_DEP_1)
	s_mul_hi_u32 s11, s8, s7
	s_mul_i32 s9, s9, s7
	s_add_i32 s10, s11, s10
	s_mul_i32 s8, s8, s7
	s_add_i32 s10, s10, s9
	s_mul_hi_u32 s11, s2, s8
	s_mul_i32 s12, s2, s8
	s_mul_hi_u32 s8, s7, s8
	s_mul_hi_u32 s13, s7, s10
	s_mul_i32 s7, s7, s10
	s_mul_hi_u32 s9, s2, s10
	s_add_u32 s7, s8, s7
	s_addc_u32 s8, 0, s13
	s_add_u32 s7, s7, s12
	s_mul_i32 s10, s2, s10
	s_addc_u32 s7, s8, s11
	s_addc_u32 s8, s9, 0
	s_add_u32 s7, s7, s10
	s_addc_u32 s8, 0, s8
	v_add_co_u32 v1, s7, v1, s7
	s_delay_alu instid0(VALU_DEP_1) | instskip(SKIP_2) | instid1(VALU_DEP_1)
	s_cmp_lg_u32 s7, 0
	s_addc_u32 s7, s2, s8
	s_ashr_i32 s8, s3, 31
	v_readfirstlane_b32 s10, v1
	s_add_u32 s2, s6, s8
	s_mov_b32 s9, s8
	s_addc_u32 s3, s3, s8
	s_delay_alu instid0(SALU_CYCLE_1) | instskip(NEXT) | instid1(SALU_CYCLE_1)
	s_xor_b64 s[2:3], s[2:3], s[8:9]
	s_mul_i32 s12, s2, s7
	s_mul_hi_u32 s13, s2, s10
	s_mul_hi_u32 s11, s2, s7
	;; [unrolled: 1-line block ×3, first 2 shown]
	s_mul_i32 s10, s3, s10
	s_add_u32 s12, s13, s12
	s_addc_u32 s11, 0, s11
	s_mul_hi_u32 s14, s3, s7
	s_add_u32 s10, s12, s10
	s_mul_i32 s7, s3, s7
	s_addc_u32 s10, s11, s18
	s_addc_u32 s11, s14, 0
	s_add_u32 s7, s10, s7
	s_addc_u32 s10, 0, s11
	s_mul_i32 s12, s29, s7
	s_add_u32 s11, s7, 1
	v_sub_co_u32 v1, s2, s2, s12
	s_mul_hi_u32 s12, s29, s7
	s_addc_u32 s13, s10, 0
	s_mul_i32 s14, s29, s10
	s_delay_alu instid0(VALU_DEP_1)
	v_sub_co_u32 v4, s18, v1, s29
	s_add_u32 s19, s7, 2
	s_addc_u32 s20, s10, 0
	s_add_i32 s12, s12, s14
	s_cmp_lg_u32 s2, 0
	v_readfirstlane_b32 s2, v4
	s_subb_u32 s3, s3, s12
	s_cmp_lg_u32 s18, 0
	s_subb_u32 s12, s3, 0
	s_delay_alu instid0(VALU_DEP_1) | instskip(SKIP_4) | instid1(SALU_CYCLE_1)
	s_cmp_ge_u32 s2, s29
	s_cselect_b32 s2, -1, 0
	s_cmp_eq_u32 s12, 0
	v_readfirstlane_b32 s12, v1
	s_cselect_b32 s2, s2, -1
	s_cmp_lg_u32 s2, 0
	s_cselect_b32 s2, s19, s11
	s_cselect_b32 s11, s20, s13
	s_cmp_ge_u32 s12, s29
	s_cselect_b32 s12, -1, 0
	s_cmp_eq_u32 s3, 0
	s_cselect_b32 s3, s12, -1
	s_delay_alu instid0(SALU_CYCLE_1) | instskip(SKIP_2) | instid1(SALU_CYCLE_1)
	s_cmp_lg_u32 s3, 0
	s_cselect_b32 s3, s11, s10
	s_cselect_b32 s2, s2, s7
	s_xor_b64 s[2:3], s[2:3], s[8:9]
	s_delay_alu instid0(SALU_CYCLE_1)
	s_sub_u32 s2, s2, s8
	s_subb_u32 s3, s3, s8
	s_cbranch_execnz .LBB49_5
.LBB49_4:
	v_cvt_f32_u32_e32 v1, s29
	s_sub_i32 s3, 0, s29
	s_delay_alu instid0(VALU_DEP_1) | instskip(SKIP_2) | instid1(VALU_DEP_1)
	v_rcp_iflag_f32_e32 v1, v1
	s_waitcnt_depctr 0xfff
	v_mul_f32_e32 v1, 0x4f7ffffe, v1
	v_cvt_u32_f32_e32 v1, v1
	s_delay_alu instid0(VALU_DEP_1) | instskip(NEXT) | instid1(VALU_DEP_1)
	v_readfirstlane_b32 s2, v1
	s_mul_i32 s3, s3, s2
	s_delay_alu instid0(SALU_CYCLE_1) | instskip(NEXT) | instid1(SALU_CYCLE_1)
	s_mul_hi_u32 s3, s2, s3
	s_add_i32 s2, s2, s3
	s_delay_alu instid0(SALU_CYCLE_1) | instskip(NEXT) | instid1(SALU_CYCLE_1)
	s_mul_hi_u32 s2, s6, s2
	s_mul_i32 s3, s2, s29
	s_delay_alu instid0(SALU_CYCLE_1)
	s_sub_i32 s3, s6, s3
	s_add_i32 s6, s2, 1
	s_sub_i32 s7, s3, s29
	s_cmp_ge_u32 s3, s29
	s_cselect_b32 s2, s6, s2
	s_cselect_b32 s3, s7, s3
	s_add_i32 s6, s2, 1
	s_cmp_ge_u32 s3, s29
	s_mov_b32 s3, 0
	s_cselect_b32 s2, s6, s2
.LBB49_5:
	v_mov_b32_e32 v13, 0
	s_add_u32 s2, s2, 1
	s_addc_u32 s3, s3, 0
	s_mul_hi_u32 s5, s5, s4
	s_mul_hi_u32 s6, s28, s2
	v_mov_b32_e32 v1, v13
	s_mul_i32 s3, s28, s3
	s_mul_i32 s5, s5, s2
	s_add_i32 s3, s6, s3
	s_mul_i32 s2, s28, s2
	v_mad_u64_u32 v[15:16], null, s4, s15, v[0:1]
	s_add_i32 s3, s3, s5
	s_mov_b32 s4, exec_lo
	s_lshl_b64 s[2:3], s[2:3], 1
	s_delay_alu instid0(VALU_DEP_1) | instid1(SALU_CYCLE_1)
	v_cmpx_gt_i64_e64 s[2:3], v[15:16]
	s_cbranch_execz .LBB49_56
; %bb.6:
	v_alignbit_b32 v19, v3, v2, 2
	v_mad_u64_u32 v[4:5], null, 0xcd9e8d57, v15, 0
	v_lshrrev_b32_e32 v20, 2, v3
	s_waitcnt vmcnt(0)
	v_dual_mov_b32 v9, v12 :: v_dual_add_nc_u32 v30, 0x8ff34781, v11
	v_mad_u64_u32 v[0:1], null, 0xd2511f53, v19, 0
	v_add_co_u32 v22, null, 0x9e3779b9, v11
	v_xor3_b32 v3, v11, v5, v20
	s_delay_alu instid0(VALU_DEP_4) | instskip(SKIP_2) | instid1(VALU_DEP_4)
	v_add_co_u32 v21, null, 0xbb67ae85, v9
	v_add_co_u32 v23, null, 0x3c6ef372, v11
	v_xor_b32_e32 v1, v1, v12
	v_mad_u64_u32 v[5:6], null, 0xd2511f53, v3, 0
	v_add_co_u32 v24, null, 0x76cf5d0a, v9
	s_delay_alu instid0(VALU_DEP_3) | instskip(SKIP_2) | instid1(VALU_DEP_3)
	v_xor_b32_e32 v1, v1, v16
	v_add_co_u32 v25, null, 0x32370b8f, v9
	v_add_co_u32 v26, null, 0xdaa66d2b, v11
	v_mad_u64_u32 v[7:8], null, 0xcd9e8d57, v1, 0
	v_xor3_b32 v3, v21, v6, v0
	v_add_co_u32 v27, null, 0x78dde6e4, v11
	v_add_co_u32 v28, null, 0xed9eba14, v9
	s_delay_alu instid0(VALU_DEP_3) | instskip(SKIP_3) | instid1(VALU_DEP_3)
	v_mad_u64_u32 v[0:1], null, 0xcd9e8d57, v3, 0
	v_xor3_b32 v6, v22, v8, v4
	v_dual_mov_b32 v40, v15 :: v_dual_and_b32 v29, 3, v2
	v_add_co_u32 v31, null, 0xa9066899, v9
	v_mad_u64_u32 v[3:4], null, 0xd2511f53, v6, 0
	v_xor3_b32 v1, v23, v1, v7
	v_add_co_u32 v32, null, 0x1715609d, v11
	v_add_co_u32 v34, null, 0xb54cda56, v11
	;; [unrolled: 1-line block ×3, first 2 shown]
	v_xor3_b32 v8, v24, v4, v5
	v_mad_u64_u32 v[4:5], null, 0xd2511f53, v1, 0
	s_load_b256 s[4:11], s[0:1], 0x30
	v_add_co_u32 v33, null, 0x5384540f, v11
	s_delay_alu instid0(VALU_DEP_3) | instskip(SKIP_1) | instid1(VALU_DEP_4)
	v_mad_u64_u32 v[6:7], null, 0xcd9e8d57, v8, 0
	v_add_co_u32 v37, null, 0x1fd5c5a3, v9
	v_xor3_b32 v3, v25, v5, v3
	v_add_co_u32 v35, null, 0xf1bbcdc8, v11
	v_add_co_u32 v38, null, 0xdb3d7428, v9
	v_xor3_b32 v5, v26, v7, v0
	s_delay_alu instid0(VALU_DEP_4) | instskip(SKIP_2) | instid1(VALU_DEP_2)
	v_mad_u64_u32 v[0:1], null, 0xcd9e8d57, v3, 0
	s_add_u32 s18, s0, 48
	s_load_b64 s[20:21], s[0:1], 0x148
	v_mad_u64_u32 v[7:8], null, 0xd2511f53, v5, 0
	s_clause 0x1
	s_load_b64 s[22:23], s[0:1], 0xf4
	s_load_b128 s[12:15], s[0:1], 0x138
	s_addc_u32 s19, s1, 0
	v_xor3_b32 v3, v27, v1, v6
	s_waitcnt lgkmcnt(0)
	s_add_i32 s26, s4, -1
	v_add_nc_u32_e32 v39, 0x96a522ad, v12
	s_cmp_gt_u32 s26, 1
	v_xor3_b32 v5, v28, v8, v4
	v_mad_u64_u32 v[1:2], null, 0xd2511f53, v3, 0
	s_cselect_b32 s11, -1, 0
	s_cmp_lg_u32 s4, 0
	s_delay_alu instid0(VALU_DEP_2) | instskip(SKIP_2) | instid1(VALU_DEP_2)
	v_mad_u64_u32 v[3:4], null, 0xcd9e8d57, v5, 0
	s_cselect_b32 s31, -1, 0
	s_add_u32 s24, s0, 0xf4
	v_xor3_b32 v2, v31, v2, v7
	s_addc_u32 s25, s1, 0
	s_min_u32 s0, s26, 15
	s_cmp_gt_u32 s4, 1
	s_delay_alu instid0(VALU_DEP_2) | instskip(SKIP_3) | instid1(VALU_DEP_2)
	v_xor3_b32 v0, v32, v4, v0
	v_mad_u64_u32 v[4:5], null, 0xcd9e8d57, v2, 0
	s_cselect_b32 s4, -1, 0
	s_add_i32 s0, s0, 1
	v_mad_u64_u32 v[6:7], null, 0xd2511f53, v0, 0
	s_and_b32 s33, s0, 3
	s_cmp_lg_u32 s26, 2
	s_delay_alu instid0(VALU_DEP_2) | instskip(SKIP_3) | instid1(VALU_DEP_3)
	v_xor3_b32 v2, v34, v5, v3
	s_cselect_b32 s34, -1, 0
	s_and_b32 s35, s0, 28
	v_mov_b32_e32 v41, v16
	v_xor3_b32 v5, v36, v7, v1
	v_mad_u64_u32 v[0:1], null, 0xd2511f53, v2, 0
	s_cmp_lg_u32 s33, 0
	s_mov_b32 s30, 0
	s_delay_alu instid0(VALU_DEP_2) | instskip(SKIP_1) | instid1(VALU_DEP_2)
	v_mad_u64_u32 v[2:3], null, 0xcd9e8d57, v5, 0
	s_cselect_b32 s36, -1, 0
	v_xor3_b32 v1, v37, v1, v6
	s_delay_alu instid0(VALU_DEP_2) | instskip(NEXT) | instid1(VALU_DEP_2)
	v_xor3_b32 v3, v33, v3, v4
	v_mad_u64_u32 v[4:5], null, 0xcd9e8d57, v1, 0
	s_delay_alu instid0(VALU_DEP_2) | instskip(NEXT) | instid1(VALU_DEP_2)
	v_mad_u64_u32 v[6:7], null, 0xd2511f53, v3, 0
	v_xor3_b32 v1, v35, v5, v2
	s_delay_alu instid0(VALU_DEP_2) | instskip(NEXT) | instid1(VALU_DEP_2)
	v_xor3_b32 v0, v38, v7, v0
	v_mad_u64_u32 v[7:8], null, 0xd2511f53, v1, 0
	s_delay_alu instid0(VALU_DEP_2) | instskip(NEXT) | instid1(VALU_DEP_2)
	v_mad_u64_u32 v[1:2], null, 0xcd9e8d57, v0, 0
	v_mov_b32_e32 v3, v7
	s_delay_alu instid0(VALU_DEP_2) | instskip(NEXT) | instid1(VALU_DEP_4)
	v_xor3_b32 v0, v2, v4, v30
	v_xor3_b32 v2, v8, v6, v39
	s_branch .LBB49_9
.LBB49_7:                               ;   in Loop: Header=BB49_9 Depth=1
	s_or_b32 exec_lo, exec_lo, s0
	s_delay_alu instid0(VALU_DEP_1)
	v_add_co_u32 v0, vcc_lo, v8, s20
	v_add_co_ci_u32_e32 v1, vcc_lo, s21, v9, vcc_lo
	global_store_b64 v7, v[0:1], s[12:13]
.LBB49_8:                               ;   in Loop: Header=BB49_9 Depth=1
	s_or_b32 exec_lo, exec_lo, s37
	v_add_co_u32 v15, vcc_lo, v15, s29
	v_add_co_ci_u32_e32 v16, vcc_lo, 0, v16, vcc_lo
	v_mov_b32_e32 v7, v17
	v_dual_mov_b32 v0, v4 :: v_dual_mov_b32 v1, v5
	s_delay_alu instid0(VALU_DEP_3) | instskip(NEXT) | instid1(VALU_DEP_3)
	v_cmp_le_i64_e32 vcc_lo, s[2:3], v[15:16]
	v_dual_mov_b32 v2, v6 :: v_dual_mov_b32 v3, v7
	s_waitcnt_vscnt null, 0x0
	s_barrier
	buffer_gl0_inv
	s_or_b32 s30, vcc_lo, s30
	s_delay_alu instid0(SALU_CYCLE_1)
	s_and_not1_b32 exec_lo, exec_lo, s30
	s_cbranch_execz .LBB49_56
.LBB49_9:                               ; =>This Loop Header: Depth=1
                                        ;     Child Loop BB49_24 Depth 2
                                        ;     Child Loop BB49_29 Depth 2
	;; [unrolled: 1-line block ×4, first 2 shown]
	v_add_co_u32 v19, vcc_lo, v19, 1
	s_delay_alu instid0(VALU_DEP_1) | instskip(SKIP_2) | instid1(VALU_DEP_1)
	v_cndmask_b32_e64 v4, 0, 1, vcc_lo
	v_add_co_ci_u32_e32 v20, vcc_lo, 0, v20, vcc_lo
	s_mov_b32 s0, exec_lo
	v_cmp_eq_u32_e32 vcc_lo, 0, v20
	s_delay_alu instid0(VALU_DEP_3) | instskip(NEXT) | instid1(VALU_DEP_1)
	v_cndmask_b32_e32 v4, 0, v4, vcc_lo
	v_add_nc_u32_e32 v40, v4, v40
	s_delay_alu instid0(VALU_DEP_1) | instskip(SKIP_2) | instid1(VALU_DEP_2)
	v_cmp_eq_u32_e32 vcc_lo, 0, v40
	v_mad_u64_u32 v[6:7], null, 0xcd9e8d57, v40, 0
	v_cndmask_b32_e32 v4, 0, v4, vcc_lo
	v_xor3_b32 v9, v7, v11, v20
	s_delay_alu instid0(VALU_DEP_2) | instskip(SKIP_1) | instid1(VALU_DEP_3)
	v_add_nc_u32_e32 v41, v4, v41
	v_mad_u64_u32 v[4:5], null, 0xd2511f53, v19, 0
	v_mad_u64_u32 v[7:8], null, 0xd2511f53, v9, 0
	s_delay_alu instid0(VALU_DEP_2) | instskip(NEXT) | instid1(VALU_DEP_2)
	v_xor_b32_e32 v5, v5, v12
	v_xor3_b32 v8, v21, v8, v4
	s_delay_alu instid0(VALU_DEP_2) | instskip(NEXT) | instid1(VALU_DEP_1)
	v_xor_b32_e32 v5, v41, v5
	v_mad_u64_u32 v[9:10], null, 0xcd9e8d57, v5, 0
	s_delay_alu instid0(VALU_DEP_3) | instskip(NEXT) | instid1(VALU_DEP_2)
	v_mad_u64_u32 v[4:5], null, 0xcd9e8d57, v8, 0
	v_xor3_b32 v6, v22, v10, v6
	s_delay_alu instid0(VALU_DEP_2) | instskip(NEXT) | instid1(VALU_DEP_2)
	v_xor3_b32 v8, v23, v5, v9
	v_mad_u64_u32 v[17:18], null, 0xd2511f53, v6, 0
	s_delay_alu instid0(VALU_DEP_2) | instskip(NEXT) | instid1(VALU_DEP_2)
	v_mad_u64_u32 v[5:6], null, 0xd2511f53, v8, 0
	v_xor3_b32 v9, v24, v18, v7
	s_delay_alu instid0(VALU_DEP_2) | instskip(NEXT) | instid1(VALU_DEP_2)
	v_xor3_b32 v6, v25, v6, v17
	v_mad_u64_u32 v[7:8], null, 0xcd9e8d57, v9, 0
	s_delay_alu instid0(VALU_DEP_1) | instskip(NEXT) | instid1(VALU_DEP_3)
	v_xor3_b32 v4, v26, v8, v4
	v_mad_u64_u32 v[8:9], null, 0xcd9e8d57, v6, 0
	s_delay_alu instid0(VALU_DEP_2) | instskip(NEXT) | instid1(VALU_DEP_2)
	v_mad_u64_u32 v[17:18], null, 0xd2511f53, v4, 0
	v_xor3_b32 v6, v27, v9, v7
	s_delay_alu instid0(VALU_DEP_2) | instskip(NEXT) | instid1(VALU_DEP_2)
	v_xor3_b32 v9, v28, v18, v5
	v_mad_u64_u32 v[4:5], null, 0xd2511f53, v6, 0
	s_delay_alu instid0(VALU_DEP_2) | instskip(NEXT) | instid1(VALU_DEP_2)
	v_mad_u64_u32 v[6:7], null, 0xcd9e8d57, v9, 0
	v_xor3_b32 v5, v31, v5, v17
	s_delay_alu instid0(VALU_DEP_2) | instskip(NEXT) | instid1(VALU_DEP_2)
	;; [unrolled: 6-line block ×6, first 2 shown]
	v_xor3_b32 v4, v6, v7, v30
	v_mov_b32_e32 v6, v10
	v_cmpx_lt_i32_e32 1, v29
	s_xor_b32 s0, exec_lo, s0
	s_cbranch_execnz .LBB49_12
; %bb.10:                               ;   in Loop: Header=BB49_9 Depth=1
	s_and_not1_saveexec_b32 s0, s0
	s_cbranch_execnz .LBB49_17
.LBB49_11:                              ;   in Loop: Header=BB49_9 Depth=1
	s_or_b32 exec_lo, exec_lo, s0
	s_delay_alu instid0(SALU_CYCLE_1)
	s_mov_b32 s37, exec_lo
	v_cmpx_gt_i64_e64 s[16:17], v[15:16]
	s_cbranch_execnz .LBB49_20
	s_branch .LBB49_38
.LBB49_12:                              ;   in Loop: Header=BB49_9 Depth=1
	s_mov_b32 s1, exec_lo
	v_cmpx_lt_i32_e32 2, v29
	s_xor_b32 s1, exec_lo, s1
; %bb.13:                               ;   in Loop: Header=BB49_9 Depth=1
	v_dual_mov_b32 v7, v3 :: v_dual_mov_b32 v8, v4
	v_mov_b32_e32 v9, v5
	s_delay_alu instid0(VALU_DEP_2) | instskip(NEXT) | instid1(VALU_DEP_2)
	v_dual_mov_b32 v0, v7 :: v_dual_mov_b32 v1, v8
	v_dual_mov_b32 v2, v9 :: v_dual_mov_b32 v3, v10
; %bb.14:                               ;   in Loop: Header=BB49_9 Depth=1
	s_and_not1_saveexec_b32 s1, s1
; %bb.15:                               ;   in Loop: Header=BB49_9 Depth=1
	s_delay_alu instid0(VALU_DEP_1)
	v_dual_mov_b32 v0, v2 :: v_dual_mov_b32 v1, v3
	v_dual_mov_b32 v2, v4 :: v_dual_mov_b32 v3, v5
; %bb.16:                               ;   in Loop: Header=BB49_9 Depth=1
	s_or_b32 exec_lo, exec_lo, s1
	s_and_not1_saveexec_b32 s0, s0
	s_cbranch_execz .LBB49_11
.LBB49_17:                              ;   in Loop: Header=BB49_9 Depth=1
	s_mov_b32 s1, exec_lo
	v_cmpx_eq_u32_e32 1, v29
; %bb.18:                               ;   in Loop: Header=BB49_9 Depth=1
	v_dual_mov_b32 v0, v1 :: v_dual_mov_b32 v1, v2
	v_dual_mov_b32 v2, v3 :: v_dual_mov_b32 v3, v4
; %bb.19:                               ;   in Loop: Header=BB49_9 Depth=1
	s_or_b32 exec_lo, exec_lo, s1
	s_delay_alu instid0(SALU_CYCLE_1) | instskip(NEXT) | instid1(SALU_CYCLE_1)
	s_or_b32 exec_lo, exec_lo, s0
	s_mov_b32 s37, exec_lo
	v_cmpx_gt_i64_e64 s[16:17], v[15:16]
	s_cbranch_execz .LBB49_38
.LBB49_20:                              ;   in Loop: Header=BB49_9 Depth=1
	s_and_not1_b32 vcc_lo, exec_lo, s11
	s_cbranch_vccnz .LBB49_26
; %bb.21:                               ;   in Loop: Header=BB49_9 Depth=1
	v_mov_b32_e32 v7, 0
	s_and_not1_b32 vcc_lo, exec_lo, s31
	s_cbranch_vccnz .LBB49_30
; %bb.22:                               ;   in Loop: Header=BB49_9 Depth=1
	s_and_not1_b32 vcc_lo, exec_lo, s34
	s_mov_b32 s0, 0
	s_cbranch_vccnz .LBB49_27
; %bb.23:                               ;   in Loop: Header=BB49_9 Depth=1
	v_dual_mov_b32 v7, 0 :: v_dual_mov_b32 v8, v15
	s_mov_b32 s38, 0
	s_mov_b64 s[0:1], s[18:19]
	s_mov_b64 s[26:27], s[24:25]
.LBB49_24:                              ;   Parent Loop BB49_9 Depth=1
                                        ; =>  This Inner Loop Header: Depth=2
	s_clause 0x1
	s_load_b256 s[40:47], s[0:1], 0x4
	s_load_b128 s[48:51], s[0:1], 0x24
	s_load_b128 s[52:55], s[26:27], 0x0
	s_add_u32 s0, s0, 48
	s_addc_u32 s1, s1, 0
	s_add_i32 s38, s38, 4
	s_add_u32 s26, s26, 16
	s_addc_u32 s27, s27, 0
	s_cmp_lg_u32 s35, s38
	s_waitcnt lgkmcnt(0)
	v_mul_hi_u32 v9, s41, v8
	s_delay_alu instid0(VALU_DEP_1) | instskip(NEXT) | instid1(VALU_DEP_1)
	v_add_nc_u32_e32 v9, v8, v9
	v_lshrrev_b32_e32 v9, s42, v9
	s_delay_alu instid0(VALU_DEP_1) | instskip(SKIP_1) | instid1(VALU_DEP_2)
	v_mul_hi_u32 v10, s44, v9
	v_mul_lo_u32 v42, v9, s40
	v_add_nc_u32_e32 v10, v9, v10
	s_delay_alu instid0(VALU_DEP_2) | instskip(NEXT) | instid1(VALU_DEP_2)
	v_sub_nc_u32_e32 v42, v8, v42
	v_lshrrev_b32_e32 v10, s45, v10
	s_delay_alu instid0(VALU_DEP_2) | instskip(NEXT) | instid1(VALU_DEP_2)
	v_mul_lo_u32 v42, v42, s52
	v_mul_hi_u32 v14, s47, v10
	v_mul_lo_u32 v43, v10, s43
	s_delay_alu instid0(VALU_DEP_2) | instskip(NEXT) | instid1(VALU_DEP_2)
	v_add_nc_u32_e32 v14, v10, v14
	v_sub_nc_u32_e32 v9, v9, v43
	s_delay_alu instid0(VALU_DEP_2) | instskip(NEXT) | instid1(VALU_DEP_2)
	v_lshrrev_b32_e32 v14, s48, v14
	v_mul_lo_u32 v9, v9, s53
	s_delay_alu instid0(VALU_DEP_2) | instskip(NEXT) | instid1(VALU_DEP_2)
	v_mul_hi_u32 v18, s50, v14
	v_add3_u32 v7, v42, v7, v9
	s_delay_alu instid0(VALU_DEP_2) | instskip(NEXT) | instid1(VALU_DEP_1)
	v_add_nc_u32_e32 v18, v14, v18
	v_lshrrev_b32_e32 v8, s51, v18
	v_mul_lo_u32 v18, v14, s46
	s_delay_alu instid0(VALU_DEP_2) | instskip(NEXT) | instid1(VALU_DEP_2)
	v_mul_lo_u32 v44, v8, s49
	v_sub_nc_u32_e32 v10, v10, v18
	s_delay_alu instid0(VALU_DEP_2) | instskip(NEXT) | instid1(VALU_DEP_2)
	v_sub_nc_u32_e32 v14, v14, v44
	v_mul_lo_u32 v10, v10, s54
	s_delay_alu instid0(VALU_DEP_2) | instskip(NEXT) | instid1(VALU_DEP_1)
	v_mul_lo_u32 v14, v14, s55
	v_add3_u32 v7, v10, v7, v14
	s_cbranch_scc1 .LBB49_24
; %bb.25:                               ;   in Loop: Header=BB49_9 Depth=1
	s_mov_b32 s0, s35
	s_and_not1_b32 vcc_lo, exec_lo, s36
	s_cbranch_vccz .LBB49_28
	s_branch .LBB49_30
.LBB49_26:                              ;   in Loop: Header=BB49_9 Depth=1
                                        ; implicit-def: $vgpr7
	s_branch .LBB49_31
.LBB49_27:                              ;   in Loop: Header=BB49_9 Depth=1
	v_mov_b32_e32 v8, v15
	s_and_not1_b32 vcc_lo, exec_lo, s36
	s_cbranch_vccnz .LBB49_30
.LBB49_28:                              ;   in Loop: Header=BB49_9 Depth=1
	s_lshl_b32 s1, s0, 2
	s_mul_i32 s26, s0, 12
	s_add_u32 s0, s24, s1
	s_addc_u32 s1, s25, 0
	s_add_u32 s26, s18, s26
	s_addc_u32 s27, s19, 0
	s_mov_b32 s38, s33
	.p2align	6
.LBB49_29:                              ;   Parent Loop BB49_9 Depth=1
                                        ; =>  This Inner Loop Header: Depth=2
	s_clause 0x1
	s_load_b64 s[40:41], s[26:27], 0x4
	s_load_b32 s39, s[26:27], 0xc
	s_add_u32 s26, s26, 12
	s_addc_u32 s27, s27, 0
	s_waitcnt lgkmcnt(0)
	v_mul_hi_u32 v9, s41, v8
	s_load_b32 s41, s[0:1], 0x0
	s_add_u32 s0, s0, 4
	s_addc_u32 s1, s1, 0
	s_add_i32 s38, s38, -1
	s_delay_alu instid0(SALU_CYCLE_1) | instskip(NEXT) | instid1(VALU_DEP_1)
	s_cmp_lg_u32 s38, 0
	v_add_nc_u32_e32 v9, v8, v9
	s_delay_alu instid0(VALU_DEP_1) | instskip(NEXT) | instid1(VALU_DEP_1)
	v_lshrrev_b32_e32 v14, s39, v9
	v_mul_lo_u32 v9, v14, s40
	s_delay_alu instid0(VALU_DEP_1) | instskip(SKIP_1) | instid1(VALU_DEP_1)
	v_sub_nc_u32_e32 v8, v8, v9
	s_waitcnt lgkmcnt(0)
	v_mad_u64_u32 v[9:10], null, v8, s41, v[7:8]
	s_delay_alu instid0(VALU_DEP_1)
	v_dual_mov_b32 v8, v14 :: v_dual_mov_b32 v7, v9
	s_cbranch_scc1 .LBB49_29
.LBB49_30:                              ;   in Loop: Header=BB49_9 Depth=1
	s_cbranch_execnz .LBB49_33
.LBB49_31:                              ;   in Loop: Header=BB49_9 Depth=1
	v_mul_hi_u32 v7, v15, s6
	s_and_not1_b32 vcc_lo, exec_lo, s4
	s_delay_alu instid0(VALU_DEP_1) | instskip(NEXT) | instid1(VALU_DEP_1)
	v_add_nc_u32_e32 v7, v7, v15
	v_lshrrev_b32_e32 v8, s7, v7
	s_delay_alu instid0(VALU_DEP_1) | instskip(NEXT) | instid1(VALU_DEP_1)
	v_mul_lo_u32 v7, v8, s5
	v_sub_nc_u32_e32 v7, v15, v7
	s_delay_alu instid0(VALU_DEP_1)
	v_mul_lo_u32 v7, v7, s22
	s_cbranch_vccnz .LBB49_33
; %bb.32:                               ;   in Loop: Header=BB49_9 Depth=1
	v_mul_hi_u32 v9, s9, v8
	s_delay_alu instid0(VALU_DEP_1) | instskip(NEXT) | instid1(VALU_DEP_1)
	v_add_nc_u32_e32 v9, v8, v9
	v_lshrrev_b32_e32 v9, s10, v9
	s_delay_alu instid0(VALU_DEP_1) | instskip(NEXT) | instid1(VALU_DEP_1)
	v_mul_lo_u32 v9, v9, s8
	v_sub_nc_u32_e32 v10, v8, v9
	s_delay_alu instid0(VALU_DEP_1) | instskip(NEXT) | instid1(VALU_DEP_1)
	v_mad_u64_u32 v[8:9], null, v10, s23, v[7:8]
	v_mov_b32_e32 v7, v8
.LBB49_33:                              ;   in Loop: Header=BB49_9 Depth=1
	v_or_b32_e32 v14, s15, v0
                                        ; implicit-def: $vgpr8_vgpr9
	s_mov_b32 s0, exec_lo
	s_delay_alu instid0(VALU_DEP_1)
	v_cmpx_ne_u64_e32 0, v[13:14]
	s_xor_b32 s1, exec_lo, s0
	s_cbranch_execz .LBB49_35
; %bb.34:                               ;   in Loop: Header=BB49_9 Depth=1
	v_cvt_f32_u32_e32 v8, s14
	v_cvt_f32_u32_e32 v9, s15
	s_sub_u32 s0, 0, s14
	s_subb_u32 s26, 0, s15
	s_delay_alu instid0(VALU_DEP_1) | instskip(NEXT) | instid1(VALU_DEP_1)
	v_fmac_f32_e32 v8, 0x4f800000, v9
	v_rcp_f32_e32 v8, v8
	s_waitcnt_depctr 0xfff
	v_mul_f32_e32 v8, 0x5f7ffffc, v8
	s_delay_alu instid0(VALU_DEP_1) | instskip(NEXT) | instid1(VALU_DEP_1)
	v_mul_f32_e32 v9, 0x2f800000, v8
	v_trunc_f32_e32 v9, v9
	s_delay_alu instid0(VALU_DEP_1) | instskip(SKIP_1) | instid1(VALU_DEP_2)
	v_fmac_f32_e32 v8, 0xcf800000, v9
	v_cvt_u32_f32_e32 v9, v9
	v_cvt_u32_f32_e32 v8, v8
	s_delay_alu instid0(VALU_DEP_2) | instskip(NEXT) | instid1(VALU_DEP_2)
	v_mul_lo_u32 v10, s0, v9
	v_mul_hi_u32 v14, s0, v8
	v_mul_lo_u32 v18, s26, v8
	s_delay_alu instid0(VALU_DEP_2) | instskip(SKIP_1) | instid1(VALU_DEP_2)
	v_add_nc_u32_e32 v10, v14, v10
	v_mul_lo_u32 v14, s0, v8
	v_add_nc_u32_e32 v10, v10, v18
	s_delay_alu instid0(VALU_DEP_2) | instskip(NEXT) | instid1(VALU_DEP_2)
	v_mul_hi_u32 v18, v8, v14
	v_mul_lo_u32 v42, v8, v10
	v_mul_hi_u32 v43, v8, v10
	v_mul_hi_u32 v44, v9, v14
	v_mul_lo_u32 v14, v9, v14
	v_mul_hi_u32 v45, v9, v10
	v_mul_lo_u32 v10, v9, v10
	v_add_co_u32 v18, vcc_lo, v18, v42
	v_add_co_ci_u32_e32 v42, vcc_lo, 0, v43, vcc_lo
	s_delay_alu instid0(VALU_DEP_2) | instskip(NEXT) | instid1(VALU_DEP_2)
	v_add_co_u32 v14, vcc_lo, v18, v14
	v_add_co_ci_u32_e32 v14, vcc_lo, v42, v44, vcc_lo
	v_add_co_ci_u32_e32 v18, vcc_lo, 0, v45, vcc_lo
	s_delay_alu instid0(VALU_DEP_2) | instskip(NEXT) | instid1(VALU_DEP_2)
	v_add_co_u32 v10, vcc_lo, v14, v10
	v_add_co_ci_u32_e32 v14, vcc_lo, 0, v18, vcc_lo
	s_delay_alu instid0(VALU_DEP_2) | instskip(NEXT) | instid1(VALU_DEP_2)
	v_add_co_u32 v8, vcc_lo, v8, v10
	v_add_co_ci_u32_e32 v9, vcc_lo, v9, v14, vcc_lo
	s_delay_alu instid0(VALU_DEP_2) | instskip(SKIP_1) | instid1(VALU_DEP_3)
	v_mul_hi_u32 v10, s0, v8
	v_mul_lo_u32 v18, s26, v8
	v_mul_lo_u32 v14, s0, v9
	s_delay_alu instid0(VALU_DEP_1) | instskip(SKIP_1) | instid1(VALU_DEP_2)
	v_add_nc_u32_e32 v10, v10, v14
	v_mul_lo_u32 v14, s0, v8
	v_add_nc_u32_e32 v10, v10, v18
	s_delay_alu instid0(VALU_DEP_2) | instskip(NEXT) | instid1(VALU_DEP_2)
	v_mul_hi_u32 v18, v8, v14
	v_mul_lo_u32 v42, v8, v10
	v_mul_hi_u32 v43, v8, v10
	v_mul_hi_u32 v44, v9, v14
	v_mul_lo_u32 v14, v9, v14
	v_mul_hi_u32 v45, v9, v10
	v_mul_lo_u32 v10, v9, v10
	v_add_co_u32 v18, vcc_lo, v18, v42
	v_add_co_ci_u32_e32 v42, vcc_lo, 0, v43, vcc_lo
	s_delay_alu instid0(VALU_DEP_2) | instskip(NEXT) | instid1(VALU_DEP_2)
	v_add_co_u32 v14, vcc_lo, v18, v14
	v_add_co_ci_u32_e32 v14, vcc_lo, v42, v44, vcc_lo
	v_add_co_ci_u32_e32 v18, vcc_lo, 0, v45, vcc_lo
	s_delay_alu instid0(VALU_DEP_2) | instskip(NEXT) | instid1(VALU_DEP_2)
	v_add_co_u32 v10, vcc_lo, v14, v10
	v_add_co_ci_u32_e32 v14, vcc_lo, 0, v18, vcc_lo
	s_delay_alu instid0(VALU_DEP_2) | instskip(NEXT) | instid1(VALU_DEP_2)
	v_add_co_u32 v10, vcc_lo, v8, v10
	v_add_co_ci_u32_e32 v14, vcc_lo, v9, v14, vcc_lo
	s_delay_alu instid0(VALU_DEP_2) | instskip(SKIP_1) | instid1(VALU_DEP_3)
	v_mul_hi_u32 v18, v1, v10
	v_mad_u64_u32 v[42:43], null, v0, v10, 0
	v_mad_u64_u32 v[8:9], null, v1, v14, 0
	;; [unrolled: 1-line block ×3, first 2 shown]
	s_delay_alu instid0(VALU_DEP_2) | instskip(NEXT) | instid1(VALU_DEP_3)
	v_add_co_u32 v8, vcc_lo, v18, v8
	v_add_co_ci_u32_e32 v9, vcc_lo, 0, v9, vcc_lo
	s_delay_alu instid0(VALU_DEP_2) | instskip(NEXT) | instid1(VALU_DEP_2)
	v_add_co_u32 v8, vcc_lo, v8, v42
	v_add_co_ci_u32_e32 v8, vcc_lo, v9, v43, vcc_lo
	v_add_co_ci_u32_e32 v9, vcc_lo, 0, v45, vcc_lo
	s_delay_alu instid0(VALU_DEP_2) | instskip(NEXT) | instid1(VALU_DEP_2)
	v_add_co_u32 v10, vcc_lo, v8, v44
	v_add_co_ci_u32_e32 v14, vcc_lo, 0, v9, vcc_lo
	s_delay_alu instid0(VALU_DEP_2) | instskip(SKIP_1) | instid1(VALU_DEP_3)
	v_mul_lo_u32 v18, s15, v10
	v_mad_u64_u32 v[8:9], null, s14, v10, 0
	v_mul_lo_u32 v10, s14, v14
	s_delay_alu instid0(VALU_DEP_2) | instskip(NEXT) | instid1(VALU_DEP_2)
	v_sub_co_u32 v8, vcc_lo, v1, v8
	v_add3_u32 v9, v9, v10, v18
	s_delay_alu instid0(VALU_DEP_1) | instskip(NEXT) | instid1(VALU_DEP_1)
	v_sub_nc_u32_e32 v10, v0, v9
	v_subrev_co_ci_u32_e64 v10, s0, s15, v10, vcc_lo
	v_sub_co_ci_u32_e32 v0, vcc_lo, v0, v9, vcc_lo
	v_sub_co_u32 v9, vcc_lo, v8, s14
	s_delay_alu instid0(VALU_DEP_1) | instskip(SKIP_3) | instid1(VALU_DEP_3)
	v_subrev_co_ci_u32_e64 v14, s0, 0, v10, vcc_lo
	v_cmp_le_u32_e64 s0, s14, v8
	v_subrev_co_ci_u32_e32 v10, vcc_lo, s15, v10, vcc_lo
	v_cmp_le_u32_e32 vcc_lo, s15, v0
	v_cndmask_b32_e64 v18, 0, -1, s0
	v_cmp_le_u32_e64 s0, s14, v9
	v_cndmask_b32_e64 v44, 0, -1, vcc_lo
	v_cmp_eq_u32_e32 vcc_lo, s15, v14
	s_delay_alu instid0(VALU_DEP_3) | instskip(SKIP_1) | instid1(VALU_DEP_1)
	v_cndmask_b32_e64 v42, 0, -1, s0
	v_cmp_le_u32_e64 s0, s15, v14
	v_cndmask_b32_e64 v43, 0, -1, s0
	v_cmp_eq_u32_e64 s0, s15, v0
	s_delay_alu instid0(VALU_DEP_2) | instskip(SKIP_2) | instid1(VALU_DEP_3)
	v_cndmask_b32_e32 v42, v43, v42, vcc_lo
	v_sub_co_u32 v43, vcc_lo, v9, s14
	v_subrev_co_ci_u32_e32 v10, vcc_lo, 0, v10, vcc_lo
	v_cmp_ne_u32_e32 vcc_lo, 0, v42
	v_cndmask_b32_e64 v18, v44, v18, s0
	s_delay_alu instid0(VALU_DEP_3) | instskip(SKIP_1) | instid1(VALU_DEP_3)
	v_cndmask_b32_e32 v10, v14, v10, vcc_lo
	v_cndmask_b32_e32 v14, v9, v43, vcc_lo
	v_cmp_ne_u32_e32 vcc_lo, 0, v18
	s_delay_alu instid0(VALU_DEP_3) | instskip(NEXT) | instid1(VALU_DEP_3)
	v_cndmask_b32_e32 v9, v0, v10, vcc_lo
	v_cndmask_b32_e32 v8, v8, v14, vcc_lo
.LBB49_35:                              ;   in Loop: Header=BB49_9 Depth=1
	s_and_not1_saveexec_b32 s0, s1
	s_cbranch_execz .LBB49_37
; %bb.36:                               ;   in Loop: Header=BB49_9 Depth=1
	v_cvt_f32_u32_e32 v0, s14
	s_sub_i32 s1, 0, s14
	v_mov_b32_e32 v9, v13
	s_delay_alu instid0(VALU_DEP_2) | instskip(SKIP_2) | instid1(VALU_DEP_1)
	v_rcp_iflag_f32_e32 v0, v0
	s_waitcnt_depctr 0xfff
	v_mul_f32_e32 v0, 0x4f7ffffe, v0
	v_cvt_u32_f32_e32 v0, v0
	s_delay_alu instid0(VALU_DEP_1) | instskip(NEXT) | instid1(VALU_DEP_1)
	v_mul_lo_u32 v8, s1, v0
	v_mul_hi_u32 v8, v0, v8
	s_delay_alu instid0(VALU_DEP_1) | instskip(NEXT) | instid1(VALU_DEP_1)
	v_add_nc_u32_e32 v0, v0, v8
	v_mul_hi_u32 v0, v1, v0
	s_delay_alu instid0(VALU_DEP_1) | instskip(NEXT) | instid1(VALU_DEP_1)
	v_mul_lo_u32 v0, v0, s14
	v_sub_nc_u32_e32 v0, v1, v0
	s_delay_alu instid0(VALU_DEP_1) | instskip(SKIP_1) | instid1(VALU_DEP_2)
	v_subrev_nc_u32_e32 v1, s14, v0
	v_cmp_le_u32_e32 vcc_lo, s14, v0
	v_cndmask_b32_e32 v0, v0, v1, vcc_lo
	s_delay_alu instid0(VALU_DEP_1) | instskip(SKIP_1) | instid1(VALU_DEP_2)
	v_subrev_nc_u32_e32 v1, s14, v0
	v_cmp_le_u32_e32 vcc_lo, s14, v0
	v_cndmask_b32_e32 v8, v0, v1, vcc_lo
.LBB49_37:                              ;   in Loop: Header=BB49_9 Depth=1
	s_or_b32 exec_lo, exec_lo, s0
	s_delay_alu instid0(VALU_DEP_1)
	v_add_co_u32 v0, vcc_lo, v8, s20
	v_add_co_ci_u32_e32 v1, vcc_lo, s21, v9, vcc_lo
	global_store_b64 v7, v[0:1], s[12:13]
.LBB49_38:                              ;   in Loop: Header=BB49_9 Depth=1
	s_or_b32 exec_lo, exec_lo, s37
	v_add_co_u32 v0, vcc_lo, v15, s28
	v_add_co_ci_u32_e32 v1, vcc_lo, 0, v16, vcc_lo
	s_mov_b32 s37, exec_lo
	s_delay_alu instid0(VALU_DEP_1)
	v_cmpx_gt_i64_e64 s[16:17], v[0:1]
	s_cbranch_execz .LBB49_8
; %bb.39:                               ;   in Loop: Header=BB49_9 Depth=1
	s_and_not1_b32 vcc_lo, exec_lo, s11
	s_cbranch_vccnz .LBB49_45
; %bb.40:                               ;   in Loop: Header=BB49_9 Depth=1
	v_mov_b32_e32 v7, 0
	s_and_not1_b32 vcc_lo, exec_lo, s31
	s_cbranch_vccnz .LBB49_49
; %bb.41:                               ;   in Loop: Header=BB49_9 Depth=1
	s_and_not1_b32 vcc_lo, exec_lo, s34
	s_mov_b32 s0, 0
	s_cbranch_vccnz .LBB49_46
; %bb.42:                               ;   in Loop: Header=BB49_9 Depth=1
	v_mov_b32_e32 v7, 0
	v_mov_b32_e32 v1, v0
	s_mov_b32 s38, 0
	s_mov_b64 s[0:1], s[18:19]
	s_mov_b64 s[26:27], s[24:25]
.LBB49_43:                              ;   Parent Loop BB49_9 Depth=1
                                        ; =>  This Inner Loop Header: Depth=2
	s_clause 0x1
	s_load_b256 s[40:47], s[0:1], 0x4
	s_load_b128 s[48:51], s[0:1], 0x24
	s_load_b128 s[52:55], s[26:27], 0x0
	s_add_u32 s0, s0, 48
	s_addc_u32 s1, s1, 0
	s_add_i32 s38, s38, 4
	s_add_u32 s26, s26, 16
	s_addc_u32 s27, s27, 0
	s_cmp_eq_u32 s35, s38
	s_waitcnt lgkmcnt(0)
	v_mul_hi_u32 v8, s41, v1
	s_delay_alu instid0(VALU_DEP_1) | instskip(NEXT) | instid1(VALU_DEP_1)
	v_add_nc_u32_e32 v8, v1, v8
	v_lshrrev_b32_e32 v8, s42, v8
	s_delay_alu instid0(VALU_DEP_1) | instskip(SKIP_1) | instid1(VALU_DEP_2)
	v_mul_hi_u32 v9, s44, v8
	v_mul_lo_u32 v18, v8, s40
	v_add_nc_u32_e32 v9, v8, v9
	s_delay_alu instid0(VALU_DEP_2) | instskip(NEXT) | instid1(VALU_DEP_2)
	v_sub_nc_u32_e32 v18, v1, v18
	v_lshrrev_b32_e32 v9, s45, v9
	s_delay_alu instid0(VALU_DEP_2) | instskip(NEXT) | instid1(VALU_DEP_2)
	v_mul_lo_u32 v18, v18, s52
	v_mul_hi_u32 v10, s47, v9
	v_mul_lo_u32 v42, v9, s43
	s_delay_alu instid0(VALU_DEP_2) | instskip(NEXT) | instid1(VALU_DEP_2)
	v_add_nc_u32_e32 v10, v9, v10
	v_sub_nc_u32_e32 v8, v8, v42
	s_delay_alu instid0(VALU_DEP_2) | instskip(NEXT) | instid1(VALU_DEP_2)
	v_lshrrev_b32_e32 v10, s48, v10
	v_mul_lo_u32 v8, v8, s53
	s_delay_alu instid0(VALU_DEP_2) | instskip(NEXT) | instid1(VALU_DEP_2)
	v_mul_hi_u32 v14, s50, v10
	v_add3_u32 v7, v18, v7, v8
	s_delay_alu instid0(VALU_DEP_2) | instskip(NEXT) | instid1(VALU_DEP_1)
	v_add_nc_u32_e32 v14, v10, v14
	v_lshrrev_b32_e32 v1, s51, v14
	v_mul_lo_u32 v14, v10, s46
	s_delay_alu instid0(VALU_DEP_2) | instskip(NEXT) | instid1(VALU_DEP_2)
	v_mul_lo_u32 v43, v1, s49
	v_sub_nc_u32_e32 v9, v9, v14
	s_delay_alu instid0(VALU_DEP_2) | instskip(NEXT) | instid1(VALU_DEP_2)
	v_sub_nc_u32_e32 v10, v10, v43
	v_mul_lo_u32 v9, v9, s54
	s_delay_alu instid0(VALU_DEP_2) | instskip(NEXT) | instid1(VALU_DEP_1)
	v_mul_lo_u32 v10, v10, s55
	v_add3_u32 v7, v9, v7, v10
	s_cbranch_scc0 .LBB49_43
; %bb.44:                               ;   in Loop: Header=BB49_9 Depth=1
	s_mov_b32 s0, s35
	s_and_not1_b32 vcc_lo, exec_lo, s36
	s_cbranch_vccz .LBB49_47
	s_branch .LBB49_49
.LBB49_45:                              ;   in Loop: Header=BB49_9 Depth=1
                                        ; implicit-def: $vgpr7
	s_branch .LBB49_50
.LBB49_46:                              ;   in Loop: Header=BB49_9 Depth=1
	v_mov_b32_e32 v1, v0
	s_and_not1_b32 vcc_lo, exec_lo, s36
	s_cbranch_vccnz .LBB49_49
.LBB49_47:                              ;   in Loop: Header=BB49_9 Depth=1
	s_lshl_b32 s1, s0, 2
	s_mul_i32 s26, s0, 12
	s_add_u32 s0, s24, s1
	s_addc_u32 s1, s25, 0
	s_add_u32 s26, s18, s26
	s_addc_u32 s27, s19, 0
	s_mov_b32 s38, s33
	.p2align	6
.LBB49_48:                              ;   Parent Loop BB49_9 Depth=1
                                        ; =>  This Inner Loop Header: Depth=2
	s_clause 0x1
	s_load_b64 s[40:41], s[26:27], 0x4
	s_load_b32 s39, s[26:27], 0xc
	s_add_u32 s26, s26, 12
	s_addc_u32 s27, s27, 0
	s_waitcnt lgkmcnt(0)
	v_mul_hi_u32 v8, s41, v1
	s_load_b32 s41, s[0:1], 0x0
	s_add_u32 s0, s0, 4
	s_addc_u32 s1, s1, 0
	s_add_i32 s38, s38, -1
	s_delay_alu instid0(SALU_CYCLE_1) | instskip(NEXT) | instid1(VALU_DEP_1)
	s_cmp_lg_u32 s38, 0
	v_add_nc_u32_e32 v8, v1, v8
	s_delay_alu instid0(VALU_DEP_1) | instskip(NEXT) | instid1(VALU_DEP_1)
	v_lshrrev_b32_e32 v10, s39, v8
	v_mul_lo_u32 v8, v10, s40
	s_delay_alu instid0(VALU_DEP_1) | instskip(SKIP_1) | instid1(VALU_DEP_1)
	v_sub_nc_u32_e32 v1, v1, v8
	s_waitcnt lgkmcnt(0)
	v_mad_u64_u32 v[8:9], null, v1, s41, v[7:8]
	v_mov_b32_e32 v1, v10
	s_delay_alu instid0(VALU_DEP_2)
	v_mov_b32_e32 v7, v8
	s_cbranch_scc1 .LBB49_48
.LBB49_49:                              ;   in Loop: Header=BB49_9 Depth=1
	s_cbranch_execnz .LBB49_52
.LBB49_50:                              ;   in Loop: Header=BB49_9 Depth=1
	v_mul_hi_u32 v1, v0, s6
	s_and_not1_b32 vcc_lo, exec_lo, s4
	s_delay_alu instid0(VALU_DEP_1) | instskip(NEXT) | instid1(VALU_DEP_1)
	v_add_nc_u32_e32 v1, v1, v0
	v_lshrrev_b32_e32 v1, s7, v1
	s_delay_alu instid0(VALU_DEP_1) | instskip(NEXT) | instid1(VALU_DEP_1)
	v_mul_lo_u32 v7, v1, s5
	v_sub_nc_u32_e32 v0, v0, v7
	s_delay_alu instid0(VALU_DEP_1)
	v_mul_lo_u32 v7, v0, s22
	s_cbranch_vccnz .LBB49_52
; %bb.51:                               ;   in Loop: Header=BB49_9 Depth=1
	v_mul_hi_u32 v0, s9, v1
	s_delay_alu instid0(VALU_DEP_1) | instskip(NEXT) | instid1(VALU_DEP_1)
	v_add_nc_u32_e32 v0, v1, v0
	v_lshrrev_b32_e32 v0, s10, v0
	s_delay_alu instid0(VALU_DEP_1) | instskip(NEXT) | instid1(VALU_DEP_1)
	v_mul_lo_u32 v0, v0, s8
	v_sub_nc_u32_e32 v8, v1, v0
	s_delay_alu instid0(VALU_DEP_1) | instskip(NEXT) | instid1(VALU_DEP_1)
	v_mad_u64_u32 v[0:1], null, v8, s23, v[7:8]
	v_mov_b32_e32 v7, v0
.LBB49_52:                              ;   in Loop: Header=BB49_9 Depth=1
	v_or_b32_e32 v14, s15, v2
                                        ; implicit-def: $vgpr8_vgpr9
	s_mov_b32 s0, exec_lo
	s_delay_alu instid0(VALU_DEP_1)
	v_cmpx_ne_u64_e32 0, v[13:14]
	s_xor_b32 s1, exec_lo, s0
	s_cbranch_execz .LBB49_54
; %bb.53:                               ;   in Loop: Header=BB49_9 Depth=1
	v_cvt_f32_u32_e32 v0, s14
	v_cvt_f32_u32_e32 v1, s15
	s_sub_u32 s0, 0, s14
	s_subb_u32 s26, 0, s15
	s_delay_alu instid0(VALU_DEP_1) | instskip(NEXT) | instid1(VALU_DEP_1)
	v_fmac_f32_e32 v0, 0x4f800000, v1
	v_rcp_f32_e32 v0, v0
	s_waitcnt_depctr 0xfff
	v_mul_f32_e32 v0, 0x5f7ffffc, v0
	s_delay_alu instid0(VALU_DEP_1) | instskip(NEXT) | instid1(VALU_DEP_1)
	v_mul_f32_e32 v1, 0x2f800000, v0
	v_trunc_f32_e32 v1, v1
	s_delay_alu instid0(VALU_DEP_1) | instskip(SKIP_1) | instid1(VALU_DEP_2)
	v_fmac_f32_e32 v0, 0xcf800000, v1
	v_cvt_u32_f32_e32 v1, v1
	v_cvt_u32_f32_e32 v0, v0
	s_delay_alu instid0(VALU_DEP_2) | instskip(NEXT) | instid1(VALU_DEP_2)
	v_mul_lo_u32 v8, s0, v1
	v_mul_hi_u32 v9, s0, v0
	v_mul_lo_u32 v10, s26, v0
	s_delay_alu instid0(VALU_DEP_2) | instskip(SKIP_1) | instid1(VALU_DEP_2)
	v_add_nc_u32_e32 v8, v9, v8
	v_mul_lo_u32 v9, s0, v0
	v_add_nc_u32_e32 v8, v8, v10
	s_delay_alu instid0(VALU_DEP_2) | instskip(NEXT) | instid1(VALU_DEP_2)
	v_mul_hi_u32 v10, v0, v9
	v_mul_lo_u32 v14, v0, v8
	v_mul_hi_u32 v18, v0, v8
	v_mul_hi_u32 v42, v1, v9
	v_mul_lo_u32 v9, v1, v9
	v_mul_hi_u32 v43, v1, v8
	v_mul_lo_u32 v8, v1, v8
	v_add_co_u32 v10, vcc_lo, v10, v14
	v_add_co_ci_u32_e32 v14, vcc_lo, 0, v18, vcc_lo
	s_delay_alu instid0(VALU_DEP_2) | instskip(NEXT) | instid1(VALU_DEP_2)
	v_add_co_u32 v9, vcc_lo, v10, v9
	v_add_co_ci_u32_e32 v9, vcc_lo, v14, v42, vcc_lo
	v_add_co_ci_u32_e32 v10, vcc_lo, 0, v43, vcc_lo
	s_delay_alu instid0(VALU_DEP_2) | instskip(NEXT) | instid1(VALU_DEP_2)
	v_add_co_u32 v8, vcc_lo, v9, v8
	v_add_co_ci_u32_e32 v9, vcc_lo, 0, v10, vcc_lo
	s_delay_alu instid0(VALU_DEP_2) | instskip(NEXT) | instid1(VALU_DEP_2)
	v_add_co_u32 v0, vcc_lo, v0, v8
	v_add_co_ci_u32_e32 v1, vcc_lo, v1, v9, vcc_lo
	s_delay_alu instid0(VALU_DEP_2) | instskip(SKIP_1) | instid1(VALU_DEP_3)
	v_mul_hi_u32 v8, s0, v0
	v_mul_lo_u32 v10, s26, v0
	v_mul_lo_u32 v9, s0, v1
	s_delay_alu instid0(VALU_DEP_1) | instskip(SKIP_1) | instid1(VALU_DEP_2)
	v_add_nc_u32_e32 v8, v8, v9
	v_mul_lo_u32 v9, s0, v0
	v_add_nc_u32_e32 v8, v8, v10
	s_delay_alu instid0(VALU_DEP_2) | instskip(NEXT) | instid1(VALU_DEP_2)
	v_mul_hi_u32 v10, v0, v9
	v_mul_lo_u32 v14, v0, v8
	v_mul_hi_u32 v18, v0, v8
	v_mul_hi_u32 v42, v1, v9
	v_mul_lo_u32 v9, v1, v9
	v_mul_hi_u32 v43, v1, v8
	v_mul_lo_u32 v8, v1, v8
	v_add_co_u32 v10, vcc_lo, v10, v14
	v_add_co_ci_u32_e32 v14, vcc_lo, 0, v18, vcc_lo
	s_delay_alu instid0(VALU_DEP_2) | instskip(NEXT) | instid1(VALU_DEP_2)
	v_add_co_u32 v9, vcc_lo, v10, v9
	v_add_co_ci_u32_e32 v9, vcc_lo, v14, v42, vcc_lo
	v_add_co_ci_u32_e32 v10, vcc_lo, 0, v43, vcc_lo
	s_delay_alu instid0(VALU_DEP_2) | instskip(NEXT) | instid1(VALU_DEP_2)
	v_add_co_u32 v8, vcc_lo, v9, v8
	v_add_co_ci_u32_e32 v9, vcc_lo, 0, v10, vcc_lo
	s_delay_alu instid0(VALU_DEP_2) | instskip(NEXT) | instid1(VALU_DEP_2)
	v_add_co_u32 v10, vcc_lo, v0, v8
	v_add_co_ci_u32_e32 v14, vcc_lo, v1, v9, vcc_lo
	s_delay_alu instid0(VALU_DEP_2) | instskip(SKIP_1) | instid1(VALU_DEP_3)
	v_mul_hi_u32 v18, v3, v10
	v_mad_u64_u32 v[8:9], null, v2, v10, 0
	v_mad_u64_u32 v[0:1], null, v3, v14, 0
	;; [unrolled: 1-line block ×3, first 2 shown]
	s_delay_alu instid0(VALU_DEP_2) | instskip(NEXT) | instid1(VALU_DEP_3)
	v_add_co_u32 v0, vcc_lo, v18, v0
	v_add_co_ci_u32_e32 v1, vcc_lo, 0, v1, vcc_lo
	s_delay_alu instid0(VALU_DEP_2) | instskip(NEXT) | instid1(VALU_DEP_2)
	v_add_co_u32 v0, vcc_lo, v0, v8
	v_add_co_ci_u32_e32 v0, vcc_lo, v1, v9, vcc_lo
	v_add_co_ci_u32_e32 v1, vcc_lo, 0, v43, vcc_lo
	s_delay_alu instid0(VALU_DEP_2) | instskip(NEXT) | instid1(VALU_DEP_2)
	v_add_co_u32 v8, vcc_lo, v0, v42
	v_add_co_ci_u32_e32 v9, vcc_lo, 0, v1, vcc_lo
	s_delay_alu instid0(VALU_DEP_2) | instskip(SKIP_1) | instid1(VALU_DEP_3)
	v_mul_lo_u32 v10, s15, v8
	v_mad_u64_u32 v[0:1], null, s14, v8, 0
	v_mul_lo_u32 v8, s14, v9
	s_delay_alu instid0(VALU_DEP_2) | instskip(NEXT) | instid1(VALU_DEP_2)
	v_sub_co_u32 v0, vcc_lo, v3, v0
	v_add3_u32 v1, v1, v8, v10
	s_delay_alu instid0(VALU_DEP_1) | instskip(NEXT) | instid1(VALU_DEP_1)
	v_sub_nc_u32_e32 v8, v2, v1
	v_subrev_co_ci_u32_e64 v3, s0, s15, v8, vcc_lo
	v_sub_co_ci_u32_e32 v1, vcc_lo, v2, v1, vcc_lo
	v_sub_co_u32 v2, vcc_lo, v0, s14
	s_delay_alu instid0(VALU_DEP_1) | instskip(SKIP_3) | instid1(VALU_DEP_3)
	v_subrev_co_ci_u32_e64 v8, s0, 0, v3, vcc_lo
	v_cmp_le_u32_e64 s0, s14, v0
	v_subrev_co_ci_u32_e32 v3, vcc_lo, s15, v3, vcc_lo
	v_cmp_le_u32_e32 vcc_lo, s15, v1
	v_cndmask_b32_e64 v9, 0, -1, s0
	v_cmp_le_u32_e64 s0, s14, v2
	v_cndmask_b32_e64 v18, 0, -1, vcc_lo
	v_cmp_eq_u32_e32 vcc_lo, s15, v8
	s_delay_alu instid0(VALU_DEP_3) | instskip(SKIP_1) | instid1(VALU_DEP_1)
	v_cndmask_b32_e64 v10, 0, -1, s0
	v_cmp_le_u32_e64 s0, s15, v8
	v_cndmask_b32_e64 v14, 0, -1, s0
	v_cmp_eq_u32_e64 s0, s15, v1
	s_delay_alu instid0(VALU_DEP_2) | instskip(SKIP_2) | instid1(VALU_DEP_3)
	v_cndmask_b32_e32 v10, v14, v10, vcc_lo
	v_sub_co_u32 v14, vcc_lo, v2, s14
	v_subrev_co_ci_u32_e32 v3, vcc_lo, 0, v3, vcc_lo
	v_cmp_ne_u32_e32 vcc_lo, 0, v10
	v_cndmask_b32_e64 v9, v18, v9, s0
	s_delay_alu instid0(VALU_DEP_3) | instskip(NEXT) | instid1(VALU_DEP_2)
	v_dual_cndmask_b32 v3, v8, v3 :: v_dual_cndmask_b32 v2, v2, v14
	v_cmp_ne_u32_e32 vcc_lo, 0, v9
	s_delay_alu instid0(VALU_DEP_2)
	v_dual_cndmask_b32 v9, v1, v3 :: v_dual_cndmask_b32 v8, v0, v2
                                        ; implicit-def: $vgpr0_vgpr1_vgpr2_vgpr3
.LBB49_54:                              ;   in Loop: Header=BB49_9 Depth=1
	s_and_not1_saveexec_b32 s0, s1
	s_cbranch_execz .LBB49_7
; %bb.55:                               ;   in Loop: Header=BB49_9 Depth=1
	v_cvt_f32_u32_e32 v0, s14
	s_sub_i32 s1, 0, s14
	v_mov_b32_e32 v9, v13
	s_delay_alu instid0(VALU_DEP_2) | instskip(SKIP_2) | instid1(VALU_DEP_1)
	v_rcp_iflag_f32_e32 v0, v0
	s_waitcnt_depctr 0xfff
	v_mul_f32_e32 v0, 0x4f7ffffe, v0
	v_cvt_u32_f32_e32 v0, v0
	s_delay_alu instid0(VALU_DEP_1) | instskip(NEXT) | instid1(VALU_DEP_1)
	v_mul_lo_u32 v1, s1, v0
	v_mul_hi_u32 v1, v0, v1
	s_delay_alu instid0(VALU_DEP_1) | instskip(NEXT) | instid1(VALU_DEP_1)
	v_add_nc_u32_e32 v0, v0, v1
	v_mul_hi_u32 v0, v3, v0
	s_delay_alu instid0(VALU_DEP_1) | instskip(NEXT) | instid1(VALU_DEP_1)
	v_mul_lo_u32 v0, v0, s14
	v_sub_nc_u32_e32 v0, v3, v0
	s_delay_alu instid0(VALU_DEP_1) | instskip(SKIP_1) | instid1(VALU_DEP_2)
	v_subrev_nc_u32_e32 v1, s14, v0
	v_cmp_le_u32_e32 vcc_lo, s14, v0
	v_cndmask_b32_e32 v0, v0, v1, vcc_lo
	s_delay_alu instid0(VALU_DEP_1) | instskip(SKIP_1) | instid1(VALU_DEP_2)
	v_subrev_nc_u32_e32 v1, s14, v0
	v_cmp_le_u32_e32 vcc_lo, s14, v0
	v_cndmask_b32_e32 v8, v0, v1, vcc_lo
	s_branch .LBB49_7
.LBB49_56:
	s_endpgm
.LBB49_57:
                                        ; implicit-def: $sgpr2_sgpr3
	s_branch .LBB49_4
	.section	.rodata,"a",@progbits
	.p2align	6, 0x0
	.amdhsa_kernel _ZN2at6native12_GLOBAL__N_143distribution_elementwise_grid_stride_kernelImLi2EZZZNS0_9templates4cuda21random_from_to_kernelIPNS_17CUDAGeneratorImplEEEvRNS_18TensorIteratorBaseEmlT_ENKUlvE_clEvENKUlvE11_clEvEUlP25hiprandStatePhilox4_32_10E_ZNS1_27distribution_nullary_kernelImm15HIP_vector_typeIyLj2EES7_SF_ZZZNS5_IS7_EEvS9_mlSA_ENKSB_clEvENKSC_clEvEUlmE_EEvS9_T2_RKT3_T4_EUlimE0_EEvlNS_15PhiloxCudaStateET1_SK_
		.amdhsa_group_segment_fixed_size 0
		.amdhsa_private_segment_fixed_size 0
		.amdhsa_kernarg_size 592
		.amdhsa_user_sgpr_count 15
		.amdhsa_user_sgpr_dispatch_ptr 0
		.amdhsa_user_sgpr_queue_ptr 0
		.amdhsa_user_sgpr_kernarg_segment_ptr 1
		.amdhsa_user_sgpr_dispatch_id 0
		.amdhsa_user_sgpr_private_segment_size 0
		.amdhsa_wavefront_size32 1
		.amdhsa_uses_dynamic_stack 0
		.amdhsa_enable_private_segment 0
		.amdhsa_system_sgpr_workgroup_id_x 1
		.amdhsa_system_sgpr_workgroup_id_y 0
		.amdhsa_system_sgpr_workgroup_id_z 0
		.amdhsa_system_sgpr_workgroup_info 0
		.amdhsa_system_vgpr_workitem_id 0
		.amdhsa_next_free_vgpr 46
		.amdhsa_next_free_sgpr 56
		.amdhsa_reserve_vcc 1
		.amdhsa_float_round_mode_32 0
		.amdhsa_float_round_mode_16_64 0
		.amdhsa_float_denorm_mode_32 3
		.amdhsa_float_denorm_mode_16_64 3
		.amdhsa_dx10_clamp 1
		.amdhsa_ieee_mode 1
		.amdhsa_fp16_overflow 0
		.amdhsa_workgroup_processor_mode 1
		.amdhsa_memory_ordered 1
		.amdhsa_forward_progress 0
		.amdhsa_shared_vgpr_count 0
		.amdhsa_exception_fp_ieee_invalid_op 0
		.amdhsa_exception_fp_denorm_src 0
		.amdhsa_exception_fp_ieee_div_zero 0
		.amdhsa_exception_fp_ieee_overflow 0
		.amdhsa_exception_fp_ieee_underflow 0
		.amdhsa_exception_fp_ieee_inexact 0
		.amdhsa_exception_int_div_zero 0
	.end_amdhsa_kernel
	.section	.text._ZN2at6native12_GLOBAL__N_143distribution_elementwise_grid_stride_kernelImLi2EZZZNS0_9templates4cuda21random_from_to_kernelIPNS_17CUDAGeneratorImplEEEvRNS_18TensorIteratorBaseEmlT_ENKUlvE_clEvENKUlvE11_clEvEUlP25hiprandStatePhilox4_32_10E_ZNS1_27distribution_nullary_kernelImm15HIP_vector_typeIyLj2EES7_SF_ZZZNS5_IS7_EEvS9_mlSA_ENKSB_clEvENKSC_clEvEUlmE_EEvS9_T2_RKT3_T4_EUlimE0_EEvlNS_15PhiloxCudaStateET1_SK_,"axG",@progbits,_ZN2at6native12_GLOBAL__N_143distribution_elementwise_grid_stride_kernelImLi2EZZZNS0_9templates4cuda21random_from_to_kernelIPNS_17CUDAGeneratorImplEEEvRNS_18TensorIteratorBaseEmlT_ENKUlvE_clEvENKUlvE11_clEvEUlP25hiprandStatePhilox4_32_10E_ZNS1_27distribution_nullary_kernelImm15HIP_vector_typeIyLj2EES7_SF_ZZZNS5_IS7_EEvS9_mlSA_ENKSB_clEvENKSC_clEvEUlmE_EEvS9_T2_RKT3_T4_EUlimE0_EEvlNS_15PhiloxCudaStateET1_SK_,comdat
.Lfunc_end49:
	.size	_ZN2at6native12_GLOBAL__N_143distribution_elementwise_grid_stride_kernelImLi2EZZZNS0_9templates4cuda21random_from_to_kernelIPNS_17CUDAGeneratorImplEEEvRNS_18TensorIteratorBaseEmlT_ENKUlvE_clEvENKUlvE11_clEvEUlP25hiprandStatePhilox4_32_10E_ZNS1_27distribution_nullary_kernelImm15HIP_vector_typeIyLj2EES7_SF_ZZZNS5_IS7_EEvS9_mlSA_ENKSB_clEvENKSC_clEvEUlmE_EEvS9_T2_RKT3_T4_EUlimE0_EEvlNS_15PhiloxCudaStateET1_SK_, .Lfunc_end49-_ZN2at6native12_GLOBAL__N_143distribution_elementwise_grid_stride_kernelImLi2EZZZNS0_9templates4cuda21random_from_to_kernelIPNS_17CUDAGeneratorImplEEEvRNS_18TensorIteratorBaseEmlT_ENKUlvE_clEvENKUlvE11_clEvEUlP25hiprandStatePhilox4_32_10E_ZNS1_27distribution_nullary_kernelImm15HIP_vector_typeIyLj2EES7_SF_ZZZNS5_IS7_EEvS9_mlSA_ENKSB_clEvENKSC_clEvEUlmE_EEvS9_T2_RKT3_T4_EUlimE0_EEvlNS_15PhiloxCudaStateET1_SK_
                                        ; -- End function
	.section	.AMDGPU.csdata,"",@progbits
; Kernel info:
; codeLenInByte = 5648
; NumSgprs: 58
; NumVgprs: 46
; ScratchSize: 0
; MemoryBound: 0
; FloatMode: 240
; IeeeMode: 1
; LDSByteSize: 0 bytes/workgroup (compile time only)
; SGPRBlocks: 7
; VGPRBlocks: 5
; NumSGPRsForWavesPerEU: 58
; NumVGPRsForWavesPerEU: 46
; Occupancy: 16
; WaveLimiterHint : 1
; COMPUTE_PGM_RSRC2:SCRATCH_EN: 0
; COMPUTE_PGM_RSRC2:USER_SGPR: 15
; COMPUTE_PGM_RSRC2:TRAP_HANDLER: 0
; COMPUTE_PGM_RSRC2:TGID_X_EN: 1
; COMPUTE_PGM_RSRC2:TGID_Y_EN: 0
; COMPUTE_PGM_RSRC2:TGID_Z_EN: 0
; COMPUTE_PGM_RSRC2:TIDIG_COMP_CNT: 0
	.section	.text._ZN2at6native12_GLOBAL__N_143distribution_elementwise_grid_stride_kernelIjLi4EZZZNS0_9templates4cuda21random_from_to_kernelIPNS_17CUDAGeneratorImplEEEvRNS_18TensorIteratorBaseEmlT_ENKUlvE_clEvENKUlvE11_clEvEUlP25hiprandStatePhilox4_32_10E0_ZNS1_27distribution_nullary_kernelImj15HIP_vector_typeIjLj4EES7_SF_ZZZNS5_IS7_EEvS9_mlSA_ENKSB_clEvENKSC_clEvEUljE_EEvS9_T2_RKT3_T4_EUlijE_EEvlNS_15PhiloxCudaStateET1_SK_,"axG",@progbits,_ZN2at6native12_GLOBAL__N_143distribution_elementwise_grid_stride_kernelIjLi4EZZZNS0_9templates4cuda21random_from_to_kernelIPNS_17CUDAGeneratorImplEEEvRNS_18TensorIteratorBaseEmlT_ENKUlvE_clEvENKUlvE11_clEvEUlP25hiprandStatePhilox4_32_10E0_ZNS1_27distribution_nullary_kernelImj15HIP_vector_typeIjLj4EES7_SF_ZZZNS5_IS7_EEvS9_mlSA_ENKSB_clEvENKSC_clEvEUljE_EEvS9_T2_RKT3_T4_EUlijE_EEvlNS_15PhiloxCudaStateET1_SK_,comdat
	.globl	_ZN2at6native12_GLOBAL__N_143distribution_elementwise_grid_stride_kernelIjLi4EZZZNS0_9templates4cuda21random_from_to_kernelIPNS_17CUDAGeneratorImplEEEvRNS_18TensorIteratorBaseEmlT_ENKUlvE_clEvENKUlvE11_clEvEUlP25hiprandStatePhilox4_32_10E0_ZNS1_27distribution_nullary_kernelImj15HIP_vector_typeIjLj4EES7_SF_ZZZNS5_IS7_EEvS9_mlSA_ENKSB_clEvENKSC_clEvEUljE_EEvS9_T2_RKT3_T4_EUlijE_EEvlNS_15PhiloxCudaStateET1_SK_ ; -- Begin function _ZN2at6native12_GLOBAL__N_143distribution_elementwise_grid_stride_kernelIjLi4EZZZNS0_9templates4cuda21random_from_to_kernelIPNS_17CUDAGeneratorImplEEEvRNS_18TensorIteratorBaseEmlT_ENKUlvE_clEvENKUlvE11_clEvEUlP25hiprandStatePhilox4_32_10E0_ZNS1_27distribution_nullary_kernelImj15HIP_vector_typeIjLj4EES7_SF_ZZZNS5_IS7_EEvS9_mlSA_ENKSB_clEvENKSC_clEvEUljE_EEvS9_T2_RKT3_T4_EUlijE_EEvlNS_15PhiloxCudaStateET1_SK_
	.p2align	8
	.type	_ZN2at6native12_GLOBAL__N_143distribution_elementwise_grid_stride_kernelIjLi4EZZZNS0_9templates4cuda21random_from_to_kernelIPNS_17CUDAGeneratorImplEEEvRNS_18TensorIteratorBaseEmlT_ENKUlvE_clEvENKUlvE11_clEvEUlP25hiprandStatePhilox4_32_10E0_ZNS1_27distribution_nullary_kernelImj15HIP_vector_typeIjLj4EES7_SF_ZZZNS5_IS7_EEvS9_mlSA_ENKSB_clEvENKSC_clEvEUljE_EEvS9_T2_RKT3_T4_EUlijE_EEvlNS_15PhiloxCudaStateET1_SK_,@function
_ZN2at6native12_GLOBAL__N_143distribution_elementwise_grid_stride_kernelIjLi4EZZZNS0_9templates4cuda21random_from_to_kernelIPNS_17CUDAGeneratorImplEEEvRNS_18TensorIteratorBaseEmlT_ENKUlvE_clEvENKUlvE11_clEvEUlP25hiprandStatePhilox4_32_10E0_ZNS1_27distribution_nullary_kernelImj15HIP_vector_typeIjLj4EES7_SF_ZZZNS5_IS7_EEvS9_mlSA_ENKSB_clEvENKSC_clEvEUljE_EEvS9_T2_RKT3_T4_EUlijE_EEvlNS_15PhiloxCudaStateET1_SK_: ; @_ZN2at6native12_GLOBAL__N_143distribution_elementwise_grid_stride_kernelIjLi4EZZZNS0_9templates4cuda21random_from_to_kernelIPNS_17CUDAGeneratorImplEEEvRNS_18TensorIteratorBaseEmlT_ENKUlvE_clEvENKUlvE11_clEvEUlP25hiprandStatePhilox4_32_10E0_ZNS1_27distribution_nullary_kernelImj15HIP_vector_typeIjLj4EES7_SF_ZZZNS5_IS7_EEvS9_mlSA_ENKSB_clEvENKSC_clEvEUljE_EEvS9_T2_RKT3_T4_EUlijE_EEvlNS_15PhiloxCudaStateET1_SK_
; %bb.0:
	s_clause 0x2
	s_load_b64 s[8:9], s[0:1], 0x10
	s_load_b128 s[4:7], s[0:1], 0x0
	s_load_b32 s2, s[0:1], 0x20
	s_waitcnt lgkmcnt(0)
	v_dual_mov_b32 v2, s8 :: v_dual_mov_b32 v3, s9
	v_dual_mov_b32 v14, s7 :: v_dual_mov_b32 v13, s6
	s_bitcmp0_b32 s2, 0
	s_mov_b32 s2, 0
	s_cbranch_scc1 .LBB50_2
; %bb.1:
	v_dual_mov_b32 v1, s8 :: v_dual_mov_b32 v2, s9
	v_dual_mov_b32 v4, s6 :: v_dual_mov_b32 v5, s7
	s_load_b64 s[6:7], s[0:1], 0x18
	flat_load_b64 v[2:3], v[1:2]
	flat_load_b64 v[13:14], v[4:5]
	s_waitcnt vmcnt(1) lgkmcnt(0)
	v_add_co_u32 v2, vcc_lo, v2, s6
	v_add_co_ci_u32_e32 v3, vcc_lo, s7, v3, vcc_lo
.LBB50_2:
	s_clause 0x1
	s_load_b32 s3, s[0:1], 0x5c
	s_load_b32 s16, s[0:1], 0x50
	s_waitcnt lgkmcnt(0)
	s_and_b32 s14, s3, 0xffff
	s_add_u32 s6, s4, -1
	s_mul_i32 s10, s16, s14
	s_addc_u32 s3, s5, -1
	s_lshl_b32 s11, s10, 2
	s_cmp_lg_u64 s[2:3], 0
	s_cbranch_scc0 .LBB50_35
; %bb.3:
	v_cvt_f32_ubyte0_e32 v1, 0
	v_cvt_f32_u32_e32 v4, s11
	s_sub_u32 s8, 0, s11
	s_subb_u32 s9, 0, 0
	s_delay_alu instid0(VALU_DEP_1) | instskip(NEXT) | instid1(VALU_DEP_1)
	v_fmamk_f32 v1, v1, 0x4f800000, v4
	v_rcp_f32_e32 v1, v1
	s_waitcnt_depctr 0xfff
	v_mul_f32_e32 v1, 0x5f7ffffc, v1
	s_delay_alu instid0(VALU_DEP_1) | instskip(NEXT) | instid1(VALU_DEP_1)
	v_mul_f32_e32 v4, 0x2f800000, v1
	v_trunc_f32_e32 v4, v4
	s_delay_alu instid0(VALU_DEP_1) | instskip(SKIP_1) | instid1(VALU_DEP_2)
	v_fmamk_f32 v1, v4, 0xcf800000, v1
	v_cvt_u32_f32_e32 v4, v4
	v_cvt_u32_f32_e32 v1, v1
	s_delay_alu instid0(VALU_DEP_2) | instskip(NEXT) | instid1(VALU_DEP_2)
	v_readfirstlane_b32 s2, v4
	v_readfirstlane_b32 s7, v1
	s_delay_alu instid0(VALU_DEP_2) | instskip(NEXT) | instid1(VALU_DEP_1)
	s_mul_i32 s12, s8, s2
	s_mul_hi_u32 s17, s8, s7
	s_mul_i32 s13, s9, s7
	s_add_i32 s12, s17, s12
	s_mul_i32 s18, s8, s7
	s_add_i32 s12, s12, s13
	s_mul_hi_u32 s17, s7, s18
	s_mul_hi_u32 s19, s2, s18
	s_mul_i32 s13, s2, s18
	s_mul_hi_u32 s18, s7, s12
	s_mul_i32 s7, s7, s12
	s_mul_hi_u32 s20, s2, s12
	s_add_u32 s7, s17, s7
	s_addc_u32 s17, 0, s18
	s_add_u32 s7, s7, s13
	s_mul_i32 s12, s2, s12
	s_addc_u32 s7, s17, s19
	s_addc_u32 s13, s20, 0
	s_add_u32 s7, s7, s12
	s_addc_u32 s12, 0, s13
	v_add_co_u32 v1, s7, v1, s7
	s_delay_alu instid0(VALU_DEP_1) | instskip(SKIP_1) | instid1(VALU_DEP_1)
	s_cmp_lg_u32 s7, 0
	s_addc_u32 s2, s2, s12
	v_readfirstlane_b32 s7, v1
	s_mul_i32 s12, s8, s2
	s_delay_alu instid0(VALU_DEP_1)
	s_mul_hi_u32 s13, s8, s7
	s_mul_i32 s9, s9, s7
	s_add_i32 s12, s13, s12
	s_mul_i32 s8, s8, s7
	s_add_i32 s12, s12, s9
	s_mul_hi_u32 s13, s2, s8
	s_mul_i32 s17, s2, s8
	s_mul_hi_u32 s8, s7, s8
	s_mul_hi_u32 s18, s7, s12
	s_mul_i32 s7, s7, s12
	s_mul_hi_u32 s9, s2, s12
	s_add_u32 s7, s8, s7
	s_addc_u32 s8, 0, s18
	s_add_u32 s7, s7, s17
	s_mul_i32 s12, s2, s12
	s_addc_u32 s7, s8, s13
	s_addc_u32 s8, s9, 0
	s_add_u32 s7, s7, s12
	s_addc_u32 s8, 0, s8
	v_add_co_u32 v1, s7, v1, s7
	s_delay_alu instid0(VALU_DEP_1) | instskip(SKIP_2) | instid1(VALU_DEP_1)
	s_cmp_lg_u32 s7, 0
	s_addc_u32 s7, s2, s8
	s_ashr_i32 s8, s3, 31
	v_readfirstlane_b32 s12, v1
	s_add_u32 s2, s6, s8
	s_mov_b32 s9, s8
	s_addc_u32 s3, s3, s8
	s_delay_alu instid0(SALU_CYCLE_1) | instskip(NEXT) | instid1(SALU_CYCLE_1)
	s_xor_b64 s[2:3], s[2:3], s[8:9]
	s_mul_i32 s17, s2, s7
	s_mul_hi_u32 s18, s2, s12
	s_mul_hi_u32 s13, s2, s7
	;; [unrolled: 1-line block ×3, first 2 shown]
	s_mul_i32 s12, s3, s12
	s_add_u32 s17, s18, s17
	s_addc_u32 s13, 0, s13
	s_mul_hi_u32 s19, s3, s7
	s_add_u32 s12, s17, s12
	s_mul_i32 s7, s3, s7
	s_addc_u32 s12, s13, s20
	s_addc_u32 s13, s19, 0
	s_add_u32 s7, s12, s7
	s_addc_u32 s12, 0, s13
	s_mul_i32 s17, s11, s7
	s_add_u32 s13, s7, 1
	v_sub_co_u32 v1, s2, s2, s17
	s_mul_hi_u32 s17, s11, s7
	s_addc_u32 s18, s12, 0
	s_mul_i32 s19, s11, s12
	s_delay_alu instid0(VALU_DEP_1)
	v_sub_co_u32 v4, s20, v1, s11
	s_add_u32 s21, s7, 2
	s_addc_u32 s22, s12, 0
	s_add_i32 s17, s17, s19
	s_cmp_lg_u32 s2, 0
	v_readfirstlane_b32 s2, v4
	s_subb_u32 s3, s3, s17
	s_cmp_lg_u32 s20, 0
	s_subb_u32 s17, s3, 0
	s_delay_alu instid0(VALU_DEP_1) | instskip(SKIP_4) | instid1(SALU_CYCLE_1)
	s_cmp_ge_u32 s2, s11
	s_cselect_b32 s2, -1, 0
	s_cmp_eq_u32 s17, 0
	v_readfirstlane_b32 s17, v1
	s_cselect_b32 s2, s2, -1
	s_cmp_lg_u32 s2, 0
	s_cselect_b32 s2, s21, s13
	s_cselect_b32 s13, s22, s18
	s_cmp_ge_u32 s17, s11
	s_cselect_b32 s17, -1, 0
	s_cmp_eq_u32 s3, 0
	s_cselect_b32 s3, s17, -1
	s_delay_alu instid0(SALU_CYCLE_1) | instskip(SKIP_2) | instid1(SALU_CYCLE_1)
	s_cmp_lg_u32 s3, 0
	s_cselect_b32 s3, s13, s12
	s_cselect_b32 s2, s2, s7
	s_xor_b64 s[2:3], s[2:3], s[8:9]
	s_delay_alu instid0(SALU_CYCLE_1)
	s_sub_u32 s2, s2, s8
	s_subb_u32 s3, s3, s8
	s_cbranch_execnz .LBB50_5
.LBB50_4:
	v_cvt_f32_u32_e32 v1, s11
	s_sub_i32 s3, 0, s11
	s_delay_alu instid0(VALU_DEP_1) | instskip(SKIP_2) | instid1(VALU_DEP_1)
	v_rcp_iflag_f32_e32 v1, v1
	s_waitcnt_depctr 0xfff
	v_mul_f32_e32 v1, 0x4f7ffffe, v1
	v_cvt_u32_f32_e32 v1, v1
	s_delay_alu instid0(VALU_DEP_1) | instskip(NEXT) | instid1(VALU_DEP_1)
	v_readfirstlane_b32 s2, v1
	s_mul_i32 s3, s3, s2
	s_delay_alu instid0(SALU_CYCLE_1) | instskip(NEXT) | instid1(SALU_CYCLE_1)
	s_mul_hi_u32 s3, s2, s3
	s_add_i32 s2, s2, s3
	s_delay_alu instid0(SALU_CYCLE_1) | instskip(NEXT) | instid1(SALU_CYCLE_1)
	s_mul_hi_u32 s2, s6, s2
	s_mul_i32 s3, s2, s11
	s_delay_alu instid0(SALU_CYCLE_1)
	s_sub_i32 s3, s6, s3
	s_add_i32 s6, s2, 1
	s_sub_i32 s7, s3, s11
	s_cmp_ge_u32 s3, s11
	s_cselect_b32 s2, s6, s2
	s_cselect_b32 s3, s7, s3
	s_add_i32 s6, s2, 1
	s_cmp_ge_u32 s3, s11
	s_mov_b32 s3, 0
	s_cselect_b32 s2, s6, s2
.LBB50_5:
	v_mov_b32_e32 v1, 0
	s_add_u32 s2, s2, 1
	s_addc_u32 s3, s3, 0
	s_mul_hi_u32 s6, s10, s2
	s_mul_i32 s3, s10, s3
	v_mad_u64_u32 v[15:16], null, s14, s15, v[0:1]
	s_mul_hi_u32 s7, s16, s14
	s_add_i32 s3, s6, s3
	s_mul_i32 s7, s7, s2
	s_mul_i32 s2, s10, s2
	s_add_i32 s3, s3, s7
	s_delay_alu instid0(SALU_CYCLE_1)
	s_lshl_b64 s[6:7], s[2:3], 2
	s_mov_b32 s2, exec_lo
	v_cmpx_gt_i64_e64 s[6:7], v[15:16]
	s_cbranch_execz .LBB50_34
; %bb.6:
	v_alignbit_b32 v19, v3, v2, 2
	v_mad_u64_u32 v[6:7], null, 0xcd9e8d57, v15, 0
	v_lshrrev_b32_e32 v20, 2, v3
	s_waitcnt vmcnt(0)
	v_dual_mov_b32 v11, v14 :: v_dual_add_nc_u32 v32, 0x8ff34781, v13
	v_mad_u64_u32 v[4:5], null, 0xd2511f53, v19, 0
	v_add_co_u32 v22, null, 0x9e3779b9, v13
	s_delay_alu instid0(VALU_DEP_3) | instskip(SKIP_1) | instid1(VALU_DEP_4)
	v_add_co_u32 v21, null, 0xbb67ae85, v11
	v_add_co_u32 v23, null, 0x3c6ef372, v13
	v_xor_b32_e32 v3, v5, v14
	v_xor3_b32 v5, v13, v7, v20
	v_add_co_u32 v24, null, 0x76cf5d0a, v11
	v_add_co_u32 v25, null, 0x32370b8f, v11
	s_delay_alu instid0(VALU_DEP_4) | instskip(NEXT) | instid1(VALU_DEP_4)
	v_xor_b32_e32 v3, v3, v16
	v_mad_u64_u32 v[7:8], null, 0xd2511f53, v5, 0
	v_add_co_u32 v26, null, 0xdaa66d2b, v13
	s_delay_alu instid0(VALU_DEP_3) | instskip(SKIP_1) | instid1(VALU_DEP_4)
	v_mad_u64_u32 v[9:10], null, 0xcd9e8d57, v3, 0
	v_add_co_u32 v27, null, 0x78dde6e4, v13
	v_xor3_b32 v5, v21, v8, v4
	v_add_co_u32 v28, null, 0xed9eba14, v11
	v_add_co_u32 v29, null, 0xa9066899, v11
	v_xor3_b32 v8, v22, v10, v6
	s_delay_alu instid0(VALU_DEP_4) | instskip(SKIP_1) | instid1(VALU_DEP_3)
	v_mad_u64_u32 v[3:4], null, 0xcd9e8d57, v5, 0
	v_add_co_u32 v30, null, 0x1715609d, v13
	v_mad_u64_u32 v[5:6], null, 0xd2511f53, v8, 0
	v_and_b32_e32 v31, 3, v2
	v_add_co_u32 v35, null, 0xb54cda56, v13
	v_xor3_b32 v4, v23, v4, v9
	v_add_co_u32 v36, null, 0x646e171e, v11
	v_xor3_b32 v10, v24, v6, v7
	v_add_co_u32 v34, null, 0x5384540f, v13
	s_delay_alu instid0(VALU_DEP_4) | instskip(NEXT) | instid1(VALU_DEP_3)
	v_mad_u64_u32 v[6:7], null, 0xd2511f53, v4, 0
	v_mad_u64_u32 v[8:9], null, 0xcd9e8d57, v10, 0
	v_add_co_u32 v38, null, 0x1fd5c5a3, v11
	s_clause 0x1
	s_load_b64 s[8:9], s[0:1], 0x30
	s_load_b32 s17, s[0:1], 0x38
	v_add_co_u32 v37, null, 0xf1bbcdc8, v13
	s_delay_alu instid0(VALU_DEP_4) | instskip(NEXT) | instid1(VALU_DEP_4)
	v_xor3_b32 v5, v25, v7, v5
	v_xor3_b32 v7, v26, v9, v3
	v_add_co_u32 v40, null, 0xdb3d7428, v11
	s_load_b128 s[0:3], s[0:1], 0x40
	s_delay_alu instid0(VALU_DEP_3) | instskip(NEXT) | instid1(VALU_DEP_3)
	v_mad_u64_u32 v[3:4], null, 0xcd9e8d57, v5, 0
	v_mad_u64_u32 v[9:10], null, 0xd2511f53, v7, 0
	s_mul_i32 s18, s16, 3
	s_lshl_b32 s19, s16, 1
	s_add_i32 s20, s15, s16
	s_add_i32 s18, s15, s18
	s_delay_alu instid0(VALU_DEP_2) | instskip(SKIP_1) | instid1(VALU_DEP_3)
	v_xor3_b32 v7, v27, v4, v8
	v_mad_u64_u32 v[11:12], null, s20, s14, v[0:1]
	v_xor3_b32 v8, v28, v10, v6
	v_mad_u64_u32 v[17:18], null, s18, s14, v[0:1]
	s_delay_alu instid0(VALU_DEP_4) | instskip(NEXT) | instid1(VALU_DEP_3)
	v_mad_u64_u32 v[4:5], null, 0xd2511f53, v7, 0
	v_mad_u64_u32 v[6:7], null, 0xcd9e8d57, v8, 0
	v_add_nc_u32_e32 v33, 0x96a522ad, v14
	s_waitcnt lgkmcnt(0)
	v_mul_lo_u32 v44, s17, v11
	v_mul_lo_u32 v42, s17, v17
	v_mov_b32_e32 v39, v15
	v_xor3_b32 v5, v29, v5, v9
	v_mov_b32_e32 v45, v16
	v_xor3_b32 v9, v30, v7, v3
	s_mov_b32 s12, 0
	s_lshl_b32 s13, s10, 1
	v_mad_u64_u32 v[2:3], null, 0xcd9e8d57, v5, 0
	s_delay_alu instid0(VALU_DEP_2) | instskip(NEXT) | instid1(VALU_DEP_2)
	v_mad_u64_u32 v[7:8], null, 0xd2511f53, v9, 0
	v_xor3_b32 v9, v35, v3, v6
	v_mad_u64_u32 v[5:6], null, s15, s14, v[0:1]
	s_delay_alu instid0(VALU_DEP_3) | instskip(SKIP_1) | instid1(VALU_DEP_3)
	v_xor3_b32 v10, v36, v8, v4
	s_add_i32 s15, s15, s19
	v_mad_u64_u32 v[3:4], null, 0xd2511f53, v9, 0
	s_delay_alu instid0(VALU_DEP_2) | instskip(NEXT) | instid1(VALU_DEP_4)
	v_mad_u64_u32 v[8:9], null, 0xcd9e8d57, v10, 0
	v_mul_lo_u32 v41, s17, v5
	s_delay_alu instid0(VALU_DEP_3) | instskip(NEXT) | instid1(VALU_DEP_3)
	v_xor3_b32 v4, v38, v4, v7
	v_xor3_b32 v2, v34, v9, v2
	s_delay_alu instid0(VALU_DEP_2) | instskip(NEXT) | instid1(VALU_DEP_2)
	v_mad_u64_u32 v[6:7], null, 0xcd9e8d57, v4, 0
	v_mad_u64_u32 v[9:10], null, 0xd2511f53, v2, 0
	s_delay_alu instid0(VALU_DEP_2) | instskip(NEXT) | instid1(VALU_DEP_2)
	v_xor3_b32 v4, v37, v7, v8
	v_xor3_b32 v10, v40, v10, v3
	v_mad_u64_u32 v[2:3], null, s15, s14, v[0:1]
	s_delay_alu instid0(VALU_DEP_3) | instskip(NEXT) | instid1(VALU_DEP_3)
	v_mad_u64_u32 v[7:8], null, 0xd2511f53, v4, 0
	v_mad_u64_u32 v[3:4], null, 0xcd9e8d57, v10, 0
	s_mul_i32 s15, s16, s17
	s_mov_b32 s16, 0
	s_delay_alu instid0(VALU_DEP_3) | instskip(SKIP_1) | instid1(VALU_DEP_3)
	v_mul_lo_u32 v43, s17, v2
	s_mul_i32 s15, s15, s14
	v_mov_b32_e32 v5, v7
	s_mul_i32 s14, s10, 3
	s_delay_alu instid0(VALU_DEP_3)
	v_xor3_b32 v2, v4, v6, v32
	v_xor3_b32 v4, v8, v9, v33
	s_lshl_b32 s15, s15, 2
	s_branch .LBB50_9
.LBB50_7:                               ;   in Loop: Header=BB50_9 Depth=1
	s_or_b32 exec_lo, exec_lo, s18
	v_add_nc_u32_e32 v2, s16, v42
	s_delay_alu instid0(VALU_DEP_1) | instskip(SKIP_1) | instid1(VALU_DEP_2)
	v_ashrrev_i32_e32 v3, 31, v2
	v_add_co_u32 v2, vcc_lo, s8, v2
	v_add_co_ci_u32_e32 v3, vcc_lo, s9, v3, vcc_lo
	v_add_co_u32 v4, vcc_lo, v0, s2
	v_add_co_ci_u32_e32 v5, vcc_lo, s3, v1, vcc_lo
	global_store_b64 v[2:3], v[4:5], off
.LBB50_8:                               ;   in Loop: Header=BB50_9 Depth=1
	s_or_b32 exec_lo, exec_lo, s17
	v_add_co_u32 v15, vcc_lo, v15, s11
	v_add_co_ci_u32_e32 v16, vcc_lo, 0, v16, vcc_lo
	v_mov_b32_e32 v9, v17
	v_dual_mov_b32 v2, v6 :: v_dual_mov_b32 v3, v7
	s_delay_alu instid0(VALU_DEP_3) | instskip(NEXT) | instid1(VALU_DEP_3)
	v_cmp_le_i64_e32 vcc_lo, s[6:7], v[15:16]
	v_dual_mov_b32 v4, v8 :: v_dual_mov_b32 v5, v9
	s_add_i32 s16, s16, s15
	s_waitcnt_vscnt null, 0x0
	s_barrier
	s_or_b32 s12, vcc_lo, s12
	buffer_gl0_inv
	s_and_not1_b32 exec_lo, exec_lo, s12
	s_cbranch_execz .LBB50_34
.LBB50_9:                               ; =>This Inner Loop Header: Depth=1
	v_add_co_u32 v19, vcc_lo, v19, 1
	s_delay_alu instid0(VALU_DEP_1) | instskip(SKIP_1) | instid1(VALU_DEP_3)
	v_cndmask_b32_e64 v0, 0, 1, vcc_lo
	v_add_co_ci_u32_e32 v20, vcc_lo, 0, v20, vcc_lo
	v_mad_u64_u32 v[6:7], null, 0xd2511f53, v19, 0
	s_mov_b32 s17, exec_lo
	s_delay_alu instid0(VALU_DEP_2) | instskip(SKIP_1) | instid1(VALU_DEP_1)
	v_cmp_eq_u32_e32 vcc_lo, 0, v20
	v_cndmask_b32_e32 v0, 0, v0, vcc_lo
	v_add_nc_u32_e32 v39, v0, v39
	s_delay_alu instid0(VALU_DEP_1) | instskip(SKIP_2) | instid1(VALU_DEP_2)
	v_cmp_eq_u32_e32 vcc_lo, 0, v39
	v_cndmask_b32_e32 v0, 0, v0, vcc_lo
	v_mad_u64_u32 v[8:9], null, 0xcd9e8d57, v39, 0
	v_add_nc_u32_e32 v45, v0, v45
	v_xor_b32_e32 v0, v7, v14
	s_delay_alu instid0(VALU_DEP_3) | instskip(NEXT) | instid1(VALU_DEP_2)
	v_xor3_b32 v7, v9, v13, v20
	v_xor_b32_e32 v0, v45, v0
	s_delay_alu instid0(VALU_DEP_2) | instskip(NEXT) | instid1(VALU_DEP_2)
	v_mad_u64_u32 v[9:10], null, 0xd2511f53, v7, 0
	v_mad_u64_u32 v[11:12], null, 0xcd9e8d57, v0, 0
	s_delay_alu instid0(VALU_DEP_2) | instskip(NEXT) | instid1(VALU_DEP_2)
	v_xor3_b32 v0, v21, v10, v6
	v_xor3_b32 v8, v22, v12, v8
	s_delay_alu instid0(VALU_DEP_2) | instskip(NEXT) | instid1(VALU_DEP_2)
	v_mad_u64_u32 v[6:7], null, 0xcd9e8d57, v0, 0
	v_mad_u64_u32 v[17:18], null, 0xd2511f53, v8, 0
	s_delay_alu instid0(VALU_DEP_2) | instskip(NEXT) | instid1(VALU_DEP_2)
	v_xor3_b32 v0, v23, v7, v11
	v_xor3_b32 v11, v24, v18, v9
	s_delay_alu instid0(VALU_DEP_2) | instskip(NEXT) | instid1(VALU_DEP_2)
	v_mad_u64_u32 v[7:8], null, 0xd2511f53, v0, 0
	v_mad_u64_u32 v[9:10], null, 0xcd9e8d57, v11, 0
	s_delay_alu instid0(VALU_DEP_2) | instskip(NEXT) | instid1(VALU_DEP_2)
	v_xor3_b32 v0, v25, v8, v17
	v_xor3_b32 v6, v26, v10, v6
	s_delay_alu instid0(VALU_DEP_2) | instskip(NEXT) | instid1(VALU_DEP_2)
	v_mad_u64_u32 v[10:11], null, 0xcd9e8d57, v0, 0
	v_mad_u64_u32 v[17:18], null, 0xd2511f53, v6, 0
	s_delay_alu instid0(VALU_DEP_2) | instskip(NEXT) | instid1(VALU_DEP_2)
	v_xor3_b32 v0, v27, v11, v9
	v_xor3_b32 v11, v28, v18, v7
	s_delay_alu instid0(VALU_DEP_2) | instskip(NEXT) | instid1(VALU_DEP_2)
	v_mad_u64_u32 v[6:7], null, 0xd2511f53, v0, 0
	v_mad_u64_u32 v[8:9], null, 0xcd9e8d57, v11, 0
	s_delay_alu instid0(VALU_DEP_2) | instskip(NEXT) | instid1(VALU_DEP_2)
	v_xor3_b32 v0, v29, v7, v17
	v_xor3_b32 v7, v30, v9, v10
	s_delay_alu instid0(VALU_DEP_2) | instskip(NEXT) | instid1(VALU_DEP_2)
	v_mad_u64_u32 v[9:10], null, 0xcd9e8d57, v0, 0
	v_mad_u64_u32 v[11:12], null, 0xd2511f53, v7, 0
	s_delay_alu instid0(VALU_DEP_2) | instskip(NEXT) | instid1(VALU_DEP_2)
	v_xor3_b32 v0, v35, v10, v8
	v_xor3_b32 v8, v36, v12, v6
	s_delay_alu instid0(VALU_DEP_2) | instskip(NEXT) | instid1(VALU_DEP_2)
	v_mad_u64_u32 v[6:7], null, 0xd2511f53, v0, 0
	v_mad_u64_u32 v[17:18], null, 0xcd9e8d57, v8, 0
	s_delay_alu instid0(VALU_DEP_2) | instskip(NEXT) | instid1(VALU_DEP_2)
	v_xor3_b32 v0, v38, v7, v11
	v_xor3_b32 v7, v34, v18, v9
	s_delay_alu instid0(VALU_DEP_2) | instskip(NEXT) | instid1(VALU_DEP_2)
	v_mad_u64_u32 v[9:10], null, 0xcd9e8d57, v0, 0
	v_mad_u64_u32 v[11:12], null, 0xd2511f53, v7, 0
	s_delay_alu instid0(VALU_DEP_2) | instskip(NEXT) | instid1(VALU_DEP_2)
	v_xor3_b32 v0, v37, v10, v17
	v_xor3_b32 v6, v40, v12, v6
	s_delay_alu instid0(VALU_DEP_2) | instskip(NEXT) | instid1(VALU_DEP_2)
	v_mad_u64_u32 v[17:18], null, 0xd2511f53, v0, 0
	v_mad_u64_u32 v[7:8], null, 0xcd9e8d57, v6, 0
	s_delay_alu instid0(VALU_DEP_2) | instskip(NEXT) | instid1(VALU_DEP_2)
	v_xor3_b32 v12, v18, v11, v33
	v_xor3_b32 v6, v8, v9, v32
	s_delay_alu instid0(VALU_DEP_2)
	v_mov_b32_e32 v8, v12
	v_cmpx_lt_i32_e32 1, v31
	s_xor_b32 s17, exec_lo, s17
	s_cbranch_execnz .LBB50_12
; %bb.10:                               ;   in Loop: Header=BB50_9 Depth=1
	s_and_not1_saveexec_b32 s17, s17
	s_cbranch_execnz .LBB50_17
.LBB50_11:                              ;   in Loop: Header=BB50_9 Depth=1
	s_or_b32 exec_lo, exec_lo, s17
	s_delay_alu instid0(SALU_CYCLE_1)
	s_mov_b32 s17, exec_lo
	v_cmpx_gt_i64_e64 s[4:5], v[15:16]
	s_cbranch_execnz .LBB50_20
	s_branch .LBB50_23
.LBB50_12:                              ;   in Loop: Header=BB50_9 Depth=1
	s_mov_b32 s18, exec_lo
	v_cmpx_lt_i32_e32 2, v31
	s_xor_b32 s18, exec_lo, s18
; %bb.13:                               ;   in Loop: Header=BB50_9 Depth=1
	v_dual_mov_b32 v9, v5 :: v_dual_mov_b32 v10, v6
	v_mov_b32_e32 v11, v7
	s_delay_alu instid0(VALU_DEP_2) | instskip(NEXT) | instid1(VALU_DEP_2)
	v_dual_mov_b32 v2, v9 :: v_dual_mov_b32 v3, v10
	v_dual_mov_b32 v4, v11 :: v_dual_mov_b32 v5, v12
; %bb.14:                               ;   in Loop: Header=BB50_9 Depth=1
	s_and_not1_saveexec_b32 s18, s18
; %bb.15:                               ;   in Loop: Header=BB50_9 Depth=1
	s_delay_alu instid0(VALU_DEP_1)
	v_dual_mov_b32 v2, v4 :: v_dual_mov_b32 v3, v5
	v_dual_mov_b32 v4, v6 :: v_dual_mov_b32 v5, v7
; %bb.16:                               ;   in Loop: Header=BB50_9 Depth=1
	s_or_b32 exec_lo, exec_lo, s18
	s_and_not1_saveexec_b32 s17, s17
	s_cbranch_execz .LBB50_11
.LBB50_17:                              ;   in Loop: Header=BB50_9 Depth=1
	s_mov_b32 s18, exec_lo
	v_cmpx_eq_u32_e32 1, v31
; %bb.18:                               ;   in Loop: Header=BB50_9 Depth=1
	v_dual_mov_b32 v2, v3 :: v_dual_mov_b32 v3, v4
	v_dual_mov_b32 v4, v5 :: v_dual_mov_b32 v5, v6
; %bb.19:                               ;   in Loop: Header=BB50_9 Depth=1
	s_or_b32 exec_lo, exec_lo, s18
	s_delay_alu instid0(SALU_CYCLE_1) | instskip(NEXT) | instid1(SALU_CYCLE_1)
	s_or_b32 exec_lo, exec_lo, s17
	s_mov_b32 s17, exec_lo
	v_cmpx_gt_i64_e64 s[4:5], v[15:16]
	s_cbranch_execz .LBB50_23
.LBB50_20:                              ;   in Loop: Header=BB50_9 Depth=1
	v_mov_b32_e32 v0, v2
	s_mov_b32 s18, exec_lo
	s_delay_alu instid0(VALU_DEP_1)
	v_cmpx_le_u64_e64 s[0:1], v[0:1]
	s_cbranch_execz .LBB50_22
; %bb.21:                               ;   in Loop: Header=BB50_9 Depth=1
	v_cvt_f32_u32_e32 v2, s0
	s_sub_i32 s19, 0, s0
	s_delay_alu instid0(VALU_DEP_1) | instskip(SKIP_2) | instid1(VALU_DEP_1)
	v_rcp_iflag_f32_e32 v2, v2
	s_waitcnt_depctr 0xfff
	v_mul_f32_e32 v2, 0x4f7ffffe, v2
	v_cvt_u32_f32_e32 v2, v2
	s_delay_alu instid0(VALU_DEP_1) | instskip(NEXT) | instid1(VALU_DEP_1)
	v_mul_lo_u32 v9, s19, v2
	v_mul_hi_u32 v9, v2, v9
	s_delay_alu instid0(VALU_DEP_1) | instskip(NEXT) | instid1(VALU_DEP_1)
	v_add_nc_u32_e32 v2, v2, v9
	v_mul_hi_u32 v2, v0, v2
	s_delay_alu instid0(VALU_DEP_1) | instskip(NEXT) | instid1(VALU_DEP_1)
	v_mul_lo_u32 v2, v2, s0
	v_sub_nc_u32_e32 v0, v0, v2
	s_delay_alu instid0(VALU_DEP_1) | instskip(SKIP_1) | instid1(VALU_DEP_2)
	v_subrev_nc_u32_e32 v2, s0, v0
	v_cmp_le_u32_e32 vcc_lo, s0, v0
	v_cndmask_b32_e32 v0, v0, v2, vcc_lo
	s_delay_alu instid0(VALU_DEP_1) | instskip(SKIP_1) | instid1(VALU_DEP_2)
	v_subrev_nc_u32_e32 v2, s0, v0
	v_cmp_le_u32_e32 vcc_lo, s0, v0
	v_cndmask_b32_e32 v0, v0, v2, vcc_lo
.LBB50_22:                              ;   in Loop: Header=BB50_9 Depth=1
	s_or_b32 exec_lo, exec_lo, s18
	v_add_nc_u32_e32 v2, s16, v41
	s_delay_alu instid0(VALU_DEP_1) | instskip(SKIP_1) | instid1(VALU_DEP_2)
	v_ashrrev_i32_e32 v10, 31, v2
	v_add_co_u32 v9, vcc_lo, s8, v2
	v_add_co_ci_u32_e32 v10, vcc_lo, s9, v10, vcc_lo
	v_add_co_u32 v11, vcc_lo, v0, s2
	v_add_co_ci_u32_e32 v12, vcc_lo, s3, v1, vcc_lo
	global_store_b64 v[9:10], v[11:12], off
.LBB50_23:                              ;   in Loop: Header=BB50_9 Depth=1
	s_or_b32 exec_lo, exec_lo, s17
	v_add_co_u32 v9, vcc_lo, s10, v15
	v_add_co_ci_u32_e32 v10, vcc_lo, 0, v16, vcc_lo
	s_mov_b32 s17, exec_lo
	s_delay_alu instid0(VALU_DEP_1)
	v_cmpx_gt_i64_e64 s[4:5], v[9:10]
	s_cbranch_execz .LBB50_27
; %bb.24:                               ;   in Loop: Header=BB50_9 Depth=1
	v_mov_b32_e32 v0, v3
	s_mov_b32 s18, exec_lo
	s_delay_alu instid0(VALU_DEP_1)
	v_cmpx_le_u64_e64 s[0:1], v[0:1]
	s_cbranch_execz .LBB50_26
; %bb.25:                               ;   in Loop: Header=BB50_9 Depth=1
	v_cvt_f32_u32_e32 v2, s0
	s_sub_i32 s19, 0, s0
	s_delay_alu instid0(VALU_DEP_1) | instskip(SKIP_2) | instid1(VALU_DEP_1)
	v_rcp_iflag_f32_e32 v2, v2
	s_waitcnt_depctr 0xfff
	v_mul_f32_e32 v2, 0x4f7ffffe, v2
	v_cvt_u32_f32_e32 v2, v2
	s_delay_alu instid0(VALU_DEP_1) | instskip(NEXT) | instid1(VALU_DEP_1)
	v_mul_lo_u32 v3, s19, v2
	v_mul_hi_u32 v3, v2, v3
	s_delay_alu instid0(VALU_DEP_1) | instskip(NEXT) | instid1(VALU_DEP_1)
	v_add_nc_u32_e32 v2, v2, v3
	v_mul_hi_u32 v2, v0, v2
	s_delay_alu instid0(VALU_DEP_1) | instskip(NEXT) | instid1(VALU_DEP_1)
	v_mul_lo_u32 v2, v2, s0
	v_sub_nc_u32_e32 v0, v0, v2
	s_delay_alu instid0(VALU_DEP_1) | instskip(SKIP_1) | instid1(VALU_DEP_2)
	v_subrev_nc_u32_e32 v2, s0, v0
	v_cmp_le_u32_e32 vcc_lo, s0, v0
	v_cndmask_b32_e32 v0, v0, v2, vcc_lo
	s_delay_alu instid0(VALU_DEP_1) | instskip(SKIP_1) | instid1(VALU_DEP_2)
	v_subrev_nc_u32_e32 v2, s0, v0
	v_cmp_le_u32_e32 vcc_lo, s0, v0
	v_cndmask_b32_e32 v0, v0, v2, vcc_lo
.LBB50_26:                              ;   in Loop: Header=BB50_9 Depth=1
	s_or_b32 exec_lo, exec_lo, s18
	v_add_nc_u32_e32 v2, s16, v44
	s_delay_alu instid0(VALU_DEP_1) | instskip(SKIP_1) | instid1(VALU_DEP_2)
	v_ashrrev_i32_e32 v3, 31, v2
	v_add_co_u32 v2, vcc_lo, s8, v2
	v_add_co_ci_u32_e32 v3, vcc_lo, s9, v3, vcc_lo
	v_add_co_u32 v9, vcc_lo, v0, s2
	v_add_co_ci_u32_e32 v10, vcc_lo, s3, v1, vcc_lo
	global_store_b64 v[2:3], v[9:10], off
.LBB50_27:                              ;   in Loop: Header=BB50_9 Depth=1
	s_or_b32 exec_lo, exec_lo, s17
	v_add_co_u32 v2, vcc_lo, s13, v15
	v_add_co_ci_u32_e32 v3, vcc_lo, 0, v16, vcc_lo
	s_mov_b32 s17, exec_lo
	s_delay_alu instid0(VALU_DEP_1)
	v_cmpx_gt_i64_e64 s[4:5], v[2:3]
	s_cbranch_execz .LBB50_31
; %bb.28:                               ;   in Loop: Header=BB50_9 Depth=1
	v_mov_b32_e32 v0, v4
	s_mov_b32 s18, exec_lo
	s_delay_alu instid0(VALU_DEP_1)
	v_cmpx_le_u64_e64 s[0:1], v[0:1]
	s_cbranch_execz .LBB50_30
; %bb.29:                               ;   in Loop: Header=BB50_9 Depth=1
	v_cvt_f32_u32_e32 v2, s0
	s_sub_i32 s19, 0, s0
	s_delay_alu instid0(VALU_DEP_1) | instskip(SKIP_2) | instid1(VALU_DEP_1)
	v_rcp_iflag_f32_e32 v2, v2
	s_waitcnt_depctr 0xfff
	v_mul_f32_e32 v2, 0x4f7ffffe, v2
	v_cvt_u32_f32_e32 v2, v2
	s_delay_alu instid0(VALU_DEP_1) | instskip(NEXT) | instid1(VALU_DEP_1)
	v_mul_lo_u32 v3, s19, v2
	v_mul_hi_u32 v3, v2, v3
	s_delay_alu instid0(VALU_DEP_1) | instskip(NEXT) | instid1(VALU_DEP_1)
	v_add_nc_u32_e32 v2, v2, v3
	v_mul_hi_u32 v2, v0, v2
	s_delay_alu instid0(VALU_DEP_1) | instskip(NEXT) | instid1(VALU_DEP_1)
	v_mul_lo_u32 v2, v2, s0
	v_sub_nc_u32_e32 v0, v0, v2
	s_delay_alu instid0(VALU_DEP_1) | instskip(SKIP_1) | instid1(VALU_DEP_2)
	v_subrev_nc_u32_e32 v2, s0, v0
	v_cmp_le_u32_e32 vcc_lo, s0, v0
	v_cndmask_b32_e32 v0, v0, v2, vcc_lo
	s_delay_alu instid0(VALU_DEP_1) | instskip(SKIP_1) | instid1(VALU_DEP_2)
	v_subrev_nc_u32_e32 v2, s0, v0
	v_cmp_le_u32_e32 vcc_lo, s0, v0
	v_cndmask_b32_e32 v0, v0, v2, vcc_lo
.LBB50_30:                              ;   in Loop: Header=BB50_9 Depth=1
	s_or_b32 exec_lo, exec_lo, s18
	v_add_nc_u32_e32 v2, s16, v43
	s_delay_alu instid0(VALU_DEP_1) | instskip(SKIP_1) | instid1(VALU_DEP_2)
	v_ashrrev_i32_e32 v3, 31, v2
	v_add_co_u32 v2, vcc_lo, s8, v2
	v_add_co_ci_u32_e32 v3, vcc_lo, s9, v3, vcc_lo
	v_add_co_u32 v9, vcc_lo, v0, s2
	v_add_co_ci_u32_e32 v10, vcc_lo, s3, v1, vcc_lo
	global_store_b64 v[2:3], v[9:10], off
.LBB50_31:                              ;   in Loop: Header=BB50_9 Depth=1
	s_or_b32 exec_lo, exec_lo, s17
	v_add_co_u32 v2, vcc_lo, s14, v15
	v_add_co_ci_u32_e32 v3, vcc_lo, 0, v16, vcc_lo
	s_mov_b32 s17, exec_lo
	s_delay_alu instid0(VALU_DEP_1)
	v_cmpx_gt_i64_e64 s[4:5], v[2:3]
	s_cbranch_execz .LBB50_8
; %bb.32:                               ;   in Loop: Header=BB50_9 Depth=1
	v_mov_b32_e32 v0, v5
	s_mov_b32 s18, exec_lo
	s_delay_alu instid0(VALU_DEP_1)
	v_cmpx_le_u64_e64 s[0:1], v[0:1]
	s_cbranch_execz .LBB50_7
; %bb.33:                               ;   in Loop: Header=BB50_9 Depth=1
	v_cvt_f32_u32_e32 v2, s0
	s_sub_i32 s19, 0, s0
	s_delay_alu instid0(VALU_DEP_1) | instskip(SKIP_2) | instid1(VALU_DEP_1)
	v_rcp_iflag_f32_e32 v2, v2
	s_waitcnt_depctr 0xfff
	v_mul_f32_e32 v2, 0x4f7ffffe, v2
	v_cvt_u32_f32_e32 v2, v2
	s_delay_alu instid0(VALU_DEP_1) | instskip(NEXT) | instid1(VALU_DEP_1)
	v_mul_lo_u32 v3, s19, v2
	v_mul_hi_u32 v3, v2, v3
	s_delay_alu instid0(VALU_DEP_1) | instskip(NEXT) | instid1(VALU_DEP_1)
	v_add_nc_u32_e32 v2, v2, v3
	v_mul_hi_u32 v2, v0, v2
	s_delay_alu instid0(VALU_DEP_1) | instskip(NEXT) | instid1(VALU_DEP_1)
	v_mul_lo_u32 v2, v2, s0
	v_sub_nc_u32_e32 v0, v0, v2
	s_delay_alu instid0(VALU_DEP_1) | instskip(SKIP_1) | instid1(VALU_DEP_2)
	v_subrev_nc_u32_e32 v2, s0, v0
	v_cmp_le_u32_e32 vcc_lo, s0, v0
	v_cndmask_b32_e32 v0, v0, v2, vcc_lo
	s_delay_alu instid0(VALU_DEP_1) | instskip(SKIP_1) | instid1(VALU_DEP_2)
	v_subrev_nc_u32_e32 v2, s0, v0
	v_cmp_le_u32_e32 vcc_lo, s0, v0
	v_cndmask_b32_e32 v0, v0, v2, vcc_lo
	s_branch .LBB50_7
.LBB50_34:
	s_endpgm
.LBB50_35:
                                        ; implicit-def: $sgpr2_sgpr3
	s_branch .LBB50_4
	.section	.rodata,"a",@progbits
	.p2align	6, 0x0
	.amdhsa_kernel _ZN2at6native12_GLOBAL__N_143distribution_elementwise_grid_stride_kernelIjLi4EZZZNS0_9templates4cuda21random_from_to_kernelIPNS_17CUDAGeneratorImplEEEvRNS_18TensorIteratorBaseEmlT_ENKUlvE_clEvENKUlvE11_clEvEUlP25hiprandStatePhilox4_32_10E0_ZNS1_27distribution_nullary_kernelImj15HIP_vector_typeIjLj4EES7_SF_ZZZNS5_IS7_EEvS9_mlSA_ENKSB_clEvENKSC_clEvEUljE_EEvS9_T2_RKT3_T4_EUlijE_EEvlNS_15PhiloxCudaStateET1_SK_
		.amdhsa_group_segment_fixed_size 0
		.amdhsa_private_segment_fixed_size 0
		.amdhsa_kernarg_size 336
		.amdhsa_user_sgpr_count 15
		.amdhsa_user_sgpr_dispatch_ptr 0
		.amdhsa_user_sgpr_queue_ptr 0
		.amdhsa_user_sgpr_kernarg_segment_ptr 1
		.amdhsa_user_sgpr_dispatch_id 0
		.amdhsa_user_sgpr_private_segment_size 0
		.amdhsa_wavefront_size32 1
		.amdhsa_uses_dynamic_stack 0
		.amdhsa_enable_private_segment 0
		.amdhsa_system_sgpr_workgroup_id_x 1
		.amdhsa_system_sgpr_workgroup_id_y 0
		.amdhsa_system_sgpr_workgroup_id_z 0
		.amdhsa_system_sgpr_workgroup_info 0
		.amdhsa_system_vgpr_workitem_id 0
		.amdhsa_next_free_vgpr 46
		.amdhsa_next_free_sgpr 23
		.amdhsa_reserve_vcc 1
		.amdhsa_float_round_mode_32 0
		.amdhsa_float_round_mode_16_64 0
		.amdhsa_float_denorm_mode_32 3
		.amdhsa_float_denorm_mode_16_64 3
		.amdhsa_dx10_clamp 1
		.amdhsa_ieee_mode 1
		.amdhsa_fp16_overflow 0
		.amdhsa_workgroup_processor_mode 1
		.amdhsa_memory_ordered 1
		.amdhsa_forward_progress 0
		.amdhsa_shared_vgpr_count 0
		.amdhsa_exception_fp_ieee_invalid_op 0
		.amdhsa_exception_fp_denorm_src 0
		.amdhsa_exception_fp_ieee_div_zero 0
		.amdhsa_exception_fp_ieee_overflow 0
		.amdhsa_exception_fp_ieee_underflow 0
		.amdhsa_exception_fp_ieee_inexact 0
		.amdhsa_exception_int_div_zero 0
	.end_amdhsa_kernel
	.section	.text._ZN2at6native12_GLOBAL__N_143distribution_elementwise_grid_stride_kernelIjLi4EZZZNS0_9templates4cuda21random_from_to_kernelIPNS_17CUDAGeneratorImplEEEvRNS_18TensorIteratorBaseEmlT_ENKUlvE_clEvENKUlvE11_clEvEUlP25hiprandStatePhilox4_32_10E0_ZNS1_27distribution_nullary_kernelImj15HIP_vector_typeIjLj4EES7_SF_ZZZNS5_IS7_EEvS9_mlSA_ENKSB_clEvENKSC_clEvEUljE_EEvS9_T2_RKT3_T4_EUlijE_EEvlNS_15PhiloxCudaStateET1_SK_,"axG",@progbits,_ZN2at6native12_GLOBAL__N_143distribution_elementwise_grid_stride_kernelIjLi4EZZZNS0_9templates4cuda21random_from_to_kernelIPNS_17CUDAGeneratorImplEEEvRNS_18TensorIteratorBaseEmlT_ENKUlvE_clEvENKUlvE11_clEvEUlP25hiprandStatePhilox4_32_10E0_ZNS1_27distribution_nullary_kernelImj15HIP_vector_typeIjLj4EES7_SF_ZZZNS5_IS7_EEvS9_mlSA_ENKSB_clEvENKSC_clEvEUljE_EEvS9_T2_RKT3_T4_EUlijE_EEvlNS_15PhiloxCudaStateET1_SK_,comdat
.Lfunc_end50:
	.size	_ZN2at6native12_GLOBAL__N_143distribution_elementwise_grid_stride_kernelIjLi4EZZZNS0_9templates4cuda21random_from_to_kernelIPNS_17CUDAGeneratorImplEEEvRNS_18TensorIteratorBaseEmlT_ENKUlvE_clEvENKUlvE11_clEvEUlP25hiprandStatePhilox4_32_10E0_ZNS1_27distribution_nullary_kernelImj15HIP_vector_typeIjLj4EES7_SF_ZZZNS5_IS7_EEvS9_mlSA_ENKSB_clEvENKSC_clEvEUljE_EEvS9_T2_RKT3_T4_EUlijE_EEvlNS_15PhiloxCudaStateET1_SK_, .Lfunc_end50-_ZN2at6native12_GLOBAL__N_143distribution_elementwise_grid_stride_kernelIjLi4EZZZNS0_9templates4cuda21random_from_to_kernelIPNS_17CUDAGeneratorImplEEEvRNS_18TensorIteratorBaseEmlT_ENKUlvE_clEvENKUlvE11_clEvEUlP25hiprandStatePhilox4_32_10E0_ZNS1_27distribution_nullary_kernelImj15HIP_vector_typeIjLj4EES7_SF_ZZZNS5_IS7_EEvS9_mlSA_ENKSB_clEvENKSC_clEvEUljE_EEvS9_T2_RKT3_T4_EUlijE_EEvlNS_15PhiloxCudaStateET1_SK_
                                        ; -- End function
	.section	.AMDGPU.csdata,"",@progbits
; Kernel info:
; codeLenInByte = 3440
; NumSgprs: 25
; NumVgprs: 46
; ScratchSize: 0
; MemoryBound: 0
; FloatMode: 240
; IeeeMode: 1
; LDSByteSize: 0 bytes/workgroup (compile time only)
; SGPRBlocks: 3
; VGPRBlocks: 5
; NumSGPRsForWavesPerEU: 25
; NumVGPRsForWavesPerEU: 46
; Occupancy: 16
; WaveLimiterHint : 0
; COMPUTE_PGM_RSRC2:SCRATCH_EN: 0
; COMPUTE_PGM_RSRC2:USER_SGPR: 15
; COMPUTE_PGM_RSRC2:TRAP_HANDLER: 0
; COMPUTE_PGM_RSRC2:TGID_X_EN: 1
; COMPUTE_PGM_RSRC2:TGID_Y_EN: 0
; COMPUTE_PGM_RSRC2:TGID_Z_EN: 0
; COMPUTE_PGM_RSRC2:TIDIG_COMP_CNT: 0
	.section	.text._ZN2at6native12_GLOBAL__N_143distribution_elementwise_grid_stride_kernelIjLi4EZZZNS0_9templates4cuda21random_from_to_kernelIPNS_17CUDAGeneratorImplEEEvRNS_18TensorIteratorBaseEmlT_ENKUlvE_clEvENKUlvE11_clEvEUlP25hiprandStatePhilox4_32_10E0_ZNS1_27distribution_nullary_kernelImj15HIP_vector_typeIjLj4EES7_SF_ZZZNS5_IS7_EEvS9_mlSA_ENKSB_clEvENKSC_clEvEUljE_EEvS9_T2_RKT3_T4_EUlijE0_EEvlNS_15PhiloxCudaStateET1_SK_,"axG",@progbits,_ZN2at6native12_GLOBAL__N_143distribution_elementwise_grid_stride_kernelIjLi4EZZZNS0_9templates4cuda21random_from_to_kernelIPNS_17CUDAGeneratorImplEEEvRNS_18TensorIteratorBaseEmlT_ENKUlvE_clEvENKUlvE11_clEvEUlP25hiprandStatePhilox4_32_10E0_ZNS1_27distribution_nullary_kernelImj15HIP_vector_typeIjLj4EES7_SF_ZZZNS5_IS7_EEvS9_mlSA_ENKSB_clEvENKSC_clEvEUljE_EEvS9_T2_RKT3_T4_EUlijE0_EEvlNS_15PhiloxCudaStateET1_SK_,comdat
	.globl	_ZN2at6native12_GLOBAL__N_143distribution_elementwise_grid_stride_kernelIjLi4EZZZNS0_9templates4cuda21random_from_to_kernelIPNS_17CUDAGeneratorImplEEEvRNS_18TensorIteratorBaseEmlT_ENKUlvE_clEvENKUlvE11_clEvEUlP25hiprandStatePhilox4_32_10E0_ZNS1_27distribution_nullary_kernelImj15HIP_vector_typeIjLj4EES7_SF_ZZZNS5_IS7_EEvS9_mlSA_ENKSB_clEvENKSC_clEvEUljE_EEvS9_T2_RKT3_T4_EUlijE0_EEvlNS_15PhiloxCudaStateET1_SK_ ; -- Begin function _ZN2at6native12_GLOBAL__N_143distribution_elementwise_grid_stride_kernelIjLi4EZZZNS0_9templates4cuda21random_from_to_kernelIPNS_17CUDAGeneratorImplEEEvRNS_18TensorIteratorBaseEmlT_ENKUlvE_clEvENKUlvE11_clEvEUlP25hiprandStatePhilox4_32_10E0_ZNS1_27distribution_nullary_kernelImj15HIP_vector_typeIjLj4EES7_SF_ZZZNS5_IS7_EEvS9_mlSA_ENKSB_clEvENKSC_clEvEUljE_EEvS9_T2_RKT3_T4_EUlijE0_EEvlNS_15PhiloxCudaStateET1_SK_
	.p2align	8
	.type	_ZN2at6native12_GLOBAL__N_143distribution_elementwise_grid_stride_kernelIjLi4EZZZNS0_9templates4cuda21random_from_to_kernelIPNS_17CUDAGeneratorImplEEEvRNS_18TensorIteratorBaseEmlT_ENKUlvE_clEvENKUlvE11_clEvEUlP25hiprandStatePhilox4_32_10E0_ZNS1_27distribution_nullary_kernelImj15HIP_vector_typeIjLj4EES7_SF_ZZZNS5_IS7_EEvS9_mlSA_ENKSB_clEvENKSC_clEvEUljE_EEvS9_T2_RKT3_T4_EUlijE0_EEvlNS_15PhiloxCudaStateET1_SK_,@function
_ZN2at6native12_GLOBAL__N_143distribution_elementwise_grid_stride_kernelIjLi4EZZZNS0_9templates4cuda21random_from_to_kernelIPNS_17CUDAGeneratorImplEEEvRNS_18TensorIteratorBaseEmlT_ENKUlvE_clEvENKUlvE11_clEvEUlP25hiprandStatePhilox4_32_10E0_ZNS1_27distribution_nullary_kernelImj15HIP_vector_typeIjLj4EES7_SF_ZZZNS5_IS7_EEvS9_mlSA_ENKSB_clEvENKSC_clEvEUljE_EEvS9_T2_RKT3_T4_EUlijE0_EEvlNS_15PhiloxCudaStateET1_SK_: ; @_ZN2at6native12_GLOBAL__N_143distribution_elementwise_grid_stride_kernelIjLi4EZZZNS0_9templates4cuda21random_from_to_kernelIPNS_17CUDAGeneratorImplEEEvRNS_18TensorIteratorBaseEmlT_ENKUlvE_clEvENKUlvE11_clEvEUlP25hiprandStatePhilox4_32_10E0_ZNS1_27distribution_nullary_kernelImj15HIP_vector_typeIjLj4EES7_SF_ZZZNS5_IS7_EEvS9_mlSA_ENKSB_clEvENKSC_clEvEUljE_EEvS9_T2_RKT3_T4_EUlijE0_EEvlNS_15PhiloxCudaStateET1_SK_
; %bb.0:
	s_clause 0x2
	s_load_b64 s[4:5], s[0:1], 0x10
	s_load_b128 s[16:19], s[0:1], 0x0
	s_load_b32 s2, s[0:1], 0x20
	s_waitcnt lgkmcnt(0)
	v_dual_mov_b32 v2, s4 :: v_dual_mov_b32 v3, s5
	v_dual_mov_b32 v13, s18 :: v_dual_mov_b32 v14, s19
	s_bitcmp0_b32 s2, 0
	s_mov_b32 s2, 0
	s_cbranch_scc1 .LBB51_2
; %bb.1:
	v_dual_mov_b32 v1, s4 :: v_dual_mov_b32 v2, s5
	v_dual_mov_b32 v4, s18 :: v_dual_mov_b32 v5, s19
	s_load_b64 s[4:5], s[0:1], 0x18
	flat_load_b64 v[2:3], v[1:2]
	flat_load_b64 v[13:14], v[4:5]
	s_waitcnt vmcnt(1) lgkmcnt(0)
	v_add_co_u32 v2, vcc_lo, v2, s4
	v_add_co_ci_u32_e32 v3, vcc_lo, s5, v3, vcc_lo
.LBB51_2:
	s_clause 0x1
	s_load_b32 s3, s[0:1], 0x15c
	s_load_b32 s4, s[0:1], 0x150
	s_waitcnt lgkmcnt(0)
	s_and_b32 s5, s3, 0xffff
	s_add_u32 s6, s16, -1
	s_mul_i32 s28, s4, s5
	s_addc_u32 s3, s17, -1
	s_lshl_b32 s29, s28, 2
	s_cmp_lg_u64 s[2:3], 0
	s_cbranch_scc0 .LBB51_87
; %bb.3:
	v_cvt_f32_ubyte0_e32 v1, 0
	v_cvt_f32_u32_e32 v4, s29
	s_sub_u32 s8, 0, s29
	s_subb_u32 s9, 0, 0
	s_delay_alu instid0(VALU_DEP_1) | instskip(NEXT) | instid1(VALU_DEP_1)
	v_fmamk_f32 v1, v1, 0x4f800000, v4
	v_rcp_f32_e32 v1, v1
	s_waitcnt_depctr 0xfff
	v_mul_f32_e32 v1, 0x5f7ffffc, v1
	s_delay_alu instid0(VALU_DEP_1) | instskip(NEXT) | instid1(VALU_DEP_1)
	v_mul_f32_e32 v4, 0x2f800000, v1
	v_trunc_f32_e32 v4, v4
	s_delay_alu instid0(VALU_DEP_1) | instskip(SKIP_1) | instid1(VALU_DEP_2)
	v_fmamk_f32 v1, v4, 0xcf800000, v1
	v_cvt_u32_f32_e32 v4, v4
	v_cvt_u32_f32_e32 v1, v1
	s_delay_alu instid0(VALU_DEP_2) | instskip(NEXT) | instid1(VALU_DEP_2)
	v_readfirstlane_b32 s2, v4
	v_readfirstlane_b32 s7, v1
	s_delay_alu instid0(VALU_DEP_2) | instskip(NEXT) | instid1(VALU_DEP_1)
	s_mul_i32 s10, s8, s2
	s_mul_hi_u32 s12, s8, s7
	s_mul_i32 s11, s9, s7
	s_add_i32 s10, s12, s10
	s_mul_i32 s13, s8, s7
	s_add_i32 s10, s10, s11
	s_mul_hi_u32 s12, s7, s13
	s_mul_hi_u32 s14, s2, s13
	s_mul_i32 s11, s2, s13
	s_mul_hi_u32 s13, s7, s10
	s_mul_i32 s7, s7, s10
	s_mul_hi_u32 s18, s2, s10
	s_add_u32 s7, s12, s7
	s_addc_u32 s12, 0, s13
	s_add_u32 s7, s7, s11
	s_mul_i32 s10, s2, s10
	s_addc_u32 s7, s12, s14
	s_addc_u32 s11, s18, 0
	s_add_u32 s7, s7, s10
	s_addc_u32 s10, 0, s11
	v_add_co_u32 v1, s7, v1, s7
	s_delay_alu instid0(VALU_DEP_1) | instskip(SKIP_1) | instid1(VALU_DEP_1)
	s_cmp_lg_u32 s7, 0
	s_addc_u32 s2, s2, s10
	v_readfirstlane_b32 s7, v1
	s_mul_i32 s10, s8, s2
	s_delay_alu instid0(VALU_DEP_1)
	s_mul_hi_u32 s11, s8, s7
	s_mul_i32 s9, s9, s7
	s_add_i32 s10, s11, s10
	s_mul_i32 s8, s8, s7
	s_add_i32 s10, s10, s9
	s_mul_hi_u32 s11, s2, s8
	s_mul_i32 s12, s2, s8
	s_mul_hi_u32 s8, s7, s8
	s_mul_hi_u32 s13, s7, s10
	s_mul_i32 s7, s7, s10
	s_mul_hi_u32 s9, s2, s10
	s_add_u32 s7, s8, s7
	s_addc_u32 s8, 0, s13
	s_add_u32 s7, s7, s12
	s_mul_i32 s10, s2, s10
	s_addc_u32 s7, s8, s11
	s_addc_u32 s8, s9, 0
	s_add_u32 s7, s7, s10
	s_addc_u32 s8, 0, s8
	v_add_co_u32 v1, s7, v1, s7
	s_delay_alu instid0(VALU_DEP_1) | instskip(SKIP_2) | instid1(VALU_DEP_1)
	s_cmp_lg_u32 s7, 0
	s_addc_u32 s7, s2, s8
	s_ashr_i32 s8, s3, 31
	v_readfirstlane_b32 s10, v1
	s_add_u32 s2, s6, s8
	s_mov_b32 s9, s8
	s_addc_u32 s3, s3, s8
	s_delay_alu instid0(SALU_CYCLE_1) | instskip(NEXT) | instid1(SALU_CYCLE_1)
	s_xor_b64 s[2:3], s[2:3], s[8:9]
	s_mul_i32 s12, s2, s7
	s_mul_hi_u32 s13, s2, s10
	s_mul_hi_u32 s11, s2, s7
	;; [unrolled: 1-line block ×3, first 2 shown]
	s_mul_i32 s10, s3, s10
	s_add_u32 s12, s13, s12
	s_addc_u32 s11, 0, s11
	s_mul_hi_u32 s14, s3, s7
	s_add_u32 s10, s12, s10
	s_mul_i32 s7, s3, s7
	s_addc_u32 s10, s11, s18
	s_addc_u32 s11, s14, 0
	s_add_u32 s7, s10, s7
	s_addc_u32 s10, 0, s11
	s_mul_i32 s12, s29, s7
	s_add_u32 s11, s7, 1
	v_sub_co_u32 v1, s2, s2, s12
	s_mul_hi_u32 s12, s29, s7
	s_addc_u32 s13, s10, 0
	s_mul_i32 s14, s29, s10
	s_delay_alu instid0(VALU_DEP_1)
	v_sub_co_u32 v4, s18, v1, s29
	s_add_u32 s19, s7, 2
	s_addc_u32 s20, s10, 0
	s_add_i32 s12, s12, s14
	s_cmp_lg_u32 s2, 0
	v_readfirstlane_b32 s2, v4
	s_subb_u32 s3, s3, s12
	s_cmp_lg_u32 s18, 0
	s_subb_u32 s12, s3, 0
	s_delay_alu instid0(VALU_DEP_1) | instskip(SKIP_4) | instid1(SALU_CYCLE_1)
	s_cmp_ge_u32 s2, s29
	s_cselect_b32 s2, -1, 0
	s_cmp_eq_u32 s12, 0
	v_readfirstlane_b32 s12, v1
	s_cselect_b32 s2, s2, -1
	s_cmp_lg_u32 s2, 0
	s_cselect_b32 s2, s19, s11
	s_cselect_b32 s11, s20, s13
	s_cmp_ge_u32 s12, s29
	s_cselect_b32 s12, -1, 0
	s_cmp_eq_u32 s3, 0
	s_cselect_b32 s3, s12, -1
	s_delay_alu instid0(SALU_CYCLE_1) | instskip(SKIP_2) | instid1(SALU_CYCLE_1)
	s_cmp_lg_u32 s3, 0
	s_cselect_b32 s3, s11, s10
	s_cselect_b32 s2, s2, s7
	s_xor_b64 s[2:3], s[2:3], s[8:9]
	s_delay_alu instid0(SALU_CYCLE_1)
	s_sub_u32 s2, s2, s8
	s_subb_u32 s3, s3, s8
	s_cbranch_execnz .LBB51_5
.LBB51_4:
	v_cvt_f32_u32_e32 v1, s29
	s_sub_i32 s3, 0, s29
	s_delay_alu instid0(VALU_DEP_1) | instskip(SKIP_2) | instid1(VALU_DEP_1)
	v_rcp_iflag_f32_e32 v1, v1
	s_waitcnt_depctr 0xfff
	v_mul_f32_e32 v1, 0x4f7ffffe, v1
	v_cvt_u32_f32_e32 v1, v1
	s_delay_alu instid0(VALU_DEP_1) | instskip(NEXT) | instid1(VALU_DEP_1)
	v_readfirstlane_b32 s2, v1
	s_mul_i32 s3, s3, s2
	s_delay_alu instid0(SALU_CYCLE_1) | instskip(NEXT) | instid1(SALU_CYCLE_1)
	s_mul_hi_u32 s3, s2, s3
	s_add_i32 s2, s2, s3
	s_delay_alu instid0(SALU_CYCLE_1) | instskip(NEXT) | instid1(SALU_CYCLE_1)
	s_mul_hi_u32 s2, s6, s2
	s_mul_i32 s3, s2, s29
	s_delay_alu instid0(SALU_CYCLE_1)
	s_sub_i32 s3, s6, s3
	s_add_i32 s6, s2, 1
	s_sub_i32 s7, s3, s29
	s_cmp_ge_u32 s3, s29
	s_cselect_b32 s2, s6, s2
	s_cselect_b32 s3, s7, s3
	s_add_i32 s6, s2, 1
	s_cmp_ge_u32 s3, s29
	s_mov_b32 s3, 0
	s_cselect_b32 s2, s6, s2
.LBB51_5:
	v_mov_b32_e32 v1, 0
	s_add_u32 s2, s2, 1
	s_addc_u32 s3, s3, 0
	s_mul_hi_u32 s6, s28, s2
	s_mul_i32 s3, s28, s3
	v_mad_u64_u32 v[15:16], null, s5, s15, v[0:1]
	s_mul_hi_u32 s4, s4, s5
	s_add_i32 s3, s6, s3
	s_mul_i32 s4, s4, s2
	s_mul_i32 s2, s28, s2
	s_add_i32 s3, s3, s4
	s_mov_b32 s4, exec_lo
	s_lshl_b64 s[2:3], s[2:3], 2
	s_delay_alu instid0(SALU_CYCLE_1)
	v_cmpx_gt_i64_e64 s[2:3], v[15:16]
	s_cbranch_execz .LBB51_86
; %bb.6:
	v_alignbit_b32 v19, v3, v2, 2
	v_mad_u64_u32 v[6:7], null, 0xcd9e8d57, v15, 0
	v_lshrrev_b32_e32 v20, 2, v3
	s_waitcnt vmcnt(0)
	v_dual_mov_b32 v11, v14 :: v_dual_add_nc_u32 v28, 0x8ff34781, v13
	v_mad_u64_u32 v[4:5], null, 0xd2511f53, v19, 0
	v_add_co_u32 v22, null, 0x9e3779b9, v13
	v_xor3_b32 v3, v13, v7, v20
	s_delay_alu instid0(VALU_DEP_4) | instskip(SKIP_2) | instid1(VALU_DEP_4)
	v_add_co_u32 v21, null, 0xbb67ae85, v11
	v_add_co_u32 v23, null, 0x3c6ef372, v13
	v_xor_b32_e32 v0, v5, v14
	v_mad_u64_u32 v[7:8], null, 0xd2511f53, v3, 0
	v_add_co_u32 v24, null, 0x76cf5d0a, v11
	s_delay_alu instid0(VALU_DEP_3) | instskip(SKIP_2) | instid1(VALU_DEP_3)
	v_xor_b32_e32 v0, v0, v16
	v_add_co_u32 v25, null, 0x32370b8f, v11
	v_add_co_u32 v26, null, 0xdaa66d2b, v13
	v_mad_u64_u32 v[9:10], null, 0xcd9e8d57, v0, 0
	v_xor3_b32 v0, v21, v8, v4
	v_dual_mov_b32 v38, v15 :: v_dual_and_b32 v27, 3, v2
	v_add_co_u32 v29, null, 0x78dde6e4, v13
	s_delay_alu instid0(VALU_DEP_3) | instskip(SKIP_3) | instid1(VALU_DEP_3)
	v_mad_u64_u32 v[3:4], null, 0xcd9e8d57, v0, 0
	v_xor3_b32 v8, v22, v10, v6
	v_add_co_u32 v31, null, 0xed9eba14, v11
	v_add_co_u32 v33, null, 0xa9066899, v11
	v_mad_u64_u32 v[5:6], null, 0xd2511f53, v8, 0
	v_xor3_b32 v0, v23, v4, v9
	v_add_co_u32 v34, null, 0x1715609d, v13
	v_add_co_u32 v35, null, 0xb54cda56, v13
	;; [unrolled: 1-line block ×3, first 2 shown]
	v_xor3_b32 v4, v24, v6, v7
	v_mad_u64_u32 v[6:7], null, 0xd2511f53, v0, 0
	s_load_b256 s[4:11], s[0:1], 0x30
	v_add_co_u32 v32, null, 0x5384540f, v13
	s_delay_alu instid0(VALU_DEP_3) | instskip(SKIP_1) | instid1(VALU_DEP_4)
	v_mad_u64_u32 v[8:9], null, 0xcd9e8d57, v4, 0
	v_add_co_u32 v39, null, 0x1fd5c5a3, v11
	v_xor3_b32 v0, v25, v7, v5
	v_add_co_u32 v36, null, 0xf1bbcdc8, v13
	v_add_co_u32 v40, null, 0xdb3d7428, v11
	v_xor3_b32 v7, v26, v9, v3
	s_delay_alu instid0(VALU_DEP_4) | instskip(SKIP_2) | instid1(VALU_DEP_2)
	v_mad_u64_u32 v[2:3], null, 0xcd9e8d57, v0, 0
	s_add_u32 s18, s0, 48
	s_load_b64 s[20:21], s[0:1], 0x148
	v_mad_u64_u32 v[4:5], null, 0xd2511f53, v7, 0
	s_clause 0x1
	s_load_b64 s[22:23], s[0:1], 0xf4
	s_load_b128 s[12:15], s[0:1], 0x138
	s_addc_u32 s19, s1, 0
	v_xor3_b32 v0, v29, v3, v8
	s_waitcnt lgkmcnt(0)
	s_add_i32 s24, s4, -1
	v_mov_b32_e32 v41, v16
	s_cmp_gt_u32 s24, 1
	v_xor3_b32 v3, v31, v5, v6
	v_mad_u64_u32 v[5:6], null, 0xd2511f53, v0, 0
	s_cselect_b32 s11, -1, 0
	s_cmp_lg_u32 s4, 0
	s_delay_alu instid0(VALU_DEP_2) | instskip(SKIP_2) | instid1(VALU_DEP_2)
	v_mad_u64_u32 v[7:8], null, 0xcd9e8d57, v3, 0
	s_cselect_b32 s31, -1, 0
	s_add_u32 s0, s0, 0xf4
	v_xor3_b32 v0, v33, v6, v4
	s_addc_u32 s1, s1, 0
	s_min_u32 s25, s24, 15
	s_cmp_gt_u32 s4, 1
	s_delay_alu instid0(VALU_DEP_2) | instskip(SKIP_3) | instid1(VALU_DEP_2)
	v_xor3_b32 v4, v34, v8, v2
	v_mad_u64_u32 v[2:3], null, 0xcd9e8d57, v0, 0
	s_cselect_b32 s4, -1, 0
	s_add_i32 s25, s25, 1
	v_mad_u64_u32 v[8:9], null, 0xd2511f53, v4, 0
	s_lshl_b32 s33, s28, 1
	s_and_b32 s34, s25, 3
	s_delay_alu instid0(VALU_DEP_2) | instskip(SKIP_3) | instid1(VALU_DEP_2)
	v_xor3_b32 v0, v35, v3, v7
	s_cmp_lg_u32 s24, 2
	s_mov_b32 s30, 0
	s_cselect_b32 s35, -1, 0
	v_xor3_b32 v7, v37, v9, v5
	v_mad_u64_u32 v[3:4], null, 0xd2511f53, v0, 0
	s_and_b32 s36, s25, 28
	s_cmp_lg_u32 s34, 0
	s_delay_alu instid0(VALU_DEP_2) | instskip(SKIP_2) | instid1(VALU_DEP_2)
	v_mad_u64_u32 v[5:6], null, 0xcd9e8d57, v7, 0
	s_mul_i32 s37, s28, 3
	s_cselect_b32 s38, -1, 0
	v_xor3_b32 v0, v39, v4, v8
	s_delay_alu instid0(VALU_DEP_2) | instskip(NEXT) | instid1(VALU_DEP_2)
	v_xor3_b32 v2, v32, v6, v2
	v_mad_u64_u32 v[6:7], null, 0xcd9e8d57, v0, 0
	s_delay_alu instid0(VALU_DEP_2) | instskip(NEXT) | instid1(VALU_DEP_2)
	v_mad_u64_u32 v[8:9], null, 0xd2511f53, v2, 0
	v_xor3_b32 v0, v36, v7, v5
	s_delay_alu instid0(VALU_DEP_2) | instskip(NEXT) | instid1(VALU_DEP_2)
	v_xor3_b32 v2, v40, v9, v3
	v_mad_u64_u32 v[9:10], null, 0xd2511f53, v0, 0
	v_add_nc_u32_e32 v30, 0x96a522ad, v14
	s_delay_alu instid0(VALU_DEP_3) | instskip(NEXT) | instid1(VALU_DEP_3)
	v_mad_u64_u32 v[3:4], null, 0xcd9e8d57, v2, 0
	v_mov_b32_e32 v5, v9
	s_delay_alu instid0(VALU_DEP_2) | instskip(NEXT) | instid1(VALU_DEP_4)
	v_xor3_b32 v2, v4, v6, v28
	v_xor3_b32 v4, v10, v8, v30
	s_branch .LBB51_9
.LBB51_7:                               ;   in Loop: Header=BB51_9 Depth=1
	s_or_b32 exec_lo, exec_lo, s24
	s_delay_alu instid0(VALU_DEP_1)
	v_add_co_u32 v3, vcc_lo, v0, s20
	v_add_co_ci_u32_e32 v4, vcc_lo, s21, v1, vcc_lo
	global_store_b64 v2, v[3:4], s[12:13]
.LBB51_8:                               ;   in Loop: Header=BB51_9 Depth=1
	s_or_b32 exec_lo, exec_lo, s39
	v_add_co_u32 v15, vcc_lo, v15, s29
	v_add_co_ci_u32_e32 v16, vcc_lo, 0, v16, vcc_lo
	v_mov_b32_e32 v9, v17
	v_dual_mov_b32 v2, v6 :: v_dual_mov_b32 v3, v7
	s_delay_alu instid0(VALU_DEP_3) | instskip(NEXT) | instid1(VALU_DEP_3)
	v_cmp_le_i64_e32 vcc_lo, s[2:3], v[15:16]
	v_dual_mov_b32 v4, v8 :: v_dual_mov_b32 v5, v9
	s_waitcnt_vscnt null, 0x0
	s_barrier
	buffer_gl0_inv
	s_or_b32 s30, vcc_lo, s30
	s_delay_alu instid0(SALU_CYCLE_1)
	s_and_not1_b32 exec_lo, exec_lo, s30
	s_cbranch_execz .LBB51_86
.LBB51_9:                               ; =>This Loop Header: Depth=1
                                        ;     Child Loop BB51_24 Depth 2
                                        ;     Child Loop BB51_29 Depth 2
	;; [unrolled: 1-line block ×8, first 2 shown]
	v_add_co_u32 v19, vcc_lo, v19, 1
	s_delay_alu instid0(VALU_DEP_1) | instskip(SKIP_1) | instid1(VALU_DEP_3)
	v_cndmask_b32_e64 v0, 0, 1, vcc_lo
	v_add_co_ci_u32_e32 v20, vcc_lo, 0, v20, vcc_lo
	v_mad_u64_u32 v[6:7], null, 0xd2511f53, v19, 0
	s_mov_b32 s24, exec_lo
	s_delay_alu instid0(VALU_DEP_2) | instskip(SKIP_1) | instid1(VALU_DEP_1)
	v_cmp_eq_u32_e32 vcc_lo, 0, v20
	v_cndmask_b32_e32 v0, 0, v0, vcc_lo
	v_add_nc_u32_e32 v38, v0, v38
	s_delay_alu instid0(VALU_DEP_1) | instskip(SKIP_2) | instid1(VALU_DEP_1)
	v_cmp_eq_u32_e32 vcc_lo, 0, v38
	v_mad_u64_u32 v[8:9], null, 0xcd9e8d57, v38, 0
	v_cndmask_b32_e32 v0, 0, v0, vcc_lo
	v_add_nc_u32_e32 v41, v0, v41
	v_xor_b32_e32 v0, v7, v14
	s_delay_alu instid0(VALU_DEP_4) | instskip(NEXT) | instid1(VALU_DEP_2)
	v_xor3_b32 v7, v9, v13, v20
	v_xor_b32_e32 v0, v41, v0
	s_delay_alu instid0(VALU_DEP_2) | instskip(NEXT) | instid1(VALU_DEP_2)
	v_mad_u64_u32 v[9:10], null, 0xd2511f53, v7, 0
	v_mad_u64_u32 v[11:12], null, 0xcd9e8d57, v0, 0
	s_delay_alu instid0(VALU_DEP_2) | instskip(NEXT) | instid1(VALU_DEP_2)
	v_xor3_b32 v0, v21, v10, v6
	v_xor3_b32 v8, v22, v12, v8
	s_delay_alu instid0(VALU_DEP_2) | instskip(NEXT) | instid1(VALU_DEP_2)
	v_mad_u64_u32 v[6:7], null, 0xcd9e8d57, v0, 0
	v_mad_u64_u32 v[17:18], null, 0xd2511f53, v8, 0
	s_delay_alu instid0(VALU_DEP_2) | instskip(NEXT) | instid1(VALU_DEP_2)
	v_xor3_b32 v0, v23, v7, v11
	v_xor3_b32 v11, v24, v18, v9
	;; [unrolled: 6-line block ×9, first 2 shown]
	s_delay_alu instid0(VALU_DEP_2)
	v_mov_b32_e32 v8, v12
	v_cmpx_lt_i32_e32 1, v27
	s_xor_b32 s24, exec_lo, s24
	s_cbranch_execnz .LBB51_12
; %bb.10:                               ;   in Loop: Header=BB51_9 Depth=1
	s_and_not1_saveexec_b32 s24, s24
	s_cbranch_execnz .LBB51_17
.LBB51_11:                              ;   in Loop: Header=BB51_9 Depth=1
	s_or_b32 exec_lo, exec_lo, s24
	s_delay_alu instid0(SALU_CYCLE_1)
	s_mov_b32 s39, exec_lo
	v_cmpx_gt_i64_e64 s[16:17], v[15:16]
	s_cbranch_execnz .LBB51_20
	s_branch .LBB51_36
.LBB51_12:                              ;   in Loop: Header=BB51_9 Depth=1
	s_mov_b32 s25, exec_lo
	v_cmpx_lt_i32_e32 2, v27
	s_xor_b32 s25, exec_lo, s25
; %bb.13:                               ;   in Loop: Header=BB51_9 Depth=1
	v_dual_mov_b32 v9, v5 :: v_dual_mov_b32 v10, v6
	v_mov_b32_e32 v11, v7
	s_delay_alu instid0(VALU_DEP_2) | instskip(NEXT) | instid1(VALU_DEP_2)
	v_dual_mov_b32 v2, v9 :: v_dual_mov_b32 v3, v10
	v_dual_mov_b32 v4, v11 :: v_dual_mov_b32 v5, v12
; %bb.14:                               ;   in Loop: Header=BB51_9 Depth=1
	s_and_not1_saveexec_b32 s25, s25
; %bb.15:                               ;   in Loop: Header=BB51_9 Depth=1
	s_delay_alu instid0(VALU_DEP_1)
	v_dual_mov_b32 v2, v4 :: v_dual_mov_b32 v3, v5
	v_dual_mov_b32 v4, v6 :: v_dual_mov_b32 v5, v7
; %bb.16:                               ;   in Loop: Header=BB51_9 Depth=1
	s_or_b32 exec_lo, exec_lo, s25
	s_and_not1_saveexec_b32 s24, s24
	s_cbranch_execz .LBB51_11
.LBB51_17:                              ;   in Loop: Header=BB51_9 Depth=1
	s_mov_b32 s25, exec_lo
	v_cmpx_eq_u32_e32 1, v27
; %bb.18:                               ;   in Loop: Header=BB51_9 Depth=1
	v_dual_mov_b32 v2, v3 :: v_dual_mov_b32 v3, v4
	v_dual_mov_b32 v4, v5 :: v_dual_mov_b32 v5, v6
; %bb.19:                               ;   in Loop: Header=BB51_9 Depth=1
	s_or_b32 exec_lo, exec_lo, s25
	s_delay_alu instid0(SALU_CYCLE_1) | instskip(NEXT) | instid1(SALU_CYCLE_1)
	s_or_b32 exec_lo, exec_lo, s24
	s_mov_b32 s39, exec_lo
	v_cmpx_gt_i64_e64 s[16:17], v[15:16]
	s_cbranch_execz .LBB51_36
.LBB51_20:                              ;   in Loop: Header=BB51_9 Depth=1
	s_and_not1_b32 vcc_lo, exec_lo, s11
	s_cbranch_vccnz .LBB51_26
; %bb.21:                               ;   in Loop: Header=BB51_9 Depth=1
	v_mov_b32_e32 v9, 0
	s_and_not1_b32 vcc_lo, exec_lo, s31
	s_cbranch_vccnz .LBB51_30
; %bb.22:                               ;   in Loop: Header=BB51_9 Depth=1
	s_and_not1_b32 vcc_lo, exec_lo, s35
	s_mov_b32 s24, 0
	s_cbranch_vccnz .LBB51_27
; %bb.23:                               ;   in Loop: Header=BB51_9 Depth=1
	v_dual_mov_b32 v9, 0 :: v_dual_mov_b32 v0, v15
	s_mov_b32 s40, 0
	s_mov_b64 s[24:25], s[18:19]
	s_mov_b64 s[26:27], s[0:1]
.LBB51_24:                              ;   Parent Loop BB51_9 Depth=1
                                        ; =>  This Inner Loop Header: Depth=2
	s_clause 0x1
	s_load_b256 s[44:51], s[24:25], 0x4
	s_load_b128 s[52:55], s[24:25], 0x24
	s_load_b128 s[56:59], s[26:27], 0x0
	s_add_u32 s24, s24, 48
	s_addc_u32 s25, s25, 0
	s_add_i32 s40, s40, 4
	s_add_u32 s26, s26, 16
	s_addc_u32 s27, s27, 0
	s_cmp_lg_u32 s36, s40
	s_waitcnt lgkmcnt(0)
	v_mul_hi_u32 v10, s45, v0
	s_delay_alu instid0(VALU_DEP_1) | instskip(NEXT) | instid1(VALU_DEP_1)
	v_add_nc_u32_e32 v10, v0, v10
	v_lshrrev_b32_e32 v10, s46, v10
	s_delay_alu instid0(VALU_DEP_1) | instskip(SKIP_1) | instid1(VALU_DEP_2)
	v_mul_hi_u32 v11, s48, v10
	v_mul_lo_u32 v42, v10, s44
	v_add_nc_u32_e32 v11, v10, v11
	s_delay_alu instid0(VALU_DEP_2) | instskip(NEXT) | instid1(VALU_DEP_2)
	v_sub_nc_u32_e32 v42, v0, v42
	v_lshrrev_b32_e32 v11, s49, v11
	s_delay_alu instid0(VALU_DEP_2) | instskip(NEXT) | instid1(VALU_DEP_2)
	v_mul_lo_u32 v42, v42, s56
	v_mul_hi_u32 v12, s51, v11
	v_mul_lo_u32 v43, v11, s47
	s_delay_alu instid0(VALU_DEP_2) | instskip(NEXT) | instid1(VALU_DEP_2)
	v_add_nc_u32_e32 v12, v11, v12
	v_sub_nc_u32_e32 v10, v10, v43
	s_delay_alu instid0(VALU_DEP_2) | instskip(NEXT) | instid1(VALU_DEP_2)
	v_lshrrev_b32_e32 v12, s52, v12
	v_mul_lo_u32 v10, v10, s57
	s_delay_alu instid0(VALU_DEP_2) | instskip(NEXT) | instid1(VALU_DEP_2)
	v_mul_hi_u32 v18, s54, v12
	v_add3_u32 v9, v42, v9, v10
	s_delay_alu instid0(VALU_DEP_2) | instskip(NEXT) | instid1(VALU_DEP_1)
	v_add_nc_u32_e32 v18, v12, v18
	v_lshrrev_b32_e32 v0, s55, v18
	v_mul_lo_u32 v18, v12, s50
	s_delay_alu instid0(VALU_DEP_2) | instskip(NEXT) | instid1(VALU_DEP_2)
	v_mul_lo_u32 v44, v0, s53
	v_sub_nc_u32_e32 v11, v11, v18
	s_delay_alu instid0(VALU_DEP_2) | instskip(NEXT) | instid1(VALU_DEP_2)
	v_sub_nc_u32_e32 v12, v12, v44
	v_mul_lo_u32 v11, v11, s58
	s_delay_alu instid0(VALU_DEP_2) | instskip(NEXT) | instid1(VALU_DEP_1)
	v_mul_lo_u32 v12, v12, s59
	v_add3_u32 v9, v11, v9, v12
	s_cbranch_scc1 .LBB51_24
; %bb.25:                               ;   in Loop: Header=BB51_9 Depth=1
	s_mov_b32 s24, s36
	s_and_not1_b32 vcc_lo, exec_lo, s38
	s_cbranch_vccz .LBB51_28
	s_branch .LBB51_30
.LBB51_26:                              ;   in Loop: Header=BB51_9 Depth=1
                                        ; implicit-def: $vgpr9
	s_branch .LBB51_31
.LBB51_27:                              ;   in Loop: Header=BB51_9 Depth=1
	v_mov_b32_e32 v0, v15
	s_and_not1_b32 vcc_lo, exec_lo, s38
	s_cbranch_vccnz .LBB51_30
.LBB51_28:                              ;   in Loop: Header=BB51_9 Depth=1
	s_lshl_b32 s25, s24, 2
	s_mul_i32 s26, s24, 12
	s_add_u32 s24, s0, s25
	s_addc_u32 s25, s1, 0
	s_add_u32 s26, s18, s26
	s_addc_u32 s27, s19, 0
	s_mov_b32 s40, s34
	.p2align	6
.LBB51_29:                              ;   Parent Loop BB51_9 Depth=1
                                        ; =>  This Inner Loop Header: Depth=2
	s_clause 0x1
	s_load_b64 s[42:43], s[26:27], 0x4
	s_load_b32 s41, s[26:27], 0xc
	s_add_u32 s26, s26, 12
	s_addc_u32 s27, s27, 0
	s_waitcnt lgkmcnt(0)
	v_mul_hi_u32 v10, s43, v0
	s_load_b32 s43, s[24:25], 0x0
	s_add_u32 s24, s24, 4
	s_addc_u32 s25, s25, 0
	s_add_i32 s40, s40, -1
	s_delay_alu instid0(SALU_CYCLE_1) | instskip(NEXT) | instid1(VALU_DEP_1)
	s_cmp_lg_u32 s40, 0
	v_add_nc_u32_e32 v10, v0, v10
	s_delay_alu instid0(VALU_DEP_1) | instskip(NEXT) | instid1(VALU_DEP_1)
	v_lshrrev_b32_e32 v12, s41, v10
	v_mul_lo_u32 v10, v12, s42
	s_delay_alu instid0(VALU_DEP_1) | instskip(SKIP_1) | instid1(VALU_DEP_1)
	v_sub_nc_u32_e32 v0, v0, v10
	s_waitcnt lgkmcnt(0)
	v_mad_u64_u32 v[10:11], null, v0, s43, v[9:10]
	s_delay_alu instid0(VALU_DEP_1)
	v_dual_mov_b32 v0, v12 :: v_dual_mov_b32 v9, v10
	s_cbranch_scc1 .LBB51_29
.LBB51_30:                              ;   in Loop: Header=BB51_9 Depth=1
	s_cbranch_execnz .LBB51_33
.LBB51_31:                              ;   in Loop: Header=BB51_9 Depth=1
	v_mul_hi_u32 v0, v15, s6
	s_and_not1_b32 vcc_lo, exec_lo, s4
	s_delay_alu instid0(VALU_DEP_1) | instskip(NEXT) | instid1(VALU_DEP_1)
	v_add_nc_u32_e32 v0, v0, v15
	v_lshrrev_b32_e32 v0, s7, v0
	s_delay_alu instid0(VALU_DEP_1) | instskip(NEXT) | instid1(VALU_DEP_1)
	v_mul_lo_u32 v9, v0, s5
	v_sub_nc_u32_e32 v9, v15, v9
	s_delay_alu instid0(VALU_DEP_1)
	v_mul_lo_u32 v9, v9, s22
	s_cbranch_vccnz .LBB51_33
; %bb.32:                               ;   in Loop: Header=BB51_9 Depth=1
	v_mul_hi_u32 v10, s9, v0
	s_delay_alu instid0(VALU_DEP_1) | instskip(NEXT) | instid1(VALU_DEP_1)
	v_add_nc_u32_e32 v10, v0, v10
	v_lshrrev_b32_e32 v10, s10, v10
	s_delay_alu instid0(VALU_DEP_1) | instskip(NEXT) | instid1(VALU_DEP_1)
	v_mul_lo_u32 v10, v10, s8
	v_sub_nc_u32_e32 v0, v0, v10
	s_delay_alu instid0(VALU_DEP_1) | instskip(NEXT) | instid1(VALU_DEP_1)
	v_mad_u64_u32 v[10:11], null, v0, s23, v[9:10]
	v_mov_b32_e32 v9, v10
.LBB51_33:                              ;   in Loop: Header=BB51_9 Depth=1
	v_mov_b32_e32 v0, v2
	s_mov_b32 s24, exec_lo
	s_delay_alu instid0(VALU_DEP_1)
	v_cmpx_le_u64_e64 s[14:15], v[0:1]
	s_cbranch_execz .LBB51_35
; %bb.34:                               ;   in Loop: Header=BB51_9 Depth=1
	v_cvt_f32_u32_e32 v2, s14
	s_sub_i32 s25, 0, s14
	s_delay_alu instid0(VALU_DEP_1) | instskip(SKIP_2) | instid1(VALU_DEP_1)
	v_rcp_iflag_f32_e32 v2, v2
	s_waitcnt_depctr 0xfff
	v_mul_f32_e32 v2, 0x4f7ffffe, v2
	v_cvt_u32_f32_e32 v2, v2
	s_delay_alu instid0(VALU_DEP_1) | instskip(NEXT) | instid1(VALU_DEP_1)
	v_mul_lo_u32 v10, s25, v2
	v_mul_hi_u32 v10, v2, v10
	s_delay_alu instid0(VALU_DEP_1) | instskip(NEXT) | instid1(VALU_DEP_1)
	v_add_nc_u32_e32 v2, v2, v10
	v_mul_hi_u32 v2, v0, v2
	s_delay_alu instid0(VALU_DEP_1) | instskip(NEXT) | instid1(VALU_DEP_1)
	v_mul_lo_u32 v2, v2, s14
	v_sub_nc_u32_e32 v0, v0, v2
	s_delay_alu instid0(VALU_DEP_1) | instskip(SKIP_1) | instid1(VALU_DEP_2)
	v_subrev_nc_u32_e32 v2, s14, v0
	v_cmp_le_u32_e32 vcc_lo, s14, v0
	v_cndmask_b32_e32 v0, v0, v2, vcc_lo
	s_delay_alu instid0(VALU_DEP_1) | instskip(SKIP_1) | instid1(VALU_DEP_2)
	v_subrev_nc_u32_e32 v2, s14, v0
	v_cmp_le_u32_e32 vcc_lo, s14, v0
	v_cndmask_b32_e32 v0, v0, v2, vcc_lo
.LBB51_35:                              ;   in Loop: Header=BB51_9 Depth=1
	s_or_b32 exec_lo, exec_lo, s24
	s_delay_alu instid0(VALU_DEP_1)
	v_add_co_u32 v10, vcc_lo, v0, s20
	v_add_co_ci_u32_e32 v11, vcc_lo, s21, v1, vcc_lo
	global_store_b64 v9, v[10:11], s[12:13]
.LBB51_36:                              ;   in Loop: Header=BB51_9 Depth=1
	s_or_b32 exec_lo, exec_lo, s39
	v_add_co_u32 v9, vcc_lo, v15, s28
	v_add_co_ci_u32_e32 v10, vcc_lo, 0, v16, vcc_lo
	s_mov_b32 s39, exec_lo
	s_delay_alu instid0(VALU_DEP_1)
	v_cmpx_gt_i64_e64 s[16:17], v[9:10]
	s_cbranch_execz .LBB51_53
; %bb.37:                               ;   in Loop: Header=BB51_9 Depth=1
	s_and_not1_b32 vcc_lo, exec_lo, s11
	s_cbranch_vccnz .LBB51_43
; %bb.38:                               ;   in Loop: Header=BB51_9 Depth=1
	v_mov_b32_e32 v2, 0
	s_and_not1_b32 vcc_lo, exec_lo, s31
	s_cbranch_vccnz .LBB51_47
; %bb.39:                               ;   in Loop: Header=BB51_9 Depth=1
	s_and_not1_b32 vcc_lo, exec_lo, s35
	s_mov_b32 s24, 0
	s_cbranch_vccnz .LBB51_44
; %bb.40:                               ;   in Loop: Header=BB51_9 Depth=1
	v_mov_b32_e32 v2, 0
	v_mov_b32_e32 v0, v9
	s_mov_b32 s40, 0
	s_mov_b64 s[24:25], s[18:19]
	s_mov_b64 s[26:27], s[0:1]
.LBB51_41:                              ;   Parent Loop BB51_9 Depth=1
                                        ; =>  This Inner Loop Header: Depth=2
	s_clause 0x1
	s_load_b256 s[44:51], s[24:25], 0x4
	s_load_b128 s[52:55], s[24:25], 0x24
	s_load_b128 s[56:59], s[26:27], 0x0
	s_add_u32 s24, s24, 48
	s_addc_u32 s25, s25, 0
	s_add_i32 s40, s40, 4
	s_add_u32 s26, s26, 16
	s_addc_u32 s27, s27, 0
	s_cmp_eq_u32 s36, s40
	s_waitcnt lgkmcnt(0)
	v_mul_hi_u32 v10, s45, v0
	s_delay_alu instid0(VALU_DEP_1) | instskip(NEXT) | instid1(VALU_DEP_1)
	v_add_nc_u32_e32 v10, v0, v10
	v_lshrrev_b32_e32 v10, s46, v10
	s_delay_alu instid0(VALU_DEP_1) | instskip(SKIP_1) | instid1(VALU_DEP_2)
	v_mul_hi_u32 v11, s48, v10
	v_mul_lo_u32 v42, v10, s44
	v_add_nc_u32_e32 v11, v10, v11
	s_delay_alu instid0(VALU_DEP_2) | instskip(NEXT) | instid1(VALU_DEP_2)
	v_sub_nc_u32_e32 v42, v0, v42
	v_lshrrev_b32_e32 v11, s49, v11
	s_delay_alu instid0(VALU_DEP_2) | instskip(NEXT) | instid1(VALU_DEP_2)
	v_mul_lo_u32 v42, v42, s56
	v_mul_hi_u32 v12, s51, v11
	v_mul_lo_u32 v43, v11, s47
	s_delay_alu instid0(VALU_DEP_2) | instskip(NEXT) | instid1(VALU_DEP_2)
	v_add_nc_u32_e32 v12, v11, v12
	v_sub_nc_u32_e32 v10, v10, v43
	s_delay_alu instid0(VALU_DEP_2) | instskip(NEXT) | instid1(VALU_DEP_2)
	v_lshrrev_b32_e32 v12, s52, v12
	v_mul_lo_u32 v10, v10, s57
	s_delay_alu instid0(VALU_DEP_2) | instskip(NEXT) | instid1(VALU_DEP_2)
	v_mul_hi_u32 v18, s54, v12
	v_add3_u32 v2, v42, v2, v10
	s_delay_alu instid0(VALU_DEP_2) | instskip(NEXT) | instid1(VALU_DEP_1)
	v_add_nc_u32_e32 v18, v12, v18
	v_lshrrev_b32_e32 v0, s55, v18
	v_mul_lo_u32 v18, v12, s50
	s_delay_alu instid0(VALU_DEP_2) | instskip(NEXT) | instid1(VALU_DEP_2)
	v_mul_lo_u32 v44, v0, s53
	v_sub_nc_u32_e32 v11, v11, v18
	s_delay_alu instid0(VALU_DEP_2) | instskip(NEXT) | instid1(VALU_DEP_2)
	v_sub_nc_u32_e32 v12, v12, v44
	v_mul_lo_u32 v11, v11, s58
	s_delay_alu instid0(VALU_DEP_2) | instskip(NEXT) | instid1(VALU_DEP_1)
	v_mul_lo_u32 v12, v12, s59
	v_add3_u32 v2, v11, v2, v12
	s_cbranch_scc0 .LBB51_41
; %bb.42:                               ;   in Loop: Header=BB51_9 Depth=1
	s_mov_b32 s24, s36
	s_and_not1_b32 vcc_lo, exec_lo, s38
	s_cbranch_vccz .LBB51_45
	s_branch .LBB51_47
.LBB51_43:                              ;   in Loop: Header=BB51_9 Depth=1
                                        ; implicit-def: $vgpr2
	s_branch .LBB51_48
.LBB51_44:                              ;   in Loop: Header=BB51_9 Depth=1
	v_mov_b32_e32 v0, v9
	s_and_not1_b32 vcc_lo, exec_lo, s38
	s_cbranch_vccnz .LBB51_47
.LBB51_45:                              ;   in Loop: Header=BB51_9 Depth=1
	s_lshl_b32 s25, s24, 2
	s_mul_i32 s26, s24, 12
	s_add_u32 s24, s0, s25
	s_addc_u32 s25, s1, 0
	s_add_u32 s26, s18, s26
	s_addc_u32 s27, s19, 0
	s_mov_b32 s40, s34
	.p2align	6
.LBB51_46:                              ;   Parent Loop BB51_9 Depth=1
                                        ; =>  This Inner Loop Header: Depth=2
	s_clause 0x1
	s_load_b64 s[42:43], s[26:27], 0x4
	s_load_b32 s41, s[26:27], 0xc
	s_add_u32 s26, s26, 12
	s_addc_u32 s27, s27, 0
	s_waitcnt lgkmcnt(0)
	v_mul_hi_u32 v10, s43, v0
	s_load_b32 s43, s[24:25], 0x0
	s_add_u32 s24, s24, 4
	s_addc_u32 s25, s25, 0
	s_add_i32 s40, s40, -1
	s_delay_alu instid0(SALU_CYCLE_1) | instskip(NEXT) | instid1(VALU_DEP_1)
	s_cmp_lg_u32 s40, 0
	v_add_nc_u32_e32 v10, v0, v10
	s_delay_alu instid0(VALU_DEP_1) | instskip(NEXT) | instid1(VALU_DEP_1)
	v_lshrrev_b32_e32 v12, s41, v10
	v_mul_lo_u32 v10, v12, s42
	s_delay_alu instid0(VALU_DEP_1) | instskip(SKIP_1) | instid1(VALU_DEP_1)
	v_sub_nc_u32_e32 v0, v0, v10
	s_waitcnt lgkmcnt(0)
	v_mad_u64_u32 v[10:11], null, v0, s43, v[2:3]
	v_mov_b32_e32 v0, v12
	s_delay_alu instid0(VALU_DEP_2)
	v_mov_b32_e32 v2, v10
	s_cbranch_scc1 .LBB51_46
.LBB51_47:                              ;   in Loop: Header=BB51_9 Depth=1
	s_cbranch_execnz .LBB51_50
.LBB51_48:                              ;   in Loop: Header=BB51_9 Depth=1
	v_mul_hi_u32 v0, v9, s6
	s_and_not1_b32 vcc_lo, exec_lo, s4
	s_delay_alu instid0(VALU_DEP_1) | instskip(NEXT) | instid1(VALU_DEP_1)
	v_add_nc_u32_e32 v0, v0, v9
	v_lshrrev_b32_e32 v0, s7, v0
	s_delay_alu instid0(VALU_DEP_1) | instskip(NEXT) | instid1(VALU_DEP_1)
	v_mul_lo_u32 v2, v0, s5
	v_sub_nc_u32_e32 v2, v9, v2
	s_delay_alu instid0(VALU_DEP_1)
	v_mul_lo_u32 v2, v2, s22
	s_cbranch_vccnz .LBB51_50
; %bb.49:                               ;   in Loop: Header=BB51_9 Depth=1
	v_mul_hi_u32 v9, s9, v0
	s_delay_alu instid0(VALU_DEP_1) | instskip(NEXT) | instid1(VALU_DEP_1)
	v_add_nc_u32_e32 v9, v0, v9
	v_lshrrev_b32_e32 v9, s10, v9
	s_delay_alu instid0(VALU_DEP_1) | instskip(NEXT) | instid1(VALU_DEP_1)
	v_mul_lo_u32 v9, v9, s8
	v_sub_nc_u32_e32 v0, v0, v9
	s_delay_alu instid0(VALU_DEP_1) | instskip(NEXT) | instid1(VALU_DEP_1)
	v_mad_u64_u32 v[9:10], null, v0, s23, v[2:3]
	v_mov_b32_e32 v2, v9
.LBB51_50:                              ;   in Loop: Header=BB51_9 Depth=1
	v_mov_b32_e32 v0, v3
	s_mov_b32 s24, exec_lo
	s_delay_alu instid0(VALU_DEP_1)
	v_cmpx_le_u64_e64 s[14:15], v[0:1]
	s_cbranch_execz .LBB51_52
; %bb.51:                               ;   in Loop: Header=BB51_9 Depth=1
	v_cvt_f32_u32_e32 v3, s14
	s_sub_i32 s25, 0, s14
	s_delay_alu instid0(VALU_DEP_1) | instskip(SKIP_2) | instid1(VALU_DEP_1)
	v_rcp_iflag_f32_e32 v3, v3
	s_waitcnt_depctr 0xfff
	v_mul_f32_e32 v3, 0x4f7ffffe, v3
	v_cvt_u32_f32_e32 v3, v3
	s_delay_alu instid0(VALU_DEP_1) | instskip(NEXT) | instid1(VALU_DEP_1)
	v_mul_lo_u32 v9, s25, v3
	v_mul_hi_u32 v9, v3, v9
	s_delay_alu instid0(VALU_DEP_1) | instskip(NEXT) | instid1(VALU_DEP_1)
	v_add_nc_u32_e32 v3, v3, v9
	v_mul_hi_u32 v3, v0, v3
	s_delay_alu instid0(VALU_DEP_1) | instskip(NEXT) | instid1(VALU_DEP_1)
	v_mul_lo_u32 v3, v3, s14
	v_sub_nc_u32_e32 v0, v0, v3
	s_delay_alu instid0(VALU_DEP_1) | instskip(SKIP_1) | instid1(VALU_DEP_2)
	v_subrev_nc_u32_e32 v3, s14, v0
	v_cmp_le_u32_e32 vcc_lo, s14, v0
	v_cndmask_b32_e32 v0, v0, v3, vcc_lo
	s_delay_alu instid0(VALU_DEP_1) | instskip(SKIP_1) | instid1(VALU_DEP_2)
	v_subrev_nc_u32_e32 v3, s14, v0
	v_cmp_le_u32_e32 vcc_lo, s14, v0
	v_cndmask_b32_e32 v0, v0, v3, vcc_lo
.LBB51_52:                              ;   in Loop: Header=BB51_9 Depth=1
	s_or_b32 exec_lo, exec_lo, s24
	s_delay_alu instid0(VALU_DEP_1)
	v_add_co_u32 v9, vcc_lo, v0, s20
	v_add_co_ci_u32_e32 v10, vcc_lo, s21, v1, vcc_lo
	global_store_b64 v2, v[9:10], s[12:13]
.LBB51_53:                              ;   in Loop: Header=BB51_9 Depth=1
	s_or_b32 exec_lo, exec_lo, s39
	v_add_co_u32 v9, vcc_lo, v15, s33
	v_add_co_ci_u32_e32 v10, vcc_lo, 0, v16, vcc_lo
	s_mov_b32 s39, exec_lo
	s_delay_alu instid0(VALU_DEP_1)
	v_cmpx_gt_i64_e64 s[16:17], v[9:10]
	s_cbranch_execz .LBB51_70
; %bb.54:                               ;   in Loop: Header=BB51_9 Depth=1
	s_and_not1_b32 vcc_lo, exec_lo, s11
	s_cbranch_vccnz .LBB51_60
; %bb.55:                               ;   in Loop: Header=BB51_9 Depth=1
	v_mov_b32_e32 v2, 0
	s_and_not1_b32 vcc_lo, exec_lo, s31
	s_cbranch_vccnz .LBB51_64
; %bb.56:                               ;   in Loop: Header=BB51_9 Depth=1
	s_and_not1_b32 vcc_lo, exec_lo, s35
	s_mov_b32 s24, 0
	s_cbranch_vccnz .LBB51_61
; %bb.57:                               ;   in Loop: Header=BB51_9 Depth=1
	v_mov_b32_e32 v2, 0
	v_mov_b32_e32 v0, v9
	s_mov_b32 s40, 0
	s_mov_b64 s[24:25], s[18:19]
	s_mov_b64 s[26:27], s[0:1]
.LBB51_58:                              ;   Parent Loop BB51_9 Depth=1
                                        ; =>  This Inner Loop Header: Depth=2
	s_clause 0x1
	s_load_b256 s[44:51], s[24:25], 0x4
	s_load_b128 s[52:55], s[24:25], 0x24
	s_load_b128 s[56:59], s[26:27], 0x0
	s_add_u32 s24, s24, 48
	s_addc_u32 s25, s25, 0
	s_add_i32 s40, s40, 4
	s_add_u32 s26, s26, 16
	s_addc_u32 s27, s27, 0
	s_cmp_eq_u32 s36, s40
	s_waitcnt lgkmcnt(0)
	v_mul_hi_u32 v3, s45, v0
	s_delay_alu instid0(VALU_DEP_1) | instskip(NEXT) | instid1(VALU_DEP_1)
	v_add_nc_u32_e32 v3, v0, v3
	v_lshrrev_b32_e32 v3, s46, v3
	s_delay_alu instid0(VALU_DEP_1) | instskip(SKIP_1) | instid1(VALU_DEP_2)
	v_mul_hi_u32 v10, s48, v3
	v_mul_lo_u32 v18, v3, s44
	v_add_nc_u32_e32 v10, v3, v10
	s_delay_alu instid0(VALU_DEP_2) | instskip(NEXT) | instid1(VALU_DEP_2)
	v_sub_nc_u32_e32 v18, v0, v18
	v_lshrrev_b32_e32 v10, s49, v10
	s_delay_alu instid0(VALU_DEP_2) | instskip(NEXT) | instid1(VALU_DEP_2)
	v_mul_lo_u32 v18, v18, s56
	v_mul_hi_u32 v11, s51, v10
	v_mul_lo_u32 v42, v10, s47
	s_delay_alu instid0(VALU_DEP_2) | instskip(NEXT) | instid1(VALU_DEP_2)
	v_add_nc_u32_e32 v11, v10, v11
	v_sub_nc_u32_e32 v3, v3, v42
	s_delay_alu instid0(VALU_DEP_2) | instskip(NEXT) | instid1(VALU_DEP_2)
	v_lshrrev_b32_e32 v11, s52, v11
	v_mul_lo_u32 v3, v3, s57
	s_delay_alu instid0(VALU_DEP_2) | instskip(NEXT) | instid1(VALU_DEP_2)
	v_mul_hi_u32 v12, s54, v11
	v_add3_u32 v2, v18, v2, v3
	s_delay_alu instid0(VALU_DEP_2) | instskip(NEXT) | instid1(VALU_DEP_1)
	v_add_nc_u32_e32 v12, v11, v12
	v_lshrrev_b32_e32 v0, s55, v12
	v_mul_lo_u32 v12, v11, s50
	s_delay_alu instid0(VALU_DEP_2) | instskip(NEXT) | instid1(VALU_DEP_2)
	v_mul_lo_u32 v43, v0, s53
	v_sub_nc_u32_e32 v10, v10, v12
	s_delay_alu instid0(VALU_DEP_2) | instskip(NEXT) | instid1(VALU_DEP_2)
	v_sub_nc_u32_e32 v11, v11, v43
	v_mul_lo_u32 v10, v10, s58
	s_delay_alu instid0(VALU_DEP_2) | instskip(NEXT) | instid1(VALU_DEP_1)
	v_mul_lo_u32 v11, v11, s59
	v_add3_u32 v2, v10, v2, v11
	s_cbranch_scc0 .LBB51_58
; %bb.59:                               ;   in Loop: Header=BB51_9 Depth=1
	s_mov_b32 s24, s36
	s_and_not1_b32 vcc_lo, exec_lo, s38
	s_cbranch_vccz .LBB51_62
	s_branch .LBB51_64
.LBB51_60:                              ;   in Loop: Header=BB51_9 Depth=1
                                        ; implicit-def: $vgpr2
	s_branch .LBB51_65
.LBB51_61:                              ;   in Loop: Header=BB51_9 Depth=1
	v_mov_b32_e32 v0, v9
	s_and_not1_b32 vcc_lo, exec_lo, s38
	s_cbranch_vccnz .LBB51_64
.LBB51_62:                              ;   in Loop: Header=BB51_9 Depth=1
	s_lshl_b32 s25, s24, 2
	s_mul_i32 s26, s24, 12
	s_add_u32 s24, s0, s25
	s_addc_u32 s25, s1, 0
	s_add_u32 s26, s18, s26
	s_addc_u32 s27, s19, 0
	s_mov_b32 s40, s34
	.p2align	6
.LBB51_63:                              ;   Parent Loop BB51_9 Depth=1
                                        ; =>  This Inner Loop Header: Depth=2
	s_clause 0x1
	s_load_b64 s[42:43], s[26:27], 0x4
	s_load_b32 s41, s[26:27], 0xc
	s_add_u32 s26, s26, 12
	s_addc_u32 s27, s27, 0
	s_waitcnt lgkmcnt(0)
	v_mul_hi_u32 v3, s43, v0
	s_load_b32 s43, s[24:25], 0x0
	s_add_u32 s24, s24, 4
	s_addc_u32 s25, s25, 0
	s_add_i32 s40, s40, -1
	s_delay_alu instid0(SALU_CYCLE_1) | instskip(NEXT) | instid1(VALU_DEP_1)
	s_cmp_lg_u32 s40, 0
	v_add_nc_u32_e32 v3, v0, v3
	s_delay_alu instid0(VALU_DEP_1) | instskip(NEXT) | instid1(VALU_DEP_1)
	v_lshrrev_b32_e32 v3, s41, v3
	v_mul_lo_u32 v10, v3, s42
	s_delay_alu instid0(VALU_DEP_1) | instskip(SKIP_1) | instid1(VALU_DEP_1)
	v_sub_nc_u32_e32 v0, v0, v10
	s_waitcnt lgkmcnt(0)
	v_mad_u64_u32 v[10:11], null, v0, s43, v[2:3]
	v_mov_b32_e32 v0, v3
	s_delay_alu instid0(VALU_DEP_2)
	v_mov_b32_e32 v2, v10
	s_cbranch_scc1 .LBB51_63
.LBB51_64:                              ;   in Loop: Header=BB51_9 Depth=1
	s_cbranch_execnz .LBB51_67
.LBB51_65:                              ;   in Loop: Header=BB51_9 Depth=1
	v_mul_hi_u32 v0, v9, s6
	s_and_not1_b32 vcc_lo, exec_lo, s4
	s_delay_alu instid0(VALU_DEP_1) | instskip(NEXT) | instid1(VALU_DEP_1)
	v_add_nc_u32_e32 v0, v0, v9
	v_lshrrev_b32_e32 v0, s7, v0
	s_delay_alu instid0(VALU_DEP_1) | instskip(NEXT) | instid1(VALU_DEP_1)
	v_mul_lo_u32 v2, v0, s5
	v_sub_nc_u32_e32 v2, v9, v2
	s_delay_alu instid0(VALU_DEP_1)
	v_mul_lo_u32 v2, v2, s22
	s_cbranch_vccnz .LBB51_67
; %bb.66:                               ;   in Loop: Header=BB51_9 Depth=1
	v_mul_hi_u32 v3, s9, v0
	s_delay_alu instid0(VALU_DEP_1) | instskip(NEXT) | instid1(VALU_DEP_1)
	v_add_nc_u32_e32 v3, v0, v3
	v_lshrrev_b32_e32 v3, s10, v3
	s_delay_alu instid0(VALU_DEP_1) | instskip(NEXT) | instid1(VALU_DEP_1)
	v_mul_lo_u32 v3, v3, s8
	v_sub_nc_u32_e32 v0, v0, v3
	s_delay_alu instid0(VALU_DEP_1) | instskip(NEXT) | instid1(VALU_DEP_1)
	v_mad_u64_u32 v[9:10], null, v0, s23, v[2:3]
	v_mov_b32_e32 v2, v9
.LBB51_67:                              ;   in Loop: Header=BB51_9 Depth=1
	v_mov_b32_e32 v0, v4
	s_mov_b32 s24, exec_lo
	s_delay_alu instid0(VALU_DEP_1)
	v_cmpx_le_u64_e64 s[14:15], v[0:1]
	s_cbranch_execz .LBB51_69
; %bb.68:                               ;   in Loop: Header=BB51_9 Depth=1
	v_cvt_f32_u32_e32 v3, s14
	s_sub_i32 s25, 0, s14
	s_delay_alu instid0(VALU_DEP_1) | instskip(SKIP_2) | instid1(VALU_DEP_1)
	v_rcp_iflag_f32_e32 v3, v3
	s_waitcnt_depctr 0xfff
	v_mul_f32_e32 v3, 0x4f7ffffe, v3
	v_cvt_u32_f32_e32 v3, v3
	s_delay_alu instid0(VALU_DEP_1) | instskip(NEXT) | instid1(VALU_DEP_1)
	v_mul_lo_u32 v4, s25, v3
	v_mul_hi_u32 v4, v3, v4
	s_delay_alu instid0(VALU_DEP_1) | instskip(NEXT) | instid1(VALU_DEP_1)
	v_add_nc_u32_e32 v3, v3, v4
	v_mul_hi_u32 v3, v0, v3
	s_delay_alu instid0(VALU_DEP_1) | instskip(NEXT) | instid1(VALU_DEP_1)
	v_mul_lo_u32 v3, v3, s14
	v_sub_nc_u32_e32 v0, v0, v3
	s_delay_alu instid0(VALU_DEP_1) | instskip(SKIP_1) | instid1(VALU_DEP_2)
	v_subrev_nc_u32_e32 v3, s14, v0
	v_cmp_le_u32_e32 vcc_lo, s14, v0
	v_cndmask_b32_e32 v0, v0, v3, vcc_lo
	s_delay_alu instid0(VALU_DEP_1) | instskip(SKIP_1) | instid1(VALU_DEP_2)
	v_subrev_nc_u32_e32 v3, s14, v0
	v_cmp_le_u32_e32 vcc_lo, s14, v0
	v_cndmask_b32_e32 v0, v0, v3, vcc_lo
.LBB51_69:                              ;   in Loop: Header=BB51_9 Depth=1
	s_or_b32 exec_lo, exec_lo, s24
	s_delay_alu instid0(VALU_DEP_1)
	v_add_co_u32 v3, vcc_lo, v0, s20
	v_add_co_ci_u32_e32 v4, vcc_lo, s21, v1, vcc_lo
	global_store_b64 v2, v[3:4], s[12:13]
.LBB51_70:                              ;   in Loop: Header=BB51_9 Depth=1
	s_or_b32 exec_lo, exec_lo, s39
	v_add_co_u32 v3, vcc_lo, v15, s37
	v_add_co_ci_u32_e32 v4, vcc_lo, 0, v16, vcc_lo
	s_mov_b32 s39, exec_lo
	s_delay_alu instid0(VALU_DEP_1)
	v_cmpx_gt_i64_e64 s[16:17], v[3:4]
	s_cbranch_execz .LBB51_8
; %bb.71:                               ;   in Loop: Header=BB51_9 Depth=1
	s_and_not1_b32 vcc_lo, exec_lo, s11
	s_cbranch_vccnz .LBB51_77
; %bb.72:                               ;   in Loop: Header=BB51_9 Depth=1
	v_mov_b32_e32 v2, 0
	s_and_not1_b32 vcc_lo, exec_lo, s31
	s_cbranch_vccnz .LBB51_81
; %bb.73:                               ;   in Loop: Header=BB51_9 Depth=1
	s_and_not1_b32 vcc_lo, exec_lo, s35
	s_mov_b32 s24, 0
	s_cbranch_vccnz .LBB51_78
; %bb.74:                               ;   in Loop: Header=BB51_9 Depth=1
	v_mov_b32_e32 v2, 0
	v_mov_b32_e32 v0, v3
	s_mov_b32 s40, 0
	s_mov_b64 s[24:25], s[18:19]
	s_mov_b64 s[26:27], s[0:1]
.LBB51_75:                              ;   Parent Loop BB51_9 Depth=1
                                        ; =>  This Inner Loop Header: Depth=2
	s_clause 0x1
	s_load_b256 s[44:51], s[24:25], 0x4
	s_load_b128 s[52:55], s[24:25], 0x24
	s_load_b128 s[56:59], s[26:27], 0x0
	s_add_u32 s24, s24, 48
	s_addc_u32 s25, s25, 0
	s_add_i32 s40, s40, 4
	s_add_u32 s26, s26, 16
	s_addc_u32 s27, s27, 0
	s_cmp_eq_u32 s36, s40
	s_waitcnt lgkmcnt(0)
	v_mul_hi_u32 v4, s45, v0
	s_delay_alu instid0(VALU_DEP_1) | instskip(NEXT) | instid1(VALU_DEP_1)
	v_add_nc_u32_e32 v4, v0, v4
	v_lshrrev_b32_e32 v4, s46, v4
	s_delay_alu instid0(VALU_DEP_1) | instskip(SKIP_1) | instid1(VALU_DEP_2)
	v_mul_hi_u32 v9, s48, v4
	v_mul_lo_u32 v12, v4, s44
	v_add_nc_u32_e32 v9, v4, v9
	s_delay_alu instid0(VALU_DEP_2) | instskip(NEXT) | instid1(VALU_DEP_2)
	v_sub_nc_u32_e32 v12, v0, v12
	v_lshrrev_b32_e32 v9, s49, v9
	s_delay_alu instid0(VALU_DEP_2) | instskip(NEXT) | instid1(VALU_DEP_2)
	v_mul_lo_u32 v12, v12, s56
	v_mul_hi_u32 v10, s51, v9
	v_mul_lo_u32 v18, v9, s47
	s_delay_alu instid0(VALU_DEP_2) | instskip(NEXT) | instid1(VALU_DEP_2)
	v_add_nc_u32_e32 v10, v9, v10
	v_sub_nc_u32_e32 v4, v4, v18
	s_delay_alu instid0(VALU_DEP_2) | instskip(NEXT) | instid1(VALU_DEP_2)
	v_lshrrev_b32_e32 v10, s52, v10
	v_mul_lo_u32 v4, v4, s57
	s_delay_alu instid0(VALU_DEP_2) | instskip(NEXT) | instid1(VALU_DEP_2)
	v_mul_hi_u32 v11, s54, v10
	v_add3_u32 v2, v12, v2, v4
	s_delay_alu instid0(VALU_DEP_2) | instskip(NEXT) | instid1(VALU_DEP_1)
	v_add_nc_u32_e32 v11, v10, v11
	v_lshrrev_b32_e32 v0, s55, v11
	v_mul_lo_u32 v11, v10, s50
	s_delay_alu instid0(VALU_DEP_2) | instskip(NEXT) | instid1(VALU_DEP_2)
	v_mul_lo_u32 v42, v0, s53
	v_sub_nc_u32_e32 v9, v9, v11
	s_delay_alu instid0(VALU_DEP_2) | instskip(NEXT) | instid1(VALU_DEP_2)
	v_sub_nc_u32_e32 v10, v10, v42
	v_mul_lo_u32 v9, v9, s58
	s_delay_alu instid0(VALU_DEP_2) | instskip(NEXT) | instid1(VALU_DEP_1)
	v_mul_lo_u32 v10, v10, s59
	v_add3_u32 v2, v9, v2, v10
	s_cbranch_scc0 .LBB51_75
; %bb.76:                               ;   in Loop: Header=BB51_9 Depth=1
	s_mov_b32 s24, s36
	s_and_not1_b32 vcc_lo, exec_lo, s38
	s_cbranch_vccz .LBB51_79
	s_branch .LBB51_81
.LBB51_77:                              ;   in Loop: Header=BB51_9 Depth=1
                                        ; implicit-def: $vgpr2
	s_branch .LBB51_82
.LBB51_78:                              ;   in Loop: Header=BB51_9 Depth=1
	v_mov_b32_e32 v0, v3
	s_and_not1_b32 vcc_lo, exec_lo, s38
	s_cbranch_vccnz .LBB51_81
.LBB51_79:                              ;   in Loop: Header=BB51_9 Depth=1
	s_lshl_b32 s25, s24, 2
	s_mul_i32 s26, s24, 12
	s_add_u32 s24, s0, s25
	s_addc_u32 s25, s1, 0
	s_add_u32 s26, s18, s26
	s_addc_u32 s27, s19, 0
	s_mov_b32 s40, s34
	.p2align	6
.LBB51_80:                              ;   Parent Loop BB51_9 Depth=1
                                        ; =>  This Inner Loop Header: Depth=2
	s_clause 0x1
	s_load_b64 s[42:43], s[26:27], 0x4
	s_load_b32 s41, s[26:27], 0xc
	s_add_u32 s26, s26, 12
	s_addc_u32 s27, s27, 0
	s_waitcnt lgkmcnt(0)
	v_mul_hi_u32 v4, s43, v0
	s_load_b32 s43, s[24:25], 0x0
	s_add_u32 s24, s24, 4
	s_addc_u32 s25, s25, 0
	s_add_i32 s40, s40, -1
	s_delay_alu instid0(SALU_CYCLE_1) | instskip(NEXT) | instid1(VALU_DEP_1)
	s_cmp_lg_u32 s40, 0
	v_add_nc_u32_e32 v4, v0, v4
	s_delay_alu instid0(VALU_DEP_1) | instskip(NEXT) | instid1(VALU_DEP_1)
	v_lshrrev_b32_e32 v4, s41, v4
	v_mul_lo_u32 v9, v4, s42
	s_delay_alu instid0(VALU_DEP_1) | instskip(SKIP_1) | instid1(VALU_DEP_1)
	v_sub_nc_u32_e32 v0, v0, v9
	s_waitcnt lgkmcnt(0)
	v_mad_u64_u32 v[9:10], null, v0, s43, v[2:3]
	v_mov_b32_e32 v0, v4
	s_delay_alu instid0(VALU_DEP_2)
	v_mov_b32_e32 v2, v9
	s_cbranch_scc1 .LBB51_80
.LBB51_81:                              ;   in Loop: Header=BB51_9 Depth=1
	s_cbranch_execnz .LBB51_84
.LBB51_82:                              ;   in Loop: Header=BB51_9 Depth=1
	v_mul_hi_u32 v0, v3, s6
	s_and_not1_b32 vcc_lo, exec_lo, s4
	s_delay_alu instid0(VALU_DEP_1) | instskip(NEXT) | instid1(VALU_DEP_1)
	v_add_nc_u32_e32 v0, v0, v3
	v_lshrrev_b32_e32 v0, s7, v0
	s_delay_alu instid0(VALU_DEP_1) | instskip(NEXT) | instid1(VALU_DEP_1)
	v_mul_lo_u32 v2, v0, s5
	v_sub_nc_u32_e32 v2, v3, v2
	s_delay_alu instid0(VALU_DEP_1)
	v_mul_lo_u32 v2, v2, s22
	s_cbranch_vccnz .LBB51_84
; %bb.83:                               ;   in Loop: Header=BB51_9 Depth=1
	v_mul_hi_u32 v3, s9, v0
	s_delay_alu instid0(VALU_DEP_1) | instskip(NEXT) | instid1(VALU_DEP_1)
	v_add_nc_u32_e32 v3, v0, v3
	v_lshrrev_b32_e32 v3, s10, v3
	s_delay_alu instid0(VALU_DEP_1) | instskip(NEXT) | instid1(VALU_DEP_1)
	v_mul_lo_u32 v3, v3, s8
	v_sub_nc_u32_e32 v0, v0, v3
	s_delay_alu instid0(VALU_DEP_1) | instskip(NEXT) | instid1(VALU_DEP_1)
	v_mad_u64_u32 v[3:4], null, v0, s23, v[2:3]
	v_mov_b32_e32 v2, v3
.LBB51_84:                              ;   in Loop: Header=BB51_9 Depth=1
	v_mov_b32_e32 v0, v5
	s_mov_b32 s24, exec_lo
	s_delay_alu instid0(VALU_DEP_1)
	v_cmpx_le_u64_e64 s[14:15], v[0:1]
	s_cbranch_execz .LBB51_7
; %bb.85:                               ;   in Loop: Header=BB51_9 Depth=1
	v_cvt_f32_u32_e32 v3, s14
	s_sub_i32 s25, 0, s14
	s_delay_alu instid0(VALU_DEP_1) | instskip(SKIP_2) | instid1(VALU_DEP_1)
	v_rcp_iflag_f32_e32 v3, v3
	s_waitcnt_depctr 0xfff
	v_mul_f32_e32 v3, 0x4f7ffffe, v3
	v_cvt_u32_f32_e32 v3, v3
	s_delay_alu instid0(VALU_DEP_1) | instskip(NEXT) | instid1(VALU_DEP_1)
	v_mul_lo_u32 v4, s25, v3
	v_mul_hi_u32 v4, v3, v4
	s_delay_alu instid0(VALU_DEP_1) | instskip(NEXT) | instid1(VALU_DEP_1)
	v_add_nc_u32_e32 v3, v3, v4
	v_mul_hi_u32 v3, v0, v3
	s_delay_alu instid0(VALU_DEP_1) | instskip(NEXT) | instid1(VALU_DEP_1)
	v_mul_lo_u32 v3, v3, s14
	v_sub_nc_u32_e32 v0, v0, v3
	s_delay_alu instid0(VALU_DEP_1) | instskip(SKIP_1) | instid1(VALU_DEP_2)
	v_subrev_nc_u32_e32 v3, s14, v0
	v_cmp_le_u32_e32 vcc_lo, s14, v0
	v_cndmask_b32_e32 v0, v0, v3, vcc_lo
	s_delay_alu instid0(VALU_DEP_1) | instskip(SKIP_1) | instid1(VALU_DEP_2)
	v_subrev_nc_u32_e32 v3, s14, v0
	v_cmp_le_u32_e32 vcc_lo, s14, v0
	v_cndmask_b32_e32 v0, v0, v3, vcc_lo
	s_branch .LBB51_7
.LBB51_86:
	s_endpgm
.LBB51_87:
                                        ; implicit-def: $sgpr2_sgpr3
	s_branch .LBB51_4
	.section	.rodata,"a",@progbits
	.p2align	6, 0x0
	.amdhsa_kernel _ZN2at6native12_GLOBAL__N_143distribution_elementwise_grid_stride_kernelIjLi4EZZZNS0_9templates4cuda21random_from_to_kernelIPNS_17CUDAGeneratorImplEEEvRNS_18TensorIteratorBaseEmlT_ENKUlvE_clEvENKUlvE11_clEvEUlP25hiprandStatePhilox4_32_10E0_ZNS1_27distribution_nullary_kernelImj15HIP_vector_typeIjLj4EES7_SF_ZZZNS5_IS7_EEvS9_mlSA_ENKSB_clEvENKSC_clEvEUljE_EEvS9_T2_RKT3_T4_EUlijE0_EEvlNS_15PhiloxCudaStateET1_SK_
		.amdhsa_group_segment_fixed_size 0
		.amdhsa_private_segment_fixed_size 0
		.amdhsa_kernarg_size 592
		.amdhsa_user_sgpr_count 15
		.amdhsa_user_sgpr_dispatch_ptr 0
		.amdhsa_user_sgpr_queue_ptr 0
		.amdhsa_user_sgpr_kernarg_segment_ptr 1
		.amdhsa_user_sgpr_dispatch_id 0
		.amdhsa_user_sgpr_private_segment_size 0
		.amdhsa_wavefront_size32 1
		.amdhsa_uses_dynamic_stack 0
		.amdhsa_enable_private_segment 0
		.amdhsa_system_sgpr_workgroup_id_x 1
		.amdhsa_system_sgpr_workgroup_id_y 0
		.amdhsa_system_sgpr_workgroup_id_z 0
		.amdhsa_system_sgpr_workgroup_info 0
		.amdhsa_system_vgpr_workitem_id 0
		.amdhsa_next_free_vgpr 45
		.amdhsa_next_free_sgpr 60
		.amdhsa_reserve_vcc 1
		.amdhsa_float_round_mode_32 0
		.amdhsa_float_round_mode_16_64 0
		.amdhsa_float_denorm_mode_32 3
		.amdhsa_float_denorm_mode_16_64 3
		.amdhsa_dx10_clamp 1
		.amdhsa_ieee_mode 1
		.amdhsa_fp16_overflow 0
		.amdhsa_workgroup_processor_mode 1
		.amdhsa_memory_ordered 1
		.amdhsa_forward_progress 0
		.amdhsa_shared_vgpr_count 0
		.amdhsa_exception_fp_ieee_invalid_op 0
		.amdhsa_exception_fp_denorm_src 0
		.amdhsa_exception_fp_ieee_div_zero 0
		.amdhsa_exception_fp_ieee_overflow 0
		.amdhsa_exception_fp_ieee_underflow 0
		.amdhsa_exception_fp_ieee_inexact 0
		.amdhsa_exception_int_div_zero 0
	.end_amdhsa_kernel
	.section	.text._ZN2at6native12_GLOBAL__N_143distribution_elementwise_grid_stride_kernelIjLi4EZZZNS0_9templates4cuda21random_from_to_kernelIPNS_17CUDAGeneratorImplEEEvRNS_18TensorIteratorBaseEmlT_ENKUlvE_clEvENKUlvE11_clEvEUlP25hiprandStatePhilox4_32_10E0_ZNS1_27distribution_nullary_kernelImj15HIP_vector_typeIjLj4EES7_SF_ZZZNS5_IS7_EEvS9_mlSA_ENKSB_clEvENKSC_clEvEUljE_EEvS9_T2_RKT3_T4_EUlijE0_EEvlNS_15PhiloxCudaStateET1_SK_,"axG",@progbits,_ZN2at6native12_GLOBAL__N_143distribution_elementwise_grid_stride_kernelIjLi4EZZZNS0_9templates4cuda21random_from_to_kernelIPNS_17CUDAGeneratorImplEEEvRNS_18TensorIteratorBaseEmlT_ENKUlvE_clEvENKUlvE11_clEvEUlP25hiprandStatePhilox4_32_10E0_ZNS1_27distribution_nullary_kernelImj15HIP_vector_typeIjLj4EES7_SF_ZZZNS5_IS7_EEvS9_mlSA_ENKSB_clEvENKSC_clEvEUljE_EEvS9_T2_RKT3_T4_EUlijE0_EEvlNS_15PhiloxCudaStateET1_SK_,comdat
.Lfunc_end51:
	.size	_ZN2at6native12_GLOBAL__N_143distribution_elementwise_grid_stride_kernelIjLi4EZZZNS0_9templates4cuda21random_from_to_kernelIPNS_17CUDAGeneratorImplEEEvRNS_18TensorIteratorBaseEmlT_ENKUlvE_clEvENKUlvE11_clEvEUlP25hiprandStatePhilox4_32_10E0_ZNS1_27distribution_nullary_kernelImj15HIP_vector_typeIjLj4EES7_SF_ZZZNS5_IS7_EEvS9_mlSA_ENKSB_clEvENKSC_clEvEUljE_EEvS9_T2_RKT3_T4_EUlijE0_EEvlNS_15PhiloxCudaStateET1_SK_, .Lfunc_end51-_ZN2at6native12_GLOBAL__N_143distribution_elementwise_grid_stride_kernelIjLi4EZZZNS0_9templates4cuda21random_from_to_kernelIPNS_17CUDAGeneratorImplEEEvRNS_18TensorIteratorBaseEmlT_ENKUlvE_clEvENKUlvE11_clEvEUlP25hiprandStatePhilox4_32_10E0_ZNS1_27distribution_nullary_kernelImj15HIP_vector_typeIjLj4EES7_SF_ZZZNS5_IS7_EEvS9_mlSA_ENKSB_clEvENKSC_clEvEUljE_EEvS9_T2_RKT3_T4_EUlijE0_EEvlNS_15PhiloxCudaStateET1_SK_
                                        ; -- End function
	.section	.AMDGPU.csdata,"",@progbits
; Kernel info:
; codeLenInByte = 5780
; NumSgprs: 62
; NumVgprs: 45
; ScratchSize: 0
; MemoryBound: 0
; FloatMode: 240
; IeeeMode: 1
; LDSByteSize: 0 bytes/workgroup (compile time only)
; SGPRBlocks: 7
; VGPRBlocks: 5
; NumSGPRsForWavesPerEU: 62
; NumVGPRsForWavesPerEU: 45
; Occupancy: 16
; WaveLimiterHint : 1
; COMPUTE_PGM_RSRC2:SCRATCH_EN: 0
; COMPUTE_PGM_RSRC2:USER_SGPR: 15
; COMPUTE_PGM_RSRC2:TRAP_HANDLER: 0
; COMPUTE_PGM_RSRC2:TGID_X_EN: 1
; COMPUTE_PGM_RSRC2:TGID_Y_EN: 0
; COMPUTE_PGM_RSRC2:TGID_Z_EN: 0
; COMPUTE_PGM_RSRC2:TIDIG_COMP_CNT: 0
	.section	.text._ZN2at6native12_GLOBAL__N_143distribution_elementwise_grid_stride_kernelImLi2EZZZNS0_9templates4cuda32random_full_64_bits_range_kernelIPNS_17CUDAGeneratorImplEEEvRNS_18TensorIteratorBaseET_ENKUlvE_clEvENKUlvE_clEvEUlP25hiprandStatePhilox4_32_10E_ZNS1_27distribution_nullary_kernelIhm15HIP_vector_typeIyLj2EES7_SF_ZZZNS5_IS7_EEvS9_SA_ENKSB_clEvENKSC_clEvEUlmE_EEvS9_T2_RKT3_T4_EUlimE_EEvlNS_15PhiloxCudaStateET1_SK_,"axG",@progbits,_ZN2at6native12_GLOBAL__N_143distribution_elementwise_grid_stride_kernelImLi2EZZZNS0_9templates4cuda32random_full_64_bits_range_kernelIPNS_17CUDAGeneratorImplEEEvRNS_18TensorIteratorBaseET_ENKUlvE_clEvENKUlvE_clEvEUlP25hiprandStatePhilox4_32_10E_ZNS1_27distribution_nullary_kernelIhm15HIP_vector_typeIyLj2EES7_SF_ZZZNS5_IS7_EEvS9_SA_ENKSB_clEvENKSC_clEvEUlmE_EEvS9_T2_RKT3_T4_EUlimE_EEvlNS_15PhiloxCudaStateET1_SK_,comdat
	.globl	_ZN2at6native12_GLOBAL__N_143distribution_elementwise_grid_stride_kernelImLi2EZZZNS0_9templates4cuda32random_full_64_bits_range_kernelIPNS_17CUDAGeneratorImplEEEvRNS_18TensorIteratorBaseET_ENKUlvE_clEvENKUlvE_clEvEUlP25hiprandStatePhilox4_32_10E_ZNS1_27distribution_nullary_kernelIhm15HIP_vector_typeIyLj2EES7_SF_ZZZNS5_IS7_EEvS9_SA_ENKSB_clEvENKSC_clEvEUlmE_EEvS9_T2_RKT3_T4_EUlimE_EEvlNS_15PhiloxCudaStateET1_SK_ ; -- Begin function _ZN2at6native12_GLOBAL__N_143distribution_elementwise_grid_stride_kernelImLi2EZZZNS0_9templates4cuda32random_full_64_bits_range_kernelIPNS_17CUDAGeneratorImplEEEvRNS_18TensorIteratorBaseET_ENKUlvE_clEvENKUlvE_clEvEUlP25hiprandStatePhilox4_32_10E_ZNS1_27distribution_nullary_kernelIhm15HIP_vector_typeIyLj2EES7_SF_ZZZNS5_IS7_EEvS9_SA_ENKSB_clEvENKSC_clEvEUlmE_EEvS9_T2_RKT3_T4_EUlimE_EEvlNS_15PhiloxCudaStateET1_SK_
	.p2align	8
	.type	_ZN2at6native12_GLOBAL__N_143distribution_elementwise_grid_stride_kernelImLi2EZZZNS0_9templates4cuda32random_full_64_bits_range_kernelIPNS_17CUDAGeneratorImplEEEvRNS_18TensorIteratorBaseET_ENKUlvE_clEvENKUlvE_clEvEUlP25hiprandStatePhilox4_32_10E_ZNS1_27distribution_nullary_kernelIhm15HIP_vector_typeIyLj2EES7_SF_ZZZNS5_IS7_EEvS9_SA_ENKSB_clEvENKSC_clEvEUlmE_EEvS9_T2_RKT3_T4_EUlimE_EEvlNS_15PhiloxCudaStateET1_SK_,@function
_ZN2at6native12_GLOBAL__N_143distribution_elementwise_grid_stride_kernelImLi2EZZZNS0_9templates4cuda32random_full_64_bits_range_kernelIPNS_17CUDAGeneratorImplEEEvRNS_18TensorIteratorBaseET_ENKUlvE_clEvENKUlvE_clEvEUlP25hiprandStatePhilox4_32_10E_ZNS1_27distribution_nullary_kernelIhm15HIP_vector_typeIyLj2EES7_SF_ZZZNS5_IS7_EEvS9_SA_ENKSB_clEvENKSC_clEvEUlmE_EEvS9_T2_RKT3_T4_EUlimE_EEvlNS_15PhiloxCudaStateET1_SK_: ; @_ZN2at6native12_GLOBAL__N_143distribution_elementwise_grid_stride_kernelImLi2EZZZNS0_9templates4cuda32random_full_64_bits_range_kernelIPNS_17CUDAGeneratorImplEEEvRNS_18TensorIteratorBaseET_ENKUlvE_clEvENKUlvE_clEvEUlP25hiprandStatePhilox4_32_10E_ZNS1_27distribution_nullary_kernelIhm15HIP_vector_typeIyLj2EES7_SF_ZZZNS5_IS7_EEvS9_SA_ENKSB_clEvENKSC_clEvEUlmE_EEvS9_T2_RKT3_T4_EUlimE_EEvlNS_15PhiloxCudaStateET1_SK_
; %bb.0:
	s_clause 0x2
	s_load_b64 s[8:9], s[0:1], 0x10
	s_load_b128 s[4:7], s[0:1], 0x0
	s_load_b32 s2, s[0:1], 0x20
	s_waitcnt lgkmcnt(0)
	v_dual_mov_b32 v2, s8 :: v_dual_mov_b32 v3, s9
	v_dual_mov_b32 v11, s7 :: v_dual_mov_b32 v10, s6
	s_bitcmp0_b32 s2, 0
	s_mov_b32 s2, 0
	s_cbranch_scc1 .LBB52_2
; %bb.1:
	v_dual_mov_b32 v1, s8 :: v_dual_mov_b32 v2, s9
	v_dual_mov_b32 v4, s6 :: v_dual_mov_b32 v5, s7
	s_load_b64 s[6:7], s[0:1], 0x18
	flat_load_b64 v[2:3], v[1:2]
	flat_load_b64 v[10:11], v[4:5]
	s_waitcnt vmcnt(1) lgkmcnt(0)
	v_add_co_u32 v2, vcc_lo, v2, s6
	v_add_co_ci_u32_e32 v3, vcc_lo, s7, v3, vcc_lo
.LBB52_2:
	s_clause 0x1
	s_load_b32 s3, s[0:1], 0x4c
	s_load_b32 s11, s[0:1], 0x40
	s_waitcnt lgkmcnt(0)
	s_and_b32 s10, s3, 0xffff
	s_add_u32 s6, s4, -1
	s_mul_i32 s8, s11, s10
	s_addc_u32 s3, s5, -1
	s_lshl_b32 s9, s8, 1
	s_cmp_lg_u64 s[2:3], 0
	s_cbranch_scc0 .LBB52_23
; %bb.3:
	v_cvt_f32_ubyte0_e32 v1, 0
	v_cvt_f32_u32_e32 v4, s9
	s_sub_u32 s12, 0, s9
	s_subb_u32 s13, 0, 0
	s_delay_alu instid0(VALU_DEP_1) | instskip(NEXT) | instid1(VALU_DEP_1)
	v_fmamk_f32 v1, v1, 0x4f800000, v4
	v_rcp_f32_e32 v1, v1
	s_waitcnt_depctr 0xfff
	v_mul_f32_e32 v1, 0x5f7ffffc, v1
	s_delay_alu instid0(VALU_DEP_1) | instskip(NEXT) | instid1(VALU_DEP_1)
	v_mul_f32_e32 v4, 0x2f800000, v1
	v_trunc_f32_e32 v4, v4
	s_delay_alu instid0(VALU_DEP_1) | instskip(SKIP_1) | instid1(VALU_DEP_2)
	v_fmamk_f32 v1, v4, 0xcf800000, v1
	v_cvt_u32_f32_e32 v4, v4
	v_cvt_u32_f32_e32 v1, v1
	s_delay_alu instid0(VALU_DEP_2) | instskip(NEXT) | instid1(VALU_DEP_2)
	v_readfirstlane_b32 s2, v4
	v_readfirstlane_b32 s7, v1
	s_delay_alu instid0(VALU_DEP_2) | instskip(NEXT) | instid1(VALU_DEP_1)
	s_mul_i32 s14, s12, s2
	s_mul_hi_u32 s17, s12, s7
	s_mul_i32 s16, s13, s7
	s_add_i32 s14, s17, s14
	s_mul_i32 s18, s12, s7
	s_add_i32 s14, s14, s16
	s_mul_hi_u32 s17, s7, s18
	s_mul_hi_u32 s19, s2, s18
	s_mul_i32 s16, s2, s18
	s_mul_hi_u32 s18, s7, s14
	s_mul_i32 s7, s7, s14
	s_mul_hi_u32 s20, s2, s14
	s_add_u32 s7, s17, s7
	s_addc_u32 s17, 0, s18
	s_add_u32 s7, s7, s16
	s_mul_i32 s14, s2, s14
	s_addc_u32 s7, s17, s19
	s_addc_u32 s16, s20, 0
	s_add_u32 s7, s7, s14
	s_addc_u32 s14, 0, s16
	v_add_co_u32 v1, s7, v1, s7
	s_delay_alu instid0(VALU_DEP_1) | instskip(SKIP_1) | instid1(VALU_DEP_1)
	s_cmp_lg_u32 s7, 0
	s_addc_u32 s2, s2, s14
	v_readfirstlane_b32 s7, v1
	s_mul_i32 s14, s12, s2
	s_delay_alu instid0(VALU_DEP_1)
	s_mul_hi_u32 s16, s12, s7
	s_mul_i32 s13, s13, s7
	s_add_i32 s14, s16, s14
	s_mul_i32 s12, s12, s7
	s_add_i32 s14, s14, s13
	s_mul_hi_u32 s16, s2, s12
	s_mul_i32 s17, s2, s12
	s_mul_hi_u32 s12, s7, s12
	s_mul_hi_u32 s18, s7, s14
	s_mul_i32 s7, s7, s14
	s_mul_hi_u32 s13, s2, s14
	s_add_u32 s7, s12, s7
	s_addc_u32 s12, 0, s18
	s_add_u32 s7, s7, s17
	s_mul_i32 s14, s2, s14
	s_addc_u32 s7, s12, s16
	s_addc_u32 s12, s13, 0
	s_add_u32 s7, s7, s14
	s_addc_u32 s12, 0, s12
	v_add_co_u32 v1, s7, v1, s7
	s_delay_alu instid0(VALU_DEP_1) | instskip(SKIP_2) | instid1(VALU_DEP_1)
	s_cmp_lg_u32 s7, 0
	s_addc_u32 s7, s2, s12
	s_ashr_i32 s12, s3, 31
	v_readfirstlane_b32 s14, v1
	s_add_u32 s2, s6, s12
	s_mov_b32 s13, s12
	s_addc_u32 s3, s3, s12
	s_delay_alu instid0(SALU_CYCLE_1) | instskip(NEXT) | instid1(SALU_CYCLE_1)
	s_xor_b64 s[2:3], s[2:3], s[12:13]
	s_mul_i32 s17, s2, s7
	s_mul_hi_u32 s18, s2, s14
	s_mul_hi_u32 s16, s2, s7
	;; [unrolled: 1-line block ×3, first 2 shown]
	s_mul_i32 s14, s3, s14
	s_add_u32 s17, s18, s17
	s_addc_u32 s16, 0, s16
	s_mul_hi_u32 s19, s3, s7
	s_add_u32 s14, s17, s14
	s_mul_i32 s7, s3, s7
	s_addc_u32 s14, s16, s20
	s_addc_u32 s16, s19, 0
	s_add_u32 s7, s14, s7
	s_addc_u32 s14, 0, s16
	s_mul_i32 s17, s9, s7
	s_add_u32 s16, s7, 1
	v_sub_co_u32 v1, s2, s2, s17
	s_mul_hi_u32 s17, s9, s7
	s_addc_u32 s18, s14, 0
	s_mul_i32 s19, s9, s14
	s_delay_alu instid0(VALU_DEP_1)
	v_sub_co_u32 v4, s20, v1, s9
	s_add_u32 s21, s7, 2
	s_addc_u32 s22, s14, 0
	s_add_i32 s17, s17, s19
	s_cmp_lg_u32 s2, 0
	v_readfirstlane_b32 s2, v4
	s_subb_u32 s3, s3, s17
	s_cmp_lg_u32 s20, 0
	s_subb_u32 s17, s3, 0
	s_delay_alu instid0(VALU_DEP_1) | instskip(SKIP_4) | instid1(SALU_CYCLE_1)
	s_cmp_ge_u32 s2, s9
	s_cselect_b32 s2, -1, 0
	s_cmp_eq_u32 s17, 0
	v_readfirstlane_b32 s17, v1
	s_cselect_b32 s2, s2, -1
	s_cmp_lg_u32 s2, 0
	s_cselect_b32 s2, s21, s16
	s_cselect_b32 s16, s22, s18
	s_cmp_ge_u32 s17, s9
	s_cselect_b32 s17, -1, 0
	s_cmp_eq_u32 s3, 0
	s_cselect_b32 s3, s17, -1
	s_delay_alu instid0(SALU_CYCLE_1) | instskip(SKIP_2) | instid1(SALU_CYCLE_1)
	s_cmp_lg_u32 s3, 0
	s_cselect_b32 s3, s16, s14
	s_cselect_b32 s2, s2, s7
	s_xor_b64 s[2:3], s[2:3], s[12:13]
	s_delay_alu instid0(SALU_CYCLE_1)
	s_sub_u32 s2, s2, s12
	s_subb_u32 s3, s3, s12
	s_cbranch_execnz .LBB52_5
.LBB52_4:
	v_cvt_f32_u32_e32 v1, s9
	s_sub_i32 s3, 0, s9
	s_delay_alu instid0(VALU_DEP_1) | instskip(SKIP_2) | instid1(VALU_DEP_1)
	v_rcp_iflag_f32_e32 v1, v1
	s_waitcnt_depctr 0xfff
	v_mul_f32_e32 v1, 0x4f7ffffe, v1
	v_cvt_u32_f32_e32 v1, v1
	s_delay_alu instid0(VALU_DEP_1) | instskip(NEXT) | instid1(VALU_DEP_1)
	v_readfirstlane_b32 s2, v1
	s_mul_i32 s3, s3, s2
	s_delay_alu instid0(SALU_CYCLE_1) | instskip(NEXT) | instid1(SALU_CYCLE_1)
	s_mul_hi_u32 s3, s2, s3
	s_add_i32 s2, s2, s3
	s_delay_alu instid0(SALU_CYCLE_1) | instskip(NEXT) | instid1(SALU_CYCLE_1)
	s_mul_hi_u32 s2, s6, s2
	s_mul_i32 s3, s2, s9
	s_delay_alu instid0(SALU_CYCLE_1)
	s_sub_i32 s3, s6, s3
	s_add_i32 s6, s2, 1
	s_sub_i32 s7, s3, s9
	s_cmp_ge_u32 s3, s9
	s_cselect_b32 s2, s6, s2
	s_cselect_b32 s3, s7, s3
	s_add_i32 s6, s2, 1
	s_cmp_ge_u32 s3, s9
	s_mov_b32 s3, 0
	s_cselect_b32 s2, s6, s2
.LBB52_5:
	v_mov_b32_e32 v1, 0
	s_add_u32 s2, s2, 1
	s_addc_u32 s3, s3, 0
	s_mul_hi_u32 s6, s8, s2
	s_mul_i32 s3, s8, s3
	v_mad_u64_u32 v[12:13], null, s10, s15, v[0:1]
	s_mul_hi_u32 s7, s11, s10
	s_add_i32 s3, s6, s3
	s_mul_i32 s7, s7, s2
	s_mul_i32 s2, s8, s2
	s_add_i32 s3, s3, s7
	s_mov_b32 s6, exec_lo
	s_lshl_b64 s[2:3], s[2:3], 1
	s_delay_alu instid0(SALU_CYCLE_1)
	v_cmpx_gt_i64_e64 s[2:3], v[12:13]
	s_cbranch_execz .LBB52_22
; %bb.6:
	v_mad_u64_u32 v[4:5], null, 0xcd9e8d57, v12, 0
	v_alignbit_b32 v16, v3, v2, 2
	v_lshrrev_b32_e32 v17, 2, v3
	s_waitcnt vmcnt(0)
	v_dual_mov_b32 v33, v11 :: v_dual_and_b32 v34, 3, v2
	v_add_co_u32 v19, null, 0x9e3779b9, v10
	v_mad_u64_u32 v[6:7], null, 0xd2511f53, v16, 0
	v_xor3_b32 v1, v10, v5, v17
	s_delay_alu instid0(VALU_DEP_4) | instskip(SKIP_1) | instid1(VALU_DEP_3)
	v_add_co_u32 v18, null, 0xbb67ae85, v33
	v_add_co_u32 v20, null, 0x3c6ef372, v10
	v_mad_u64_u32 v[8:9], null, 0xd2511f53, v1, 0
	v_xor_b32_e32 v1, v7, v11
	v_add_co_u32 v21, null, 0x76cf5d0a, v33
	v_add_co_u32 v22, null, 0x32370b8f, v33
	s_delay_alu instid0(VALU_DEP_3) | instskip(SKIP_3) | instid1(VALU_DEP_4)
	v_xor_b32_e32 v1, v1, v13
	v_xor3_b32 v3, v18, v9, v6
	v_add_co_u32 v23, null, 0xdaa66d2b, v10
	v_add_co_u32 v24, null, 0x78dde6e4, v10
	v_mad_u64_u32 v[5:6], null, 0xcd9e8d57, v1, 0
	s_delay_alu instid0(VALU_DEP_4) | instskip(SKIP_2) | instid1(VALU_DEP_4)
	v_mad_u64_u32 v[14:15], null, 0xcd9e8d57, v3, 0
	v_add_co_u32 v25, null, 0xed9eba14, v33
	v_add_co_u32 v26, null, 0xa9066899, v33
	v_xor3_b32 v1, v19, v6, v4
	v_add_co_u32 v27, null, 0x1715609d, v10
	v_xor3_b32 v7, v20, v15, v5
	v_add_co_u32 v28, null, 0xb54cda56, v10
	s_delay_alu instid0(VALU_DEP_4) | instskip(NEXT) | instid1(VALU_DEP_3)
	v_mad_u64_u32 v[3:4], null, 0xd2511f53, v1, 0
	v_mad_u64_u32 v[5:6], null, 0xd2511f53, v7, 0
	v_add_co_u32 v29, null, 0x646e171e, v33
	v_add_co_u32 v30, null, 0x1fd5c5a3, v33
	s_delay_alu instid0(VALU_DEP_4)
	v_xor3_b32 v1, v21, v4, v8
	v_add_co_u32 v31, null, 0x5384540f, v10
	v_xor3_b32 v8, v22, v6, v3
	s_clause 0x1
	s_load_b64 s[6:7], s[0:1], 0x30
	s_load_b32 s0, s[0:1], 0x38
	v_mad_u64_u32 v[3:4], null, 0xcd9e8d57, v1, 0
	v_add_co_u32 v32, null, 0xf1bbcdc8, v10
	v_mad_u64_u32 v[6:7], null, 0xcd9e8d57, v8, 0
	v_add_co_u32 v33, null, 0xdb3d7428, v33
	s_delay_alu instid0(VALU_DEP_4) | instskip(SKIP_3) | instid1(VALU_DEP_4)
	v_xor3_b32 v1, v23, v4, v14
	v_dual_mov_b32 v39, v12 :: v_dual_add_nc_u32 v36, 0x96a522ad, v11
	v_dual_mov_b32 v40, v13 :: v_dual_add_nc_u32 v35, 0x8ff34781, v10
	v_xor3_b32 v9, v24, v7, v3
	v_mad_u64_u32 v[3:4], null, 0xd2511f53, v1, 0
	s_delay_alu instid0(VALU_DEP_2) | instskip(SKIP_2) | instid1(VALU_DEP_2)
	v_mad_u64_u32 v[7:8], null, 0xd2511f53, v9, 0
	s_waitcnt lgkmcnt(0)
	s_mul_i32 s1, s11, s0
	v_xor3_b32 v1, v25, v4, v5
	s_mul_i32 s1, s1, s10
	s_delay_alu instid0(SALU_CYCLE_1) | instskip(NEXT) | instid1(VALU_DEP_2)
	s_lshl_b32 s1, s1, 1
	v_xor3_b32 v5, v26, v8, v3
	s_delay_alu instid0(VALU_DEP_2) | instskip(NEXT) | instid1(VALU_DEP_2)
	v_mad_u64_u32 v[3:4], null, 0xcd9e8d57, v1, 0
	v_mad_u64_u32 v[8:9], null, 0xcd9e8d57, v5, 0
	s_delay_alu instid0(VALU_DEP_2) | instskip(NEXT) | instid1(VALU_DEP_2)
	v_xor3_b32 v1, v27, v4, v6
	v_xor3_b32 v9, v28, v9, v3
	s_delay_alu instid0(VALU_DEP_2) | instskip(NEXT) | instid1(VALU_DEP_2)
	v_mad_u64_u32 v[3:4], null, 0xd2511f53, v1, 0
	v_mad_u64_u32 v[5:6], null, 0xd2511f53, v9, 0
	s_delay_alu instid0(VALU_DEP_2) | instskip(NEXT) | instid1(VALU_DEP_2)
	v_xor3_b32 v1, v29, v4, v7
	v_xor3_b32 v9, v30, v6, v3
	s_delay_alu instid0(VALU_DEP_2) | instskip(SKIP_1) | instid1(VALU_DEP_3)
	v_mad_u64_u32 v[3:4], null, 0xcd9e8d57, v1, 0
	v_mad_u64_u32 v[14:15], null, s15, s10, v[0:1]
	;; [unrolled: 1-line block ×3, first 2 shown]
	s_add_i32 s15, s15, s11
	s_delay_alu instid0(VALU_DEP_3) | instskip(SKIP_1) | instid1(VALU_DEP_4)
	v_xor3_b32 v4, v31, v4, v8
	v_mad_u64_u32 v[8:9], null, s15, s10, v[0:1]
	v_mul_lo_u32 v37, s0, v14
	s_delay_alu instid0(VALU_DEP_4) | instskip(NEXT) | instid1(VALU_DEP_4)
	v_xor3_b32 v6, v32, v7, v3
	v_mad_u64_u32 v[0:1], null, 0xd2511f53, v4, 0
	s_mov_b32 s10, 0
	s_delay_alu instid0(VALU_DEP_2) | instskip(SKIP_2) | instid1(VALU_DEP_3)
	v_mad_u64_u32 v[3:4], null, 0xd2511f53, v6, 0
	v_mul_lo_u32 v38, s0, v8
	s_mov_b32 s0, 0
	v_xor3_b32 v5, v33, v1, v5
	s_delay_alu instid0(VALU_DEP_1) | instskip(NEXT) | instid1(VALU_DEP_4)
	v_mad_u64_u32 v[1:2], null, 0xcd9e8d57, v5, 0
	v_xor3_b32 v2, v4, v0, v36
	s_branch .LBB52_8
.LBB52_7:                               ;   in Loop: Header=BB52_8 Depth=1
	s_or_b32 exec_lo, exec_lo, s11
	v_add_co_u32 v12, vcc_lo, v12, s9
	v_add_co_ci_u32_e32 v13, vcc_lo, 0, v13, vcc_lo
	v_mov_b32_e32 v6, v14
	v_mov_b32_e32 v0, v3
	v_dual_mov_b32 v1, v4 :: v_dual_mov_b32 v2, v5
	s_delay_alu instid0(VALU_DEP_4) | instskip(NEXT) | instid1(VALU_DEP_4)
	v_cmp_le_i64_e32 vcc_lo, s[2:3], v[12:13]
	v_mov_b32_e32 v3, v6
	s_add_i32 s10, s10, s1
	s_waitcnt_vscnt null, 0x0
	s_barrier
	buffer_gl0_inv
	s_or_b32 s0, vcc_lo, s0
	s_delay_alu instid0(SALU_CYCLE_1)
	s_and_not1_b32 exec_lo, exec_lo, s0
	s_cbranch_execz .LBB52_22
.LBB52_8:                               ; =>This Inner Loop Header: Depth=1
	v_add_co_u32 v16, vcc_lo, v16, 1
	s_delay_alu instid0(VALU_DEP_1) | instskip(SKIP_1) | instid1(VALU_DEP_3)
	v_cndmask_b32_e64 v0, 0, 1, vcc_lo
	v_add_co_ci_u32_e32 v17, vcc_lo, 0, v17, vcc_lo
	v_mad_u64_u32 v[4:5], null, 0xd2511f53, v16, 0
	s_mov_b32 s11, exec_lo
	s_delay_alu instid0(VALU_DEP_2) | instskip(SKIP_1) | instid1(VALU_DEP_1)
	v_cmp_eq_u32_e32 vcc_lo, 0, v17
	v_cndmask_b32_e32 v0, 0, v0, vcc_lo
	v_add_nc_u32_e32 v39, v0, v39
	s_delay_alu instid0(VALU_DEP_1) | instskip(SKIP_2) | instid1(VALU_DEP_2)
	v_cmp_eq_u32_e32 vcc_lo, 0, v39
	v_cndmask_b32_e32 v0, 0, v0, vcc_lo
	v_mad_u64_u32 v[6:7], null, 0xcd9e8d57, v39, 0
	v_add_nc_u32_e32 v40, v0, v40
	v_xor_b32_e32 v0, v5, v11
	s_delay_alu instid0(VALU_DEP_3) | instskip(NEXT) | instid1(VALU_DEP_2)
	v_xor3_b32 v5, v7, v10, v17
	v_xor_b32_e32 v0, v40, v0
	s_delay_alu instid0(VALU_DEP_2) | instskip(NEXT) | instid1(VALU_DEP_2)
	v_mad_u64_u32 v[7:8], null, 0xd2511f53, v5, 0
	v_mad_u64_u32 v[14:15], null, 0xcd9e8d57, v0, 0
	s_delay_alu instid0(VALU_DEP_2) | instskip(NEXT) | instid1(VALU_DEP_2)
	v_xor3_b32 v0, v18, v8, v4
	v_xor3_b32 v6, v19, v15, v6
	s_delay_alu instid0(VALU_DEP_2) | instskip(NEXT) | instid1(VALU_DEP_2)
	v_mad_u64_u32 v[4:5], null, 0xcd9e8d57, v0, 0
	v_mad_u64_u32 v[8:9], null, 0xd2511f53, v6, 0
	s_delay_alu instid0(VALU_DEP_2) | instskip(NEXT) | instid1(VALU_DEP_2)
	v_xor3_b32 v0, v20, v5, v14
	v_xor3_b32 v7, v21, v9, v7
	;; [unrolled: 6-line block ×9, first 2 shown]
	s_delay_alu instid0(VALU_DEP_2)
	v_mov_b32_e32 v5, v8
	v_cmpx_lt_i32_e32 1, v34
	s_xor_b32 s11, exec_lo, s11
	s_cbranch_execnz .LBB52_14
; %bb.9:                                ;   in Loop: Header=BB52_8 Depth=1
	s_and_not1_saveexec_b32 s11, s11
	s_cbranch_execnz .LBB52_19
.LBB52_10:                              ;   in Loop: Header=BB52_8 Depth=1
	s_or_b32 exec_lo, exec_lo, s11
	s_delay_alu instid0(SALU_CYCLE_1)
	s_mov_b32 s11, exec_lo
	v_cmpx_gt_i64_e64 s[4:5], v[12:13]
	s_cbranch_execz .LBB52_12
.LBB52_11:                              ;   in Loop: Header=BB52_8 Depth=1
	v_add_nc_u32_e32 v0, s10, v37
	s_delay_alu instid0(VALU_DEP_1) | instskip(SKIP_1) | instid1(VALU_DEP_2)
	v_ashrrev_i32_e32 v2, 31, v0
	v_add_co_u32 v6, vcc_lo, s6, v0
	v_add_co_ci_u32_e32 v7, vcc_lo, s7, v2, vcc_lo
	global_store_b8 v[6:7], v1, off
.LBB52_12:                              ;   in Loop: Header=BB52_8 Depth=1
	s_or_b32 exec_lo, exec_lo, s11
	v_add_co_u32 v0, vcc_lo, s8, v12
	v_add_co_ci_u32_e32 v1, vcc_lo, 0, v13, vcc_lo
	s_mov_b32 s11, exec_lo
	s_delay_alu instid0(VALU_DEP_1)
	v_cmpx_gt_i64_e64 s[4:5], v[0:1]
	s_cbranch_execz .LBB52_7
; %bb.13:                               ;   in Loop: Header=BB52_8 Depth=1
	v_add_nc_u32_e32 v0, s10, v38
	s_delay_alu instid0(VALU_DEP_1) | instskip(SKIP_1) | instid1(VALU_DEP_2)
	v_ashrrev_i32_e32 v1, 31, v0
	v_add_co_u32 v0, vcc_lo, s6, v0
	v_add_co_ci_u32_e32 v1, vcc_lo, s7, v1, vcc_lo
	global_store_b8 v[0:1], v3, off
	s_branch .LBB52_7
.LBB52_14:                              ;   in Loop: Header=BB52_8 Depth=1
	s_mov_b32 s12, exec_lo
	v_cmpx_lt_i32_e32 2, v34
	s_xor_b32 s12, exec_lo, s12
; %bb.15:                               ;   in Loop: Header=BB52_8 Depth=1
	v_dual_mov_b32 v0, v5 :: v_dual_mov_b32 v1, v6
	v_dual_mov_b32 v2, v7 :: v_dual_mov_b32 v3, v8
; %bb.16:                               ;   in Loop: Header=BB52_8 Depth=1
	s_and_not1_saveexec_b32 s12, s12
; %bb.17:                               ;   in Loop: Header=BB52_8 Depth=1
	s_delay_alu instid0(VALU_DEP_1)
	v_mov_b32_e32 v1, v3
	v_mov_b32_e32 v3, v4
; %bb.18:                               ;   in Loop: Header=BB52_8 Depth=1
	s_or_b32 exec_lo, exec_lo, s12
                                        ; implicit-def: $vgpr6_vgpr7_vgpr8_vgpr9
	s_and_not1_saveexec_b32 s11, s11
	s_cbranch_execz .LBB52_10
.LBB52_19:                              ;   in Loop: Header=BB52_8 Depth=1
	s_mov_b32 s12, exec_lo
	v_cmpx_eq_u32_e32 1, v34
; %bb.20:                               ;   in Loop: Header=BB52_8 Depth=1
	v_mov_b32_e32 v1, v2
	v_mov_b32_e32 v3, v6
; %bb.21:                               ;   in Loop: Header=BB52_8 Depth=1
	s_or_b32 exec_lo, exec_lo, s12
	s_delay_alu instid0(SALU_CYCLE_1) | instskip(NEXT) | instid1(SALU_CYCLE_1)
	s_or_b32 exec_lo, exec_lo, s11
	s_mov_b32 s11, exec_lo
	v_cmpx_gt_i64_e64 s[4:5], v[12:13]
	s_cbranch_execnz .LBB52_11
	s_branch .LBB52_12
.LBB52_22:
	s_endpgm
.LBB52_23:
                                        ; implicit-def: $sgpr2_sgpr3
	s_branch .LBB52_4
	.section	.rodata,"a",@progbits
	.p2align	6, 0x0
	.amdhsa_kernel _ZN2at6native12_GLOBAL__N_143distribution_elementwise_grid_stride_kernelImLi2EZZZNS0_9templates4cuda32random_full_64_bits_range_kernelIPNS_17CUDAGeneratorImplEEEvRNS_18TensorIteratorBaseET_ENKUlvE_clEvENKUlvE_clEvEUlP25hiprandStatePhilox4_32_10E_ZNS1_27distribution_nullary_kernelIhm15HIP_vector_typeIyLj2EES7_SF_ZZZNS5_IS7_EEvS9_SA_ENKSB_clEvENKSC_clEvEUlmE_EEvS9_T2_RKT3_T4_EUlimE_EEvlNS_15PhiloxCudaStateET1_SK_
		.amdhsa_group_segment_fixed_size 0
		.amdhsa_private_segment_fixed_size 0
		.amdhsa_kernarg_size 320
		.amdhsa_user_sgpr_count 15
		.amdhsa_user_sgpr_dispatch_ptr 0
		.amdhsa_user_sgpr_queue_ptr 0
		.amdhsa_user_sgpr_kernarg_segment_ptr 1
		.amdhsa_user_sgpr_dispatch_id 0
		.amdhsa_user_sgpr_private_segment_size 0
		.amdhsa_wavefront_size32 1
		.amdhsa_uses_dynamic_stack 0
		.amdhsa_enable_private_segment 0
		.amdhsa_system_sgpr_workgroup_id_x 1
		.amdhsa_system_sgpr_workgroup_id_y 0
		.amdhsa_system_sgpr_workgroup_id_z 0
		.amdhsa_system_sgpr_workgroup_info 0
		.amdhsa_system_vgpr_workitem_id 0
		.amdhsa_next_free_vgpr 43
		.amdhsa_next_free_sgpr 23
		.amdhsa_reserve_vcc 1
		.amdhsa_float_round_mode_32 0
		.amdhsa_float_round_mode_16_64 0
		.amdhsa_float_denorm_mode_32 3
		.amdhsa_float_denorm_mode_16_64 3
		.amdhsa_dx10_clamp 1
		.amdhsa_ieee_mode 1
		.amdhsa_fp16_overflow 0
		.amdhsa_workgroup_processor_mode 1
		.amdhsa_memory_ordered 1
		.amdhsa_forward_progress 0
		.amdhsa_shared_vgpr_count 0
		.amdhsa_exception_fp_ieee_invalid_op 0
		.amdhsa_exception_fp_denorm_src 0
		.amdhsa_exception_fp_ieee_div_zero 0
		.amdhsa_exception_fp_ieee_overflow 0
		.amdhsa_exception_fp_ieee_underflow 0
		.amdhsa_exception_fp_ieee_inexact 0
		.amdhsa_exception_int_div_zero 0
	.end_amdhsa_kernel
	.section	.text._ZN2at6native12_GLOBAL__N_143distribution_elementwise_grid_stride_kernelImLi2EZZZNS0_9templates4cuda32random_full_64_bits_range_kernelIPNS_17CUDAGeneratorImplEEEvRNS_18TensorIteratorBaseET_ENKUlvE_clEvENKUlvE_clEvEUlP25hiprandStatePhilox4_32_10E_ZNS1_27distribution_nullary_kernelIhm15HIP_vector_typeIyLj2EES7_SF_ZZZNS5_IS7_EEvS9_SA_ENKSB_clEvENKSC_clEvEUlmE_EEvS9_T2_RKT3_T4_EUlimE_EEvlNS_15PhiloxCudaStateET1_SK_,"axG",@progbits,_ZN2at6native12_GLOBAL__N_143distribution_elementwise_grid_stride_kernelImLi2EZZZNS0_9templates4cuda32random_full_64_bits_range_kernelIPNS_17CUDAGeneratorImplEEEvRNS_18TensorIteratorBaseET_ENKUlvE_clEvENKUlvE_clEvEUlP25hiprandStatePhilox4_32_10E_ZNS1_27distribution_nullary_kernelIhm15HIP_vector_typeIyLj2EES7_SF_ZZZNS5_IS7_EEvS9_SA_ENKSB_clEvENKSC_clEvEUlmE_EEvS9_T2_RKT3_T4_EUlimE_EEvlNS_15PhiloxCudaStateET1_SK_,comdat
.Lfunc_end52:
	.size	_ZN2at6native12_GLOBAL__N_143distribution_elementwise_grid_stride_kernelImLi2EZZZNS0_9templates4cuda32random_full_64_bits_range_kernelIPNS_17CUDAGeneratorImplEEEvRNS_18TensorIteratorBaseET_ENKUlvE_clEvENKUlvE_clEvEUlP25hiprandStatePhilox4_32_10E_ZNS1_27distribution_nullary_kernelIhm15HIP_vector_typeIyLj2EES7_SF_ZZZNS5_IS7_EEvS9_SA_ENKSB_clEvENKSC_clEvEUlmE_EEvS9_T2_RKT3_T4_EUlimE_EEvlNS_15PhiloxCudaStateET1_SK_, .Lfunc_end52-_ZN2at6native12_GLOBAL__N_143distribution_elementwise_grid_stride_kernelImLi2EZZZNS0_9templates4cuda32random_full_64_bits_range_kernelIPNS_17CUDAGeneratorImplEEEvRNS_18TensorIteratorBaseET_ENKUlvE_clEvENKUlvE_clEvEUlP25hiprandStatePhilox4_32_10E_ZNS1_27distribution_nullary_kernelIhm15HIP_vector_typeIyLj2EES7_SF_ZZZNS5_IS7_EEvS9_SA_ENKSB_clEvENKSC_clEvEUlmE_EEvS9_T2_RKT3_T4_EUlimE_EEvlNS_15PhiloxCudaStateET1_SK_
                                        ; -- End function
	.section	.AMDGPU.csdata,"",@progbits
; Kernel info:
; codeLenInByte = 2572
; NumSgprs: 25
; NumVgprs: 43
; ScratchSize: 0
; MemoryBound: 0
; FloatMode: 240
; IeeeMode: 1
; LDSByteSize: 0 bytes/workgroup (compile time only)
; SGPRBlocks: 3
; VGPRBlocks: 5
; NumSGPRsForWavesPerEU: 25
; NumVGPRsForWavesPerEU: 43
; Occupancy: 16
; WaveLimiterHint : 0
; COMPUTE_PGM_RSRC2:SCRATCH_EN: 0
; COMPUTE_PGM_RSRC2:USER_SGPR: 15
; COMPUTE_PGM_RSRC2:TRAP_HANDLER: 0
; COMPUTE_PGM_RSRC2:TGID_X_EN: 1
; COMPUTE_PGM_RSRC2:TGID_Y_EN: 0
; COMPUTE_PGM_RSRC2:TGID_Z_EN: 0
; COMPUTE_PGM_RSRC2:TIDIG_COMP_CNT: 0
	.section	.text._ZN2at6native12_GLOBAL__N_143distribution_elementwise_grid_stride_kernelImLi2EZZZNS0_9templates4cuda32random_full_64_bits_range_kernelIPNS_17CUDAGeneratorImplEEEvRNS_18TensorIteratorBaseET_ENKUlvE_clEvENKUlvE_clEvEUlP25hiprandStatePhilox4_32_10E_ZNS1_27distribution_nullary_kernelIhm15HIP_vector_typeIyLj2EES7_SF_ZZZNS5_IS7_EEvS9_SA_ENKSB_clEvENKSC_clEvEUlmE_EEvS9_T2_RKT3_T4_EUlimE0_EEvlNS_15PhiloxCudaStateET1_SK_,"axG",@progbits,_ZN2at6native12_GLOBAL__N_143distribution_elementwise_grid_stride_kernelImLi2EZZZNS0_9templates4cuda32random_full_64_bits_range_kernelIPNS_17CUDAGeneratorImplEEEvRNS_18TensorIteratorBaseET_ENKUlvE_clEvENKUlvE_clEvEUlP25hiprandStatePhilox4_32_10E_ZNS1_27distribution_nullary_kernelIhm15HIP_vector_typeIyLj2EES7_SF_ZZZNS5_IS7_EEvS9_SA_ENKSB_clEvENKSC_clEvEUlmE_EEvS9_T2_RKT3_T4_EUlimE0_EEvlNS_15PhiloxCudaStateET1_SK_,comdat
	.globl	_ZN2at6native12_GLOBAL__N_143distribution_elementwise_grid_stride_kernelImLi2EZZZNS0_9templates4cuda32random_full_64_bits_range_kernelIPNS_17CUDAGeneratorImplEEEvRNS_18TensorIteratorBaseET_ENKUlvE_clEvENKUlvE_clEvEUlP25hiprandStatePhilox4_32_10E_ZNS1_27distribution_nullary_kernelIhm15HIP_vector_typeIyLj2EES7_SF_ZZZNS5_IS7_EEvS9_SA_ENKSB_clEvENKSC_clEvEUlmE_EEvS9_T2_RKT3_T4_EUlimE0_EEvlNS_15PhiloxCudaStateET1_SK_ ; -- Begin function _ZN2at6native12_GLOBAL__N_143distribution_elementwise_grid_stride_kernelImLi2EZZZNS0_9templates4cuda32random_full_64_bits_range_kernelIPNS_17CUDAGeneratorImplEEEvRNS_18TensorIteratorBaseET_ENKUlvE_clEvENKUlvE_clEvEUlP25hiprandStatePhilox4_32_10E_ZNS1_27distribution_nullary_kernelIhm15HIP_vector_typeIyLj2EES7_SF_ZZZNS5_IS7_EEvS9_SA_ENKSB_clEvENKSC_clEvEUlmE_EEvS9_T2_RKT3_T4_EUlimE0_EEvlNS_15PhiloxCudaStateET1_SK_
	.p2align	8
	.type	_ZN2at6native12_GLOBAL__N_143distribution_elementwise_grid_stride_kernelImLi2EZZZNS0_9templates4cuda32random_full_64_bits_range_kernelIPNS_17CUDAGeneratorImplEEEvRNS_18TensorIteratorBaseET_ENKUlvE_clEvENKUlvE_clEvEUlP25hiprandStatePhilox4_32_10E_ZNS1_27distribution_nullary_kernelIhm15HIP_vector_typeIyLj2EES7_SF_ZZZNS5_IS7_EEvS9_SA_ENKSB_clEvENKSC_clEvEUlmE_EEvS9_T2_RKT3_T4_EUlimE0_EEvlNS_15PhiloxCudaStateET1_SK_,@function
_ZN2at6native12_GLOBAL__N_143distribution_elementwise_grid_stride_kernelImLi2EZZZNS0_9templates4cuda32random_full_64_bits_range_kernelIPNS_17CUDAGeneratorImplEEEvRNS_18TensorIteratorBaseET_ENKUlvE_clEvENKUlvE_clEvEUlP25hiprandStatePhilox4_32_10E_ZNS1_27distribution_nullary_kernelIhm15HIP_vector_typeIyLj2EES7_SF_ZZZNS5_IS7_EEvS9_SA_ENKSB_clEvENKSC_clEvEUlmE_EEvS9_T2_RKT3_T4_EUlimE0_EEvlNS_15PhiloxCudaStateET1_SK_: ; @_ZN2at6native12_GLOBAL__N_143distribution_elementwise_grid_stride_kernelImLi2EZZZNS0_9templates4cuda32random_full_64_bits_range_kernelIPNS_17CUDAGeneratorImplEEEvRNS_18TensorIteratorBaseET_ENKUlvE_clEvENKUlvE_clEvEUlP25hiprandStatePhilox4_32_10E_ZNS1_27distribution_nullary_kernelIhm15HIP_vector_typeIyLj2EES7_SF_ZZZNS5_IS7_EEvS9_SA_ENKSB_clEvENKSC_clEvEUlmE_EEvS9_T2_RKT3_T4_EUlimE0_EEvlNS_15PhiloxCudaStateET1_SK_
; %bb.0:
	s_clause 0x2
	s_load_b64 s[4:5], s[0:1], 0x10
	s_load_b128 s[16:19], s[0:1], 0x0
	s_load_b32 s2, s[0:1], 0x20
	s_waitcnt lgkmcnt(0)
	v_dual_mov_b32 v2, s4 :: v_dual_mov_b32 v3, s5
	v_dual_mov_b32 v10, s18 :: v_dual_mov_b32 v11, s19
	s_bitcmp0_b32 s2, 0
	s_mov_b32 s2, 0
	s_cbranch_scc1 .LBB53_2
; %bb.1:
	v_dual_mov_b32 v1, s4 :: v_dual_mov_b32 v2, s5
	v_dual_mov_b32 v4, s18 :: v_dual_mov_b32 v5, s19
	s_load_b64 s[4:5], s[0:1], 0x18
	flat_load_b64 v[2:3], v[1:2]
	flat_load_b64 v[10:11], v[4:5]
	s_waitcnt vmcnt(1) lgkmcnt(0)
	v_add_co_u32 v2, vcc_lo, v2, s4
	v_add_co_ci_u32_e32 v3, vcc_lo, s5, v3, vcc_lo
.LBB53_2:
	s_clause 0x1
	s_load_b32 s3, s[0:1], 0x154
	s_load_b32 s4, s[0:1], 0x148
	s_waitcnt lgkmcnt(0)
	s_and_b32 s5, s3, 0xffff
	s_add_u32 s6, s16, -1
	s_mul_i32 s24, s4, s5
	s_addc_u32 s3, s17, -1
	s_lshl_b32 s25, s24, 1
	s_cmp_lg_u64 s[2:3], 0
	s_cbranch_scc0 .LBB53_49
; %bb.3:
	v_cvt_f32_ubyte0_e32 v1, 0
	v_cvt_f32_u32_e32 v4, s25
	s_sub_u32 s8, 0, s25
	s_subb_u32 s9, 0, 0
	s_delay_alu instid0(VALU_DEP_1) | instskip(NEXT) | instid1(VALU_DEP_1)
	v_fmamk_f32 v1, v1, 0x4f800000, v4
	v_rcp_f32_e32 v1, v1
	s_waitcnt_depctr 0xfff
	v_mul_f32_e32 v1, 0x5f7ffffc, v1
	s_delay_alu instid0(VALU_DEP_1) | instskip(NEXT) | instid1(VALU_DEP_1)
	v_mul_f32_e32 v4, 0x2f800000, v1
	v_trunc_f32_e32 v4, v4
	s_delay_alu instid0(VALU_DEP_1) | instskip(SKIP_1) | instid1(VALU_DEP_2)
	v_fmamk_f32 v1, v4, 0xcf800000, v1
	v_cvt_u32_f32_e32 v4, v4
	v_cvt_u32_f32_e32 v1, v1
	s_delay_alu instid0(VALU_DEP_2) | instskip(NEXT) | instid1(VALU_DEP_2)
	v_readfirstlane_b32 s2, v4
	v_readfirstlane_b32 s7, v1
	s_delay_alu instid0(VALU_DEP_2) | instskip(NEXT) | instid1(VALU_DEP_1)
	s_mul_i32 s10, s8, s2
	s_mul_hi_u32 s12, s8, s7
	s_mul_i32 s11, s9, s7
	s_add_i32 s10, s12, s10
	s_mul_i32 s13, s8, s7
	s_add_i32 s10, s10, s11
	s_mul_hi_u32 s12, s7, s13
	s_mul_hi_u32 s14, s2, s13
	s_mul_i32 s11, s2, s13
	s_mul_hi_u32 s13, s7, s10
	s_mul_i32 s7, s7, s10
	s_mul_hi_u32 s18, s2, s10
	s_add_u32 s7, s12, s7
	s_addc_u32 s12, 0, s13
	s_add_u32 s7, s7, s11
	s_mul_i32 s10, s2, s10
	s_addc_u32 s7, s12, s14
	s_addc_u32 s11, s18, 0
	s_add_u32 s7, s7, s10
	s_addc_u32 s10, 0, s11
	v_add_co_u32 v1, s7, v1, s7
	s_delay_alu instid0(VALU_DEP_1) | instskip(SKIP_1) | instid1(VALU_DEP_1)
	s_cmp_lg_u32 s7, 0
	s_addc_u32 s2, s2, s10
	v_readfirstlane_b32 s7, v1
	s_mul_i32 s10, s8, s2
	s_delay_alu instid0(VALU_DEP_1)
	s_mul_hi_u32 s11, s8, s7
	s_mul_i32 s9, s9, s7
	s_add_i32 s10, s11, s10
	s_mul_i32 s8, s8, s7
	s_add_i32 s10, s10, s9
	s_mul_hi_u32 s11, s2, s8
	s_mul_i32 s12, s2, s8
	s_mul_hi_u32 s8, s7, s8
	s_mul_hi_u32 s13, s7, s10
	s_mul_i32 s7, s7, s10
	s_mul_hi_u32 s9, s2, s10
	s_add_u32 s7, s8, s7
	s_addc_u32 s8, 0, s13
	s_add_u32 s7, s7, s12
	s_mul_i32 s10, s2, s10
	s_addc_u32 s7, s8, s11
	s_addc_u32 s8, s9, 0
	s_add_u32 s7, s7, s10
	s_addc_u32 s8, 0, s8
	v_add_co_u32 v1, s7, v1, s7
	s_delay_alu instid0(VALU_DEP_1) | instskip(SKIP_2) | instid1(VALU_DEP_1)
	s_cmp_lg_u32 s7, 0
	s_addc_u32 s7, s2, s8
	s_ashr_i32 s8, s3, 31
	v_readfirstlane_b32 s10, v1
	s_add_u32 s2, s6, s8
	s_mov_b32 s9, s8
	s_addc_u32 s3, s3, s8
	s_delay_alu instid0(SALU_CYCLE_1) | instskip(NEXT) | instid1(SALU_CYCLE_1)
	s_xor_b64 s[2:3], s[2:3], s[8:9]
	s_mul_i32 s12, s2, s7
	s_mul_hi_u32 s13, s2, s10
	s_mul_hi_u32 s11, s2, s7
	s_mul_hi_u32 s18, s3, s10
	s_mul_i32 s10, s3, s10
	s_add_u32 s12, s13, s12
	s_addc_u32 s11, 0, s11
	s_mul_hi_u32 s14, s3, s7
	s_add_u32 s10, s12, s10
	s_mul_i32 s7, s3, s7
	s_addc_u32 s10, s11, s18
	s_addc_u32 s11, s14, 0
	s_add_u32 s7, s10, s7
	s_addc_u32 s10, 0, s11
	s_mul_i32 s12, s25, s7
	s_add_u32 s11, s7, 1
	v_sub_co_u32 v1, s2, s2, s12
	s_mul_hi_u32 s12, s25, s7
	s_addc_u32 s13, s10, 0
	s_mul_i32 s14, s25, s10
	s_delay_alu instid0(VALU_DEP_1)
	v_sub_co_u32 v4, s18, v1, s25
	s_add_u32 s19, s7, 2
	s_addc_u32 s20, s10, 0
	s_add_i32 s12, s12, s14
	s_cmp_lg_u32 s2, 0
	v_readfirstlane_b32 s2, v4
	s_subb_u32 s3, s3, s12
	s_cmp_lg_u32 s18, 0
	s_subb_u32 s12, s3, 0
	s_delay_alu instid0(VALU_DEP_1) | instskip(SKIP_4) | instid1(SALU_CYCLE_1)
	s_cmp_ge_u32 s2, s25
	s_cselect_b32 s2, -1, 0
	s_cmp_eq_u32 s12, 0
	v_readfirstlane_b32 s12, v1
	s_cselect_b32 s2, s2, -1
	s_cmp_lg_u32 s2, 0
	s_cselect_b32 s2, s19, s11
	s_cselect_b32 s11, s20, s13
	s_cmp_ge_u32 s12, s25
	s_cselect_b32 s12, -1, 0
	s_cmp_eq_u32 s3, 0
	s_cselect_b32 s3, s12, -1
	s_delay_alu instid0(SALU_CYCLE_1) | instskip(SKIP_2) | instid1(SALU_CYCLE_1)
	s_cmp_lg_u32 s3, 0
	s_cselect_b32 s3, s11, s10
	s_cselect_b32 s2, s2, s7
	s_xor_b64 s[2:3], s[2:3], s[8:9]
	s_delay_alu instid0(SALU_CYCLE_1)
	s_sub_u32 s2, s2, s8
	s_subb_u32 s3, s3, s8
	s_cbranch_execnz .LBB53_5
.LBB53_4:
	v_cvt_f32_u32_e32 v1, s25
	s_sub_i32 s3, 0, s25
	s_delay_alu instid0(VALU_DEP_1) | instskip(SKIP_2) | instid1(VALU_DEP_1)
	v_rcp_iflag_f32_e32 v1, v1
	s_waitcnt_depctr 0xfff
	v_mul_f32_e32 v1, 0x4f7ffffe, v1
	v_cvt_u32_f32_e32 v1, v1
	s_delay_alu instid0(VALU_DEP_1) | instskip(NEXT) | instid1(VALU_DEP_1)
	v_readfirstlane_b32 s2, v1
	s_mul_i32 s3, s3, s2
	s_delay_alu instid0(SALU_CYCLE_1) | instskip(NEXT) | instid1(SALU_CYCLE_1)
	s_mul_hi_u32 s3, s2, s3
	s_add_i32 s2, s2, s3
	s_delay_alu instid0(SALU_CYCLE_1) | instskip(NEXT) | instid1(SALU_CYCLE_1)
	s_mul_hi_u32 s2, s6, s2
	s_mul_i32 s3, s2, s25
	s_delay_alu instid0(SALU_CYCLE_1)
	s_sub_i32 s3, s6, s3
	s_add_i32 s6, s2, 1
	s_sub_i32 s7, s3, s25
	s_cmp_ge_u32 s3, s25
	s_cselect_b32 s2, s6, s2
	s_cselect_b32 s3, s7, s3
	s_add_i32 s6, s2, 1
	s_cmp_ge_u32 s3, s25
	s_mov_b32 s3, 0
	s_cselect_b32 s2, s6, s2
.LBB53_5:
	v_mov_b32_e32 v1, 0
	s_add_u32 s2, s2, 1
	s_addc_u32 s3, s3, 0
	s_mul_hi_u32 s6, s24, s2
	s_mul_i32 s3, s24, s3
	v_mad_u64_u32 v[12:13], null, s5, s15, v[0:1]
	s_mul_hi_u32 s4, s4, s5
	s_add_i32 s3, s6, s3
	s_mul_i32 s4, s4, s2
	s_mul_i32 s2, s24, s2
	s_add_i32 s3, s3, s4
	s_mov_b32 s4, exec_lo
	s_lshl_b64 s[2:3], s[2:3], 1
	s_delay_alu instid0(SALU_CYCLE_1)
	v_cmpx_gt_i64_e64 s[2:3], v[12:13]
	s_cbranch_execz .LBB53_48
; %bb.6:
	v_alignbit_b32 v16, v3, v2, 2
	v_mad_u64_u32 v[0:1], null, 0xcd9e8d57, v12, 0
	v_lshrrev_b32_e32 v17, 2, v3
	s_waitcnt vmcnt(0)
	v_dual_mov_b32 v9, v11 :: v_dual_and_b32 v26, 3, v2
	v_mad_u64_u32 v[3:4], null, 0xd2511f53, v16, 0
	v_add_co_u32 v19, null, 0x9e3779b9, v10
	v_xor3_b32 v1, v10, v1, v17
	s_delay_alu instid0(VALU_DEP_4) | instskip(SKIP_2) | instid1(VALU_DEP_4)
	v_add_co_u32 v18, null, 0xbb67ae85, v9
	v_add_co_u32 v20, null, 0x3c6ef372, v10
	v_xor_b32_e32 v6, v4, v11
	v_mad_u64_u32 v[4:5], null, 0xd2511f53, v1, 0
	v_add_co_u32 v21, null, 0x76cf5d0a, v9
	s_delay_alu instid0(VALU_DEP_3) | instskip(SKIP_3) | instid1(VALU_DEP_4)
	v_xor_b32_e32 v1, v6, v13
	v_add_co_u32 v22, null, 0x32370b8f, v9
	v_add_co_u32 v23, null, 0xdaa66d2b, v10
	v_xor3_b32 v3, v18, v5, v3
	v_mad_u64_u32 v[5:6], null, 0xcd9e8d57, v1, 0
	v_add_co_u32 v24, null, 0x78dde6e4, v10
	s_delay_alu instid0(VALU_DEP_3) | instskip(SKIP_1) | instid1(VALU_DEP_4)
	v_mad_u64_u32 v[7:8], null, 0xcd9e8d57, v3, 0
	v_add_co_u32 v25, null, 0xed9eba14, v9
	v_xor3_b32 v3, v19, v6, v0
	v_add_co_u32 v27, null, 0xa9066899, v9
	v_add_co_u32 v29, null, 0x1715609d, v10
	v_xor3_b32 v8, v20, v8, v5
	s_delay_alu instid0(VALU_DEP_4) | instskip(SKIP_1) | instid1(VALU_DEP_3)
	v_mad_u64_u32 v[0:1], null, 0xd2511f53, v3, 0
	v_add_co_u32 v30, null, 0xb54cda56, v10
	v_mad_u64_u32 v[5:6], null, 0xd2511f53, v8, 0
	v_add_co_u32 v32, null, 0x646e171e, v9
	s_delay_alu instid0(VALU_DEP_4) | instskip(SKIP_2) | instid1(VALU_DEP_4)
	v_xor3_b32 v3, v21, v1, v4
	s_load_b256 s[4:11], s[0:1], 0x30
	v_add_co_u32 v33, null, 0x1fd5c5a3, v9
	v_xor3_b32 v6, v22, v6, v0
	s_delay_alu instid0(VALU_DEP_3) | instskip(SKIP_1) | instid1(VALU_DEP_3)
	v_mad_u64_u32 v[0:1], null, 0xcd9e8d57, v3, 0
	v_add_co_u32 v28, null, 0x5384540f, v10
	v_mad_u64_u32 v[3:4], null, 0xcd9e8d57, v6, 0
	v_add_co_u32 v31, null, 0xf1bbcdc8, v10
	s_delay_alu instid0(VALU_DEP_4)
	v_xor3_b32 v6, v23, v1, v7
	s_add_u32 s12, s0, 48
	s_addc_u32 s13, s1, 0
	s_clause 0x1
	s_load_b64 s[14:15], s[0:1], 0xf4
	s_load_b64 s[18:19], s[0:1], 0x138
	v_xor3_b32 v4, v24, v4, v0
	v_mad_u64_u32 v[0:1], null, 0xd2511f53, v6, 0
	v_add_co_u32 v34, null, 0xdb3d7428, v9
	s_delay_alu instid0(VALU_DEP_3) | instskip(SKIP_3) | instid1(VALU_DEP_4)
	v_mad_u64_u32 v[6:7], null, 0xd2511f53, v4, 0
	s_waitcnt lgkmcnt(0)
	s_add_i32 s20, s4, -1
	v_dual_mov_b32 v37, v12 :: v_dual_add_nc_u32 v36, 0x96a522ad, v11
	v_xor3_b32 v2, v25, v1, v5
	s_cmp_gt_u32 s20, 1
	v_dual_mov_b32 v38, v13 :: v_dual_add_nc_u32 v35, 0x8ff34781, v10
	s_delay_alu instid0(VALU_DEP_4) | instskip(NEXT) | instid1(VALU_DEP_3)
	v_xor3_b32 v7, v27, v7, v0
	v_mad_u64_u32 v[0:1], null, 0xcd9e8d57, v2, 0
	s_cselect_b32 s11, -1, 0
	s_cmp_lg_u32 s4, 0
	s_delay_alu instid0(VALU_DEP_2) | instskip(SKIP_2) | instid1(VALU_DEP_2)
	v_mad_u64_u32 v[4:5], null, 0xcd9e8d57, v7, 0
	s_cselect_b32 s27, -1, 0
	s_add_u32 s0, s0, 0xf4
	v_xor3_b32 v2, v29, v1, v3
	s_addc_u32 s1, s1, 0
	s_min_u32 s21, s20, 15
	s_cmp_gt_u32 s4, 1
	s_delay_alu instid0(VALU_DEP_2) | instskip(SKIP_3) | instid1(VALU_DEP_2)
	v_xor3_b32 v5, v30, v5, v0
	v_mad_u64_u32 v[0:1], null, 0xd2511f53, v2, 0
	s_cselect_b32 s4, -1, 0
	s_add_i32 s21, s21, 1
	v_mad_u64_u32 v[2:3], null, 0xd2511f53, v5, 0
	s_and_b32 s28, s21, 3
	s_cmp_lg_u32 s20, 2
	s_delay_alu instid0(VALU_DEP_2) | instskip(SKIP_3) | instid1(VALU_DEP_2)
	v_xor3_b32 v5, v32, v1, v6
	s_cselect_b32 s29, -1, 0
	s_and_b32 s30, s21, 28
	s_cmp_lg_u32 s28, 0
	v_xor3_b32 v3, v33, v3, v0
	v_mad_u64_u32 v[0:1], null, 0xcd9e8d57, v5, 0
	s_mov_b32 s26, 0
	s_cselect_b32 s31, -1, 0
	s_delay_alu instid0(VALU_DEP_2) | instskip(NEXT) | instid1(VALU_DEP_2)
	v_mad_u64_u32 v[5:6], null, 0xcd9e8d57, v3, 0
	v_xor3_b32 v3, v28, v1, v4
	s_delay_alu instid0(VALU_DEP_2) | instskip(NEXT) | instid1(VALU_DEP_2)
	v_xor3_b32 v5, v31, v6, v0
	v_mad_u64_u32 v[0:1], null, 0xd2511f53, v3, 0
	s_delay_alu instid0(VALU_DEP_2) | instskip(NEXT) | instid1(VALU_DEP_2)
	v_mad_u64_u32 v[3:4], null, 0xd2511f53, v5, 0
	v_xor3_b32 v5, v34, v1, v2
	s_delay_alu instid0(VALU_DEP_1) | instskip(NEXT) | instid1(VALU_DEP_3)
	v_mad_u64_u32 v[1:2], null, 0xcd9e8d57, v5, 0
	v_xor3_b32 v2, v4, v0, v36
	s_branch .LBB53_9
.LBB53_7:                               ;   in Loop: Header=BB53_9 Depth=1
	global_store_b8 v1, v3, s[18:19]
.LBB53_8:                               ;   in Loop: Header=BB53_9 Depth=1
	s_or_b32 exec_lo, exec_lo, s33
	v_add_co_u32 v12, vcc_lo, v12, s25
	v_add_co_ci_u32_e32 v13, vcc_lo, 0, v13, vcc_lo
	v_mov_b32_e32 v6, v14
	v_mov_b32_e32 v0, v3
	v_dual_mov_b32 v1, v4 :: v_dual_mov_b32 v2, v5
	s_delay_alu instid0(VALU_DEP_4) | instskip(NEXT) | instid1(VALU_DEP_4)
	v_cmp_le_i64_e32 vcc_lo, s[2:3], v[12:13]
	v_mov_b32_e32 v3, v6
	s_waitcnt_vscnt null, 0x0
	s_barrier
	buffer_gl0_inv
	s_or_b32 s26, vcc_lo, s26
	s_delay_alu instid0(SALU_CYCLE_1)
	s_and_not1_b32 exec_lo, exec_lo, s26
	s_cbranch_execz .LBB53_48
.LBB53_9:                               ; =>This Loop Header: Depth=1
                                        ;     Child Loop BB53_24 Depth 2
                                        ;     Child Loop BB53_29 Depth 2
	;; [unrolled: 1-line block ×4, first 2 shown]
	v_add_co_u32 v16, vcc_lo, v16, 1
	s_delay_alu instid0(VALU_DEP_1) | instskip(SKIP_1) | instid1(VALU_DEP_3)
	v_cndmask_b32_e64 v0, 0, 1, vcc_lo
	v_add_co_ci_u32_e32 v17, vcc_lo, 0, v17, vcc_lo
	v_mad_u64_u32 v[4:5], null, 0xd2511f53, v16, 0
	s_mov_b32 s20, exec_lo
	s_delay_alu instid0(VALU_DEP_2) | instskip(SKIP_1) | instid1(VALU_DEP_1)
	v_cmp_eq_u32_e32 vcc_lo, 0, v17
	v_cndmask_b32_e32 v0, 0, v0, vcc_lo
	v_add_nc_u32_e32 v37, v0, v37
	s_delay_alu instid0(VALU_DEP_1) | instskip(SKIP_2) | instid1(VALU_DEP_2)
	v_cmp_eq_u32_e32 vcc_lo, 0, v37
	v_cndmask_b32_e32 v0, 0, v0, vcc_lo
	v_mad_u64_u32 v[6:7], null, 0xcd9e8d57, v37, 0
	v_add_nc_u32_e32 v38, v0, v38
	v_xor_b32_e32 v0, v5, v11
	s_delay_alu instid0(VALU_DEP_3) | instskip(NEXT) | instid1(VALU_DEP_2)
	v_xor3_b32 v5, v7, v10, v17
	v_xor_b32_e32 v0, v38, v0
	s_delay_alu instid0(VALU_DEP_2) | instskip(NEXT) | instid1(VALU_DEP_2)
	v_mad_u64_u32 v[7:8], null, 0xd2511f53, v5, 0
	v_mad_u64_u32 v[14:15], null, 0xcd9e8d57, v0, 0
	s_delay_alu instid0(VALU_DEP_2) | instskip(NEXT) | instid1(VALU_DEP_2)
	v_xor3_b32 v0, v18, v8, v4
	v_xor3_b32 v6, v19, v15, v6
	s_delay_alu instid0(VALU_DEP_2) | instskip(NEXT) | instid1(VALU_DEP_2)
	v_mad_u64_u32 v[4:5], null, 0xcd9e8d57, v0, 0
	v_mad_u64_u32 v[8:9], null, 0xd2511f53, v6, 0
	s_delay_alu instid0(VALU_DEP_2) | instskip(NEXT) | instid1(VALU_DEP_2)
	v_xor3_b32 v0, v20, v5, v14
	v_xor3_b32 v7, v21, v9, v7
	;; [unrolled: 6-line block ×9, first 2 shown]
	s_delay_alu instid0(VALU_DEP_2)
	v_mov_b32_e32 v5, v8
	v_cmpx_lt_i32_e32 1, v26
	s_xor_b32 s20, exec_lo, s20
	s_cbranch_execnz .LBB53_12
; %bb.10:                               ;   in Loop: Header=BB53_9 Depth=1
	s_and_not1_saveexec_b32 s20, s20
	s_cbranch_execnz .LBB53_17
.LBB53_11:                              ;   in Loop: Header=BB53_9 Depth=1
	s_or_b32 exec_lo, exec_lo, s20
	s_delay_alu instid0(SALU_CYCLE_1)
	s_mov_b32 s33, exec_lo
	v_cmpx_gt_i64_e64 s[16:17], v[12:13]
	s_cbranch_execnz .LBB53_20
	s_branch .LBB53_34
.LBB53_12:                              ;   in Loop: Header=BB53_9 Depth=1
	s_mov_b32 s21, exec_lo
	v_cmpx_lt_i32_e32 2, v26
	s_xor_b32 s21, exec_lo, s21
; %bb.13:                               ;   in Loop: Header=BB53_9 Depth=1
	v_dual_mov_b32 v0, v5 :: v_dual_mov_b32 v1, v6
	v_dual_mov_b32 v2, v7 :: v_dual_mov_b32 v3, v8
; %bb.14:                               ;   in Loop: Header=BB53_9 Depth=1
	s_and_not1_saveexec_b32 s21, s21
; %bb.15:                               ;   in Loop: Header=BB53_9 Depth=1
	s_delay_alu instid0(VALU_DEP_1)
	v_mov_b32_e32 v1, v3
	v_mov_b32_e32 v3, v4
; %bb.16:                               ;   in Loop: Header=BB53_9 Depth=1
	s_or_b32 exec_lo, exec_lo, s21
                                        ; implicit-def: $vgpr6_vgpr7_vgpr8_vgpr9
	s_and_not1_saveexec_b32 s20, s20
	s_cbranch_execz .LBB53_11
.LBB53_17:                              ;   in Loop: Header=BB53_9 Depth=1
	s_mov_b32 s21, exec_lo
	v_cmpx_eq_u32_e32 1, v26
; %bb.18:                               ;   in Loop: Header=BB53_9 Depth=1
	v_mov_b32_e32 v1, v2
	v_mov_b32_e32 v3, v6
; %bb.19:                               ;   in Loop: Header=BB53_9 Depth=1
	s_or_b32 exec_lo, exec_lo, s21
	s_delay_alu instid0(SALU_CYCLE_1) | instskip(NEXT) | instid1(SALU_CYCLE_1)
	s_or_b32 exec_lo, exec_lo, s20
	s_mov_b32 s33, exec_lo
	v_cmpx_gt_i64_e64 s[16:17], v[12:13]
	s_cbranch_execz .LBB53_34
.LBB53_20:                              ;   in Loop: Header=BB53_9 Depth=1
	s_and_not1_b32 vcc_lo, exec_lo, s11
	s_cbranch_vccnz .LBB53_26
; %bb.21:                               ;   in Loop: Header=BB53_9 Depth=1
	v_mov_b32_e32 v0, 0
	s_and_not1_b32 vcc_lo, exec_lo, s27
	s_cbranch_vccnz .LBB53_30
; %bb.22:                               ;   in Loop: Header=BB53_9 Depth=1
	s_and_not1_b32 vcc_lo, exec_lo, s29
	s_mov_b32 s20, 0
	s_cbranch_vccnz .LBB53_27
; %bb.23:                               ;   in Loop: Header=BB53_9 Depth=1
	v_mov_b32_e32 v0, 0
	v_mov_b32_e32 v2, v12
	s_mov_b32 s34, 0
	s_mov_b64 s[20:21], s[12:13]
	s_mov_b64 s[22:23], s[0:1]
.LBB53_24:                              ;   Parent Loop BB53_9 Depth=1
                                        ; =>  This Inner Loop Header: Depth=2
	s_clause 0x1
	s_load_b256 s[36:43], s[20:21], 0x4
	s_load_b128 s[44:47], s[20:21], 0x24
	s_load_b128 s[48:51], s[22:23], 0x0
	s_add_u32 s20, s20, 48
	s_addc_u32 s21, s21, 0
	s_add_i32 s34, s34, 4
	s_add_u32 s22, s22, 16
	s_addc_u32 s23, s23, 0
	s_cmp_lg_u32 s30, s34
	s_waitcnt lgkmcnt(0)
	v_mul_hi_u32 v6, s37, v2
	s_delay_alu instid0(VALU_DEP_1) | instskip(NEXT) | instid1(VALU_DEP_1)
	v_add_nc_u32_e32 v6, v2, v6
	v_lshrrev_b32_e32 v6, s38, v6
	s_delay_alu instid0(VALU_DEP_1) | instskip(SKIP_1) | instid1(VALU_DEP_2)
	v_mul_hi_u32 v7, s40, v6
	v_mul_lo_u32 v15, v6, s36
	v_add_nc_u32_e32 v7, v6, v7
	s_delay_alu instid0(VALU_DEP_2) | instskip(NEXT) | instid1(VALU_DEP_2)
	v_sub_nc_u32_e32 v15, v2, v15
	v_lshrrev_b32_e32 v7, s41, v7
	s_delay_alu instid0(VALU_DEP_2) | instskip(NEXT) | instid1(VALU_DEP_2)
	v_mul_lo_u32 v15, v15, s48
	v_mul_hi_u32 v8, s43, v7
	v_mul_lo_u32 v39, v7, s39
	s_delay_alu instid0(VALU_DEP_2) | instskip(NEXT) | instid1(VALU_DEP_2)
	v_add_nc_u32_e32 v8, v7, v8
	v_sub_nc_u32_e32 v6, v6, v39
	s_delay_alu instid0(VALU_DEP_2) | instskip(NEXT) | instid1(VALU_DEP_2)
	v_lshrrev_b32_e32 v8, s44, v8
	v_mul_lo_u32 v6, v6, s49
	s_delay_alu instid0(VALU_DEP_2) | instskip(NEXT) | instid1(VALU_DEP_2)
	v_mul_hi_u32 v9, s46, v8
	v_add3_u32 v0, v15, v0, v6
	s_delay_alu instid0(VALU_DEP_2) | instskip(NEXT) | instid1(VALU_DEP_1)
	v_add_nc_u32_e32 v9, v8, v9
	v_lshrrev_b32_e32 v2, s47, v9
	v_mul_lo_u32 v9, v8, s42
	s_delay_alu instid0(VALU_DEP_2) | instskip(NEXT) | instid1(VALU_DEP_2)
	v_mul_lo_u32 v40, v2, s45
	v_sub_nc_u32_e32 v7, v7, v9
	s_delay_alu instid0(VALU_DEP_2) | instskip(NEXT) | instid1(VALU_DEP_2)
	v_sub_nc_u32_e32 v8, v8, v40
	v_mul_lo_u32 v7, v7, s50
	s_delay_alu instid0(VALU_DEP_2) | instskip(NEXT) | instid1(VALU_DEP_1)
	v_mul_lo_u32 v8, v8, s51
	v_add3_u32 v0, v7, v0, v8
	s_cbranch_scc1 .LBB53_24
; %bb.25:                               ;   in Loop: Header=BB53_9 Depth=1
	s_mov_b32 s20, s30
	s_and_not1_b32 vcc_lo, exec_lo, s31
	s_cbranch_vccz .LBB53_28
	s_branch .LBB53_30
.LBB53_26:                              ;   in Loop: Header=BB53_9 Depth=1
                                        ; implicit-def: $vgpr0
	s_branch .LBB53_31
.LBB53_27:                              ;   in Loop: Header=BB53_9 Depth=1
	v_mov_b32_e32 v2, v12
	s_and_not1_b32 vcc_lo, exec_lo, s31
	s_cbranch_vccnz .LBB53_30
.LBB53_28:                              ;   in Loop: Header=BB53_9 Depth=1
	s_lshl_b32 s21, s20, 2
	s_mul_i32 s22, s20, 12
	s_add_u32 s20, s0, s21
	s_addc_u32 s21, s1, 0
	s_add_u32 s22, s12, s22
	s_addc_u32 s23, s13, 0
	s_mov_b32 s34, s28
	.p2align	6
.LBB53_29:                              ;   Parent Loop BB53_9 Depth=1
                                        ; =>  This Inner Loop Header: Depth=2
	s_clause 0x1
	s_load_b64 s[36:37], s[22:23], 0x4
	s_load_b32 s35, s[22:23], 0xc
	s_add_u32 s22, s22, 12
	s_addc_u32 s23, s23, 0
	s_waitcnt lgkmcnt(0)
	v_mul_hi_u32 v6, s37, v2
	s_load_b32 s37, s[20:21], 0x0
	s_add_u32 s20, s20, 4
	s_addc_u32 s21, s21, 0
	s_add_i32 s34, s34, -1
	s_delay_alu instid0(SALU_CYCLE_1) | instskip(NEXT) | instid1(VALU_DEP_1)
	s_cmp_lg_u32 s34, 0
	v_add_nc_u32_e32 v6, v2, v6
	s_delay_alu instid0(VALU_DEP_1) | instskip(NEXT) | instid1(VALU_DEP_1)
	v_lshrrev_b32_e32 v8, s35, v6
	v_mul_lo_u32 v6, v8, s36
	s_delay_alu instid0(VALU_DEP_1) | instskip(SKIP_1) | instid1(VALU_DEP_1)
	v_sub_nc_u32_e32 v2, v2, v6
	s_waitcnt lgkmcnt(0)
	v_mad_u64_u32 v[6:7], null, v2, s37, v[0:1]
	v_mov_b32_e32 v2, v8
	s_delay_alu instid0(VALU_DEP_2)
	v_mov_b32_e32 v0, v6
	s_cbranch_scc1 .LBB53_29
.LBB53_30:                              ;   in Loop: Header=BB53_9 Depth=1
	s_cbranch_execnz .LBB53_33
.LBB53_31:                              ;   in Loop: Header=BB53_9 Depth=1
	v_mul_hi_u32 v0, v12, s6
	s_and_not1_b32 vcc_lo, exec_lo, s4
	s_delay_alu instid0(VALU_DEP_1) | instskip(NEXT) | instid1(VALU_DEP_1)
	v_add_nc_u32_e32 v0, v0, v12
	v_lshrrev_b32_e32 v2, s7, v0
	s_delay_alu instid0(VALU_DEP_1) | instskip(NEXT) | instid1(VALU_DEP_1)
	v_mul_lo_u32 v0, v2, s5
	v_sub_nc_u32_e32 v0, v12, v0
	s_delay_alu instid0(VALU_DEP_1)
	v_mul_lo_u32 v0, v0, s14
	s_cbranch_vccnz .LBB53_33
; %bb.32:                               ;   in Loop: Header=BB53_9 Depth=1
	v_mul_hi_u32 v6, s9, v2
	s_delay_alu instid0(VALU_DEP_1) | instskip(NEXT) | instid1(VALU_DEP_1)
	v_add_nc_u32_e32 v6, v2, v6
	v_lshrrev_b32_e32 v6, s10, v6
	s_delay_alu instid0(VALU_DEP_1) | instskip(NEXT) | instid1(VALU_DEP_1)
	v_mul_lo_u32 v6, v6, s8
	v_sub_nc_u32_e32 v2, v2, v6
	s_delay_alu instid0(VALU_DEP_1) | instskip(NEXT) | instid1(VALU_DEP_1)
	v_mad_u64_u32 v[6:7], null, v2, s15, v[0:1]
	v_mov_b32_e32 v0, v6
.LBB53_33:                              ;   in Loop: Header=BB53_9 Depth=1
	global_store_b8 v0, v1, s[18:19]
.LBB53_34:                              ;   in Loop: Header=BB53_9 Depth=1
	s_or_b32 exec_lo, exec_lo, s33
	v_add_co_u32 v0, vcc_lo, v12, s24
	v_add_co_ci_u32_e32 v1, vcc_lo, 0, v13, vcc_lo
	s_mov_b32 s33, exec_lo
	s_delay_alu instid0(VALU_DEP_1)
	v_cmpx_gt_i64_e64 s[16:17], v[0:1]
	s_cbranch_execz .LBB53_8
; %bb.35:                               ;   in Loop: Header=BB53_9 Depth=1
	s_and_not1_b32 vcc_lo, exec_lo, s11
	s_cbranch_vccnz .LBB53_41
; %bb.36:                               ;   in Loop: Header=BB53_9 Depth=1
	v_mov_b32_e32 v1, 0
	s_and_not1_b32 vcc_lo, exec_lo, s27
	s_cbranch_vccnz .LBB53_45
; %bb.37:                               ;   in Loop: Header=BB53_9 Depth=1
	s_and_not1_b32 vcc_lo, exec_lo, s29
	s_mov_b32 s20, 0
	s_cbranch_vccnz .LBB53_42
; %bb.38:                               ;   in Loop: Header=BB53_9 Depth=1
	v_dual_mov_b32 v1, 0 :: v_dual_mov_b32 v2, v0
	s_mov_b32 s34, 0
	s_mov_b64 s[20:21], s[12:13]
	s_mov_b64 s[22:23], s[0:1]
.LBB53_39:                              ;   Parent Loop BB53_9 Depth=1
                                        ; =>  This Inner Loop Header: Depth=2
	s_clause 0x1
	s_load_b256 s[36:43], s[20:21], 0x4
	s_load_b128 s[44:47], s[20:21], 0x24
	s_load_b128 s[48:51], s[22:23], 0x0
	s_add_u32 s20, s20, 48
	s_addc_u32 s21, s21, 0
	s_add_i32 s34, s34, 4
	s_add_u32 s22, s22, 16
	s_addc_u32 s23, s23, 0
	s_cmp_eq_u32 s30, s34
	s_waitcnt lgkmcnt(0)
	v_mul_hi_u32 v6, s37, v2
	s_delay_alu instid0(VALU_DEP_1) | instskip(NEXT) | instid1(VALU_DEP_1)
	v_add_nc_u32_e32 v6, v2, v6
	v_lshrrev_b32_e32 v6, s38, v6
	s_delay_alu instid0(VALU_DEP_1) | instskip(SKIP_1) | instid1(VALU_DEP_2)
	v_mul_hi_u32 v7, s40, v6
	v_mul_lo_u32 v15, v6, s36
	v_add_nc_u32_e32 v7, v6, v7
	s_delay_alu instid0(VALU_DEP_2) | instskip(NEXT) | instid1(VALU_DEP_2)
	v_sub_nc_u32_e32 v15, v2, v15
	v_lshrrev_b32_e32 v7, s41, v7
	s_delay_alu instid0(VALU_DEP_2) | instskip(NEXT) | instid1(VALU_DEP_2)
	v_mul_lo_u32 v15, v15, s48
	v_mul_hi_u32 v8, s43, v7
	v_mul_lo_u32 v39, v7, s39
	s_delay_alu instid0(VALU_DEP_2) | instskip(NEXT) | instid1(VALU_DEP_2)
	v_add_nc_u32_e32 v8, v7, v8
	v_sub_nc_u32_e32 v6, v6, v39
	s_delay_alu instid0(VALU_DEP_2) | instskip(NEXT) | instid1(VALU_DEP_2)
	v_lshrrev_b32_e32 v8, s44, v8
	v_mul_lo_u32 v6, v6, s49
	s_delay_alu instid0(VALU_DEP_2) | instskip(NEXT) | instid1(VALU_DEP_2)
	v_mul_hi_u32 v9, s46, v8
	v_add3_u32 v1, v15, v1, v6
	s_delay_alu instid0(VALU_DEP_2) | instskip(NEXT) | instid1(VALU_DEP_1)
	v_add_nc_u32_e32 v9, v8, v9
	v_lshrrev_b32_e32 v2, s47, v9
	v_mul_lo_u32 v9, v8, s42
	s_delay_alu instid0(VALU_DEP_2) | instskip(NEXT) | instid1(VALU_DEP_2)
	v_mul_lo_u32 v40, v2, s45
	v_sub_nc_u32_e32 v7, v7, v9
	s_delay_alu instid0(VALU_DEP_2) | instskip(NEXT) | instid1(VALU_DEP_2)
	v_sub_nc_u32_e32 v8, v8, v40
	v_mul_lo_u32 v7, v7, s50
	s_delay_alu instid0(VALU_DEP_2) | instskip(NEXT) | instid1(VALU_DEP_1)
	v_mul_lo_u32 v8, v8, s51
	v_add3_u32 v1, v7, v1, v8
	s_cbranch_scc0 .LBB53_39
; %bb.40:                               ;   in Loop: Header=BB53_9 Depth=1
	s_mov_b32 s20, s30
	s_and_not1_b32 vcc_lo, exec_lo, s31
	s_cbranch_vccz .LBB53_43
	s_branch .LBB53_45
.LBB53_41:                              ;   in Loop: Header=BB53_9 Depth=1
                                        ; implicit-def: $vgpr1
	s_branch .LBB53_46
.LBB53_42:                              ;   in Loop: Header=BB53_9 Depth=1
	v_mov_b32_e32 v2, v0
	s_and_not1_b32 vcc_lo, exec_lo, s31
	s_cbranch_vccnz .LBB53_45
.LBB53_43:                              ;   in Loop: Header=BB53_9 Depth=1
	s_lshl_b32 s21, s20, 2
	s_mul_i32 s22, s20, 12
	s_add_u32 s20, s0, s21
	s_addc_u32 s21, s1, 0
	s_add_u32 s22, s12, s22
	s_addc_u32 s23, s13, 0
	s_mov_b32 s34, s28
	.p2align	6
.LBB53_44:                              ;   Parent Loop BB53_9 Depth=1
                                        ; =>  This Inner Loop Header: Depth=2
	s_clause 0x1
	s_load_b64 s[36:37], s[22:23], 0x4
	s_load_b32 s35, s[22:23], 0xc
	s_add_u32 s22, s22, 12
	s_addc_u32 s23, s23, 0
	s_waitcnt lgkmcnt(0)
	v_mul_hi_u32 v6, s37, v2
	s_load_b32 s37, s[20:21], 0x0
	s_add_u32 s20, s20, 4
	s_addc_u32 s21, s21, 0
	s_add_i32 s34, s34, -1
	s_delay_alu instid0(SALU_CYCLE_1) | instskip(NEXT) | instid1(VALU_DEP_1)
	s_cmp_lg_u32 s34, 0
	v_add_nc_u32_e32 v6, v2, v6
	s_delay_alu instid0(VALU_DEP_1) | instskip(NEXT) | instid1(VALU_DEP_1)
	v_lshrrev_b32_e32 v8, s35, v6
	v_mul_lo_u32 v6, v8, s36
	s_delay_alu instid0(VALU_DEP_1) | instskip(SKIP_1) | instid1(VALU_DEP_1)
	v_sub_nc_u32_e32 v2, v2, v6
	s_waitcnt lgkmcnt(0)
	v_mad_u64_u32 v[6:7], null, v2, s37, v[1:2]
	s_delay_alu instid0(VALU_DEP_1)
	v_dual_mov_b32 v2, v8 :: v_dual_mov_b32 v1, v6
	s_cbranch_scc1 .LBB53_44
.LBB53_45:                              ;   in Loop: Header=BB53_9 Depth=1
	s_cbranch_execnz .LBB53_7
.LBB53_46:                              ;   in Loop: Header=BB53_9 Depth=1
	v_mul_hi_u32 v1, v0, s6
	s_and_not1_b32 vcc_lo, exec_lo, s4
	s_delay_alu instid0(VALU_DEP_1) | instskip(NEXT) | instid1(VALU_DEP_1)
	v_add_nc_u32_e32 v1, v1, v0
	v_lshrrev_b32_e32 v2, s7, v1
	s_delay_alu instid0(VALU_DEP_1) | instskip(NEXT) | instid1(VALU_DEP_1)
	v_mul_lo_u32 v1, v2, s5
	v_sub_nc_u32_e32 v0, v0, v1
	s_delay_alu instid0(VALU_DEP_1)
	v_mul_lo_u32 v1, v0, s14
	s_cbranch_vccnz .LBB53_7
; %bb.47:                               ;   in Loop: Header=BB53_9 Depth=1
	v_mul_hi_u32 v0, s9, v2
	s_delay_alu instid0(VALU_DEP_1) | instskip(NEXT) | instid1(VALU_DEP_1)
	v_add_nc_u32_e32 v0, v2, v0
	v_lshrrev_b32_e32 v0, s10, v0
	s_delay_alu instid0(VALU_DEP_1) | instskip(NEXT) | instid1(VALU_DEP_1)
	v_mul_lo_u32 v0, v0, s8
	v_sub_nc_u32_e32 v0, v2, v0
	s_delay_alu instid0(VALU_DEP_1) | instskip(NEXT) | instid1(VALU_DEP_1)
	v_mad_u64_u32 v[6:7], null, v0, s15, v[1:2]
	v_mov_b32_e32 v1, v6
	s_branch .LBB53_7
.LBB53_48:
	s_endpgm
.LBB53_49:
                                        ; implicit-def: $sgpr2_sgpr3
	s_branch .LBB53_4
	.section	.rodata,"a",@progbits
	.p2align	6, 0x0
	.amdhsa_kernel _ZN2at6native12_GLOBAL__N_143distribution_elementwise_grid_stride_kernelImLi2EZZZNS0_9templates4cuda32random_full_64_bits_range_kernelIPNS_17CUDAGeneratorImplEEEvRNS_18TensorIteratorBaseET_ENKUlvE_clEvENKUlvE_clEvEUlP25hiprandStatePhilox4_32_10E_ZNS1_27distribution_nullary_kernelIhm15HIP_vector_typeIyLj2EES7_SF_ZZZNS5_IS7_EEvS9_SA_ENKSB_clEvENKSC_clEvEUlmE_EEvS9_T2_RKT3_T4_EUlimE0_EEvlNS_15PhiloxCudaStateET1_SK_
		.amdhsa_group_segment_fixed_size 0
		.amdhsa_private_segment_fixed_size 0
		.amdhsa_kernarg_size 584
		.amdhsa_user_sgpr_count 15
		.amdhsa_user_sgpr_dispatch_ptr 0
		.amdhsa_user_sgpr_queue_ptr 0
		.amdhsa_user_sgpr_kernarg_segment_ptr 1
		.amdhsa_user_sgpr_dispatch_id 0
		.amdhsa_user_sgpr_private_segment_size 0
		.amdhsa_wavefront_size32 1
		.amdhsa_uses_dynamic_stack 0
		.amdhsa_enable_private_segment 0
		.amdhsa_system_sgpr_workgroup_id_x 1
		.amdhsa_system_sgpr_workgroup_id_y 0
		.amdhsa_system_sgpr_workgroup_id_z 0
		.amdhsa_system_sgpr_workgroup_info 0
		.amdhsa_system_vgpr_workitem_id 0
		.amdhsa_next_free_vgpr 41
		.amdhsa_next_free_sgpr 52
		.amdhsa_reserve_vcc 1
		.amdhsa_float_round_mode_32 0
		.amdhsa_float_round_mode_16_64 0
		.amdhsa_float_denorm_mode_32 3
		.amdhsa_float_denorm_mode_16_64 3
		.amdhsa_dx10_clamp 1
		.amdhsa_ieee_mode 1
		.amdhsa_fp16_overflow 0
		.amdhsa_workgroup_processor_mode 1
		.amdhsa_memory_ordered 1
		.amdhsa_forward_progress 0
		.amdhsa_shared_vgpr_count 0
		.amdhsa_exception_fp_ieee_invalid_op 0
		.amdhsa_exception_fp_denorm_src 0
		.amdhsa_exception_fp_ieee_div_zero 0
		.amdhsa_exception_fp_ieee_overflow 0
		.amdhsa_exception_fp_ieee_underflow 0
		.amdhsa_exception_fp_ieee_inexact 0
		.amdhsa_exception_int_div_zero 0
	.end_amdhsa_kernel
	.section	.text._ZN2at6native12_GLOBAL__N_143distribution_elementwise_grid_stride_kernelImLi2EZZZNS0_9templates4cuda32random_full_64_bits_range_kernelIPNS_17CUDAGeneratorImplEEEvRNS_18TensorIteratorBaseET_ENKUlvE_clEvENKUlvE_clEvEUlP25hiprandStatePhilox4_32_10E_ZNS1_27distribution_nullary_kernelIhm15HIP_vector_typeIyLj2EES7_SF_ZZZNS5_IS7_EEvS9_SA_ENKSB_clEvENKSC_clEvEUlmE_EEvS9_T2_RKT3_T4_EUlimE0_EEvlNS_15PhiloxCudaStateET1_SK_,"axG",@progbits,_ZN2at6native12_GLOBAL__N_143distribution_elementwise_grid_stride_kernelImLi2EZZZNS0_9templates4cuda32random_full_64_bits_range_kernelIPNS_17CUDAGeneratorImplEEEvRNS_18TensorIteratorBaseET_ENKUlvE_clEvENKUlvE_clEvEUlP25hiprandStatePhilox4_32_10E_ZNS1_27distribution_nullary_kernelIhm15HIP_vector_typeIyLj2EES7_SF_ZZZNS5_IS7_EEvS9_SA_ENKSB_clEvENKSC_clEvEUlmE_EEvS9_T2_RKT3_T4_EUlimE0_EEvlNS_15PhiloxCudaStateET1_SK_,comdat
.Lfunc_end53:
	.size	_ZN2at6native12_GLOBAL__N_143distribution_elementwise_grid_stride_kernelImLi2EZZZNS0_9templates4cuda32random_full_64_bits_range_kernelIPNS_17CUDAGeneratorImplEEEvRNS_18TensorIteratorBaseET_ENKUlvE_clEvENKUlvE_clEvEUlP25hiprandStatePhilox4_32_10E_ZNS1_27distribution_nullary_kernelIhm15HIP_vector_typeIyLj2EES7_SF_ZZZNS5_IS7_EEvS9_SA_ENKSB_clEvENKSC_clEvEUlmE_EEvS9_T2_RKT3_T4_EUlimE0_EEvlNS_15PhiloxCudaStateET1_SK_, .Lfunc_end53-_ZN2at6native12_GLOBAL__N_143distribution_elementwise_grid_stride_kernelImLi2EZZZNS0_9templates4cuda32random_full_64_bits_range_kernelIPNS_17CUDAGeneratorImplEEEvRNS_18TensorIteratorBaseET_ENKUlvE_clEvENKUlvE_clEvEUlP25hiprandStatePhilox4_32_10E_ZNS1_27distribution_nullary_kernelIhm15HIP_vector_typeIyLj2EES7_SF_ZZZNS5_IS7_EEvS9_SA_ENKSB_clEvENKSC_clEvEUlmE_EEvS9_T2_RKT3_T4_EUlimE0_EEvlNS_15PhiloxCudaStateET1_SK_
                                        ; -- End function
	.section	.AMDGPU.csdata,"",@progbits
; Kernel info:
; codeLenInByte = 3776
; NumSgprs: 54
; NumVgprs: 41
; ScratchSize: 0
; MemoryBound: 0
; FloatMode: 240
; IeeeMode: 1
; LDSByteSize: 0 bytes/workgroup (compile time only)
; SGPRBlocks: 6
; VGPRBlocks: 5
; NumSGPRsForWavesPerEU: 54
; NumVGPRsForWavesPerEU: 41
; Occupancy: 16
; WaveLimiterHint : 1
; COMPUTE_PGM_RSRC2:SCRATCH_EN: 0
; COMPUTE_PGM_RSRC2:USER_SGPR: 15
; COMPUTE_PGM_RSRC2:TRAP_HANDLER: 0
; COMPUTE_PGM_RSRC2:TGID_X_EN: 1
; COMPUTE_PGM_RSRC2:TGID_Y_EN: 0
; COMPUTE_PGM_RSRC2:TGID_Z_EN: 0
; COMPUTE_PGM_RSRC2:TIDIG_COMP_CNT: 0
	.section	.text._ZN2at6native12_GLOBAL__N_143distribution_elementwise_grid_stride_kernelImLi2EZZZNS0_9templates4cuda32random_full_64_bits_range_kernelIPNS_17CUDAGeneratorImplEEEvRNS_18TensorIteratorBaseET_ENKUlvE_clEvENKUlvE0_clEvEUlP25hiprandStatePhilox4_32_10E_ZNS1_27distribution_nullary_kernelIam15HIP_vector_typeIyLj2EES7_SF_ZZZNS5_IS7_EEvS9_SA_ENKSB_clEvENKSC_clEvEUlmE_EEvS9_T2_RKT3_T4_EUlimE_EEvlNS_15PhiloxCudaStateET1_SK_,"axG",@progbits,_ZN2at6native12_GLOBAL__N_143distribution_elementwise_grid_stride_kernelImLi2EZZZNS0_9templates4cuda32random_full_64_bits_range_kernelIPNS_17CUDAGeneratorImplEEEvRNS_18TensorIteratorBaseET_ENKUlvE_clEvENKUlvE0_clEvEUlP25hiprandStatePhilox4_32_10E_ZNS1_27distribution_nullary_kernelIam15HIP_vector_typeIyLj2EES7_SF_ZZZNS5_IS7_EEvS9_SA_ENKSB_clEvENKSC_clEvEUlmE_EEvS9_T2_RKT3_T4_EUlimE_EEvlNS_15PhiloxCudaStateET1_SK_,comdat
	.globl	_ZN2at6native12_GLOBAL__N_143distribution_elementwise_grid_stride_kernelImLi2EZZZNS0_9templates4cuda32random_full_64_bits_range_kernelIPNS_17CUDAGeneratorImplEEEvRNS_18TensorIteratorBaseET_ENKUlvE_clEvENKUlvE0_clEvEUlP25hiprandStatePhilox4_32_10E_ZNS1_27distribution_nullary_kernelIam15HIP_vector_typeIyLj2EES7_SF_ZZZNS5_IS7_EEvS9_SA_ENKSB_clEvENKSC_clEvEUlmE_EEvS9_T2_RKT3_T4_EUlimE_EEvlNS_15PhiloxCudaStateET1_SK_ ; -- Begin function _ZN2at6native12_GLOBAL__N_143distribution_elementwise_grid_stride_kernelImLi2EZZZNS0_9templates4cuda32random_full_64_bits_range_kernelIPNS_17CUDAGeneratorImplEEEvRNS_18TensorIteratorBaseET_ENKUlvE_clEvENKUlvE0_clEvEUlP25hiprandStatePhilox4_32_10E_ZNS1_27distribution_nullary_kernelIam15HIP_vector_typeIyLj2EES7_SF_ZZZNS5_IS7_EEvS9_SA_ENKSB_clEvENKSC_clEvEUlmE_EEvS9_T2_RKT3_T4_EUlimE_EEvlNS_15PhiloxCudaStateET1_SK_
	.p2align	8
	.type	_ZN2at6native12_GLOBAL__N_143distribution_elementwise_grid_stride_kernelImLi2EZZZNS0_9templates4cuda32random_full_64_bits_range_kernelIPNS_17CUDAGeneratorImplEEEvRNS_18TensorIteratorBaseET_ENKUlvE_clEvENKUlvE0_clEvEUlP25hiprandStatePhilox4_32_10E_ZNS1_27distribution_nullary_kernelIam15HIP_vector_typeIyLj2EES7_SF_ZZZNS5_IS7_EEvS9_SA_ENKSB_clEvENKSC_clEvEUlmE_EEvS9_T2_RKT3_T4_EUlimE_EEvlNS_15PhiloxCudaStateET1_SK_,@function
_ZN2at6native12_GLOBAL__N_143distribution_elementwise_grid_stride_kernelImLi2EZZZNS0_9templates4cuda32random_full_64_bits_range_kernelIPNS_17CUDAGeneratorImplEEEvRNS_18TensorIteratorBaseET_ENKUlvE_clEvENKUlvE0_clEvEUlP25hiprandStatePhilox4_32_10E_ZNS1_27distribution_nullary_kernelIam15HIP_vector_typeIyLj2EES7_SF_ZZZNS5_IS7_EEvS9_SA_ENKSB_clEvENKSC_clEvEUlmE_EEvS9_T2_RKT3_T4_EUlimE_EEvlNS_15PhiloxCudaStateET1_SK_: ; @_ZN2at6native12_GLOBAL__N_143distribution_elementwise_grid_stride_kernelImLi2EZZZNS0_9templates4cuda32random_full_64_bits_range_kernelIPNS_17CUDAGeneratorImplEEEvRNS_18TensorIteratorBaseET_ENKUlvE_clEvENKUlvE0_clEvEUlP25hiprandStatePhilox4_32_10E_ZNS1_27distribution_nullary_kernelIam15HIP_vector_typeIyLj2EES7_SF_ZZZNS5_IS7_EEvS9_SA_ENKSB_clEvENKSC_clEvEUlmE_EEvS9_T2_RKT3_T4_EUlimE_EEvlNS_15PhiloxCudaStateET1_SK_
; %bb.0:
	s_clause 0x2
	s_load_b64 s[8:9], s[0:1], 0x10
	s_load_b128 s[4:7], s[0:1], 0x0
	s_load_b32 s2, s[0:1], 0x20
	s_waitcnt lgkmcnt(0)
	v_dual_mov_b32 v2, s8 :: v_dual_mov_b32 v3, s9
	v_dual_mov_b32 v11, s7 :: v_dual_mov_b32 v10, s6
	s_bitcmp0_b32 s2, 0
	s_mov_b32 s2, 0
	s_cbranch_scc1 .LBB54_2
; %bb.1:
	v_dual_mov_b32 v1, s8 :: v_dual_mov_b32 v2, s9
	v_dual_mov_b32 v4, s6 :: v_dual_mov_b32 v5, s7
	s_load_b64 s[6:7], s[0:1], 0x18
	flat_load_b64 v[2:3], v[1:2]
	flat_load_b64 v[10:11], v[4:5]
	s_waitcnt vmcnt(1) lgkmcnt(0)
	v_add_co_u32 v2, vcc_lo, v2, s6
	v_add_co_ci_u32_e32 v3, vcc_lo, s7, v3, vcc_lo
.LBB54_2:
	s_clause 0x1
	s_load_b32 s3, s[0:1], 0x4c
	s_load_b32 s11, s[0:1], 0x40
	s_waitcnt lgkmcnt(0)
	s_and_b32 s10, s3, 0xffff
	s_add_u32 s6, s4, -1
	s_mul_i32 s8, s11, s10
	s_addc_u32 s3, s5, -1
	s_lshl_b32 s9, s8, 1
	s_cmp_lg_u64 s[2:3], 0
	s_cbranch_scc0 .LBB54_23
; %bb.3:
	v_cvt_f32_ubyte0_e32 v1, 0
	v_cvt_f32_u32_e32 v4, s9
	s_sub_u32 s12, 0, s9
	s_subb_u32 s13, 0, 0
	s_delay_alu instid0(VALU_DEP_1) | instskip(NEXT) | instid1(VALU_DEP_1)
	v_fmamk_f32 v1, v1, 0x4f800000, v4
	v_rcp_f32_e32 v1, v1
	s_waitcnt_depctr 0xfff
	v_mul_f32_e32 v1, 0x5f7ffffc, v1
	s_delay_alu instid0(VALU_DEP_1) | instskip(NEXT) | instid1(VALU_DEP_1)
	v_mul_f32_e32 v4, 0x2f800000, v1
	v_trunc_f32_e32 v4, v4
	s_delay_alu instid0(VALU_DEP_1) | instskip(SKIP_1) | instid1(VALU_DEP_2)
	v_fmamk_f32 v1, v4, 0xcf800000, v1
	v_cvt_u32_f32_e32 v4, v4
	v_cvt_u32_f32_e32 v1, v1
	s_delay_alu instid0(VALU_DEP_2) | instskip(NEXT) | instid1(VALU_DEP_2)
	v_readfirstlane_b32 s2, v4
	v_readfirstlane_b32 s7, v1
	s_delay_alu instid0(VALU_DEP_2) | instskip(NEXT) | instid1(VALU_DEP_1)
	s_mul_i32 s14, s12, s2
	s_mul_hi_u32 s17, s12, s7
	s_mul_i32 s16, s13, s7
	s_add_i32 s14, s17, s14
	s_mul_i32 s18, s12, s7
	s_add_i32 s14, s14, s16
	s_mul_hi_u32 s17, s7, s18
	s_mul_hi_u32 s19, s2, s18
	s_mul_i32 s16, s2, s18
	s_mul_hi_u32 s18, s7, s14
	s_mul_i32 s7, s7, s14
	s_mul_hi_u32 s20, s2, s14
	s_add_u32 s7, s17, s7
	s_addc_u32 s17, 0, s18
	s_add_u32 s7, s7, s16
	s_mul_i32 s14, s2, s14
	s_addc_u32 s7, s17, s19
	s_addc_u32 s16, s20, 0
	s_add_u32 s7, s7, s14
	s_addc_u32 s14, 0, s16
	v_add_co_u32 v1, s7, v1, s7
	s_delay_alu instid0(VALU_DEP_1) | instskip(SKIP_1) | instid1(VALU_DEP_1)
	s_cmp_lg_u32 s7, 0
	s_addc_u32 s2, s2, s14
	v_readfirstlane_b32 s7, v1
	s_mul_i32 s14, s12, s2
	s_delay_alu instid0(VALU_DEP_1)
	s_mul_hi_u32 s16, s12, s7
	s_mul_i32 s13, s13, s7
	s_add_i32 s14, s16, s14
	s_mul_i32 s12, s12, s7
	s_add_i32 s14, s14, s13
	s_mul_hi_u32 s16, s2, s12
	s_mul_i32 s17, s2, s12
	s_mul_hi_u32 s12, s7, s12
	s_mul_hi_u32 s18, s7, s14
	s_mul_i32 s7, s7, s14
	s_mul_hi_u32 s13, s2, s14
	s_add_u32 s7, s12, s7
	s_addc_u32 s12, 0, s18
	s_add_u32 s7, s7, s17
	s_mul_i32 s14, s2, s14
	s_addc_u32 s7, s12, s16
	s_addc_u32 s12, s13, 0
	s_add_u32 s7, s7, s14
	s_addc_u32 s12, 0, s12
	v_add_co_u32 v1, s7, v1, s7
	s_delay_alu instid0(VALU_DEP_1) | instskip(SKIP_2) | instid1(VALU_DEP_1)
	s_cmp_lg_u32 s7, 0
	s_addc_u32 s7, s2, s12
	s_ashr_i32 s12, s3, 31
	v_readfirstlane_b32 s14, v1
	s_add_u32 s2, s6, s12
	s_mov_b32 s13, s12
	s_addc_u32 s3, s3, s12
	s_delay_alu instid0(SALU_CYCLE_1) | instskip(NEXT) | instid1(SALU_CYCLE_1)
	s_xor_b64 s[2:3], s[2:3], s[12:13]
	s_mul_i32 s17, s2, s7
	s_mul_hi_u32 s18, s2, s14
	s_mul_hi_u32 s16, s2, s7
	;; [unrolled: 1-line block ×3, first 2 shown]
	s_mul_i32 s14, s3, s14
	s_add_u32 s17, s18, s17
	s_addc_u32 s16, 0, s16
	s_mul_hi_u32 s19, s3, s7
	s_add_u32 s14, s17, s14
	s_mul_i32 s7, s3, s7
	s_addc_u32 s14, s16, s20
	s_addc_u32 s16, s19, 0
	s_add_u32 s7, s14, s7
	s_addc_u32 s14, 0, s16
	s_mul_i32 s17, s9, s7
	s_add_u32 s16, s7, 1
	v_sub_co_u32 v1, s2, s2, s17
	s_mul_hi_u32 s17, s9, s7
	s_addc_u32 s18, s14, 0
	s_mul_i32 s19, s9, s14
	s_delay_alu instid0(VALU_DEP_1)
	v_sub_co_u32 v4, s20, v1, s9
	s_add_u32 s21, s7, 2
	s_addc_u32 s22, s14, 0
	s_add_i32 s17, s17, s19
	s_cmp_lg_u32 s2, 0
	v_readfirstlane_b32 s2, v4
	s_subb_u32 s3, s3, s17
	s_cmp_lg_u32 s20, 0
	s_subb_u32 s17, s3, 0
	s_delay_alu instid0(VALU_DEP_1) | instskip(SKIP_4) | instid1(SALU_CYCLE_1)
	s_cmp_ge_u32 s2, s9
	s_cselect_b32 s2, -1, 0
	s_cmp_eq_u32 s17, 0
	v_readfirstlane_b32 s17, v1
	s_cselect_b32 s2, s2, -1
	s_cmp_lg_u32 s2, 0
	s_cselect_b32 s2, s21, s16
	s_cselect_b32 s16, s22, s18
	s_cmp_ge_u32 s17, s9
	s_cselect_b32 s17, -1, 0
	s_cmp_eq_u32 s3, 0
	s_cselect_b32 s3, s17, -1
	s_delay_alu instid0(SALU_CYCLE_1) | instskip(SKIP_2) | instid1(SALU_CYCLE_1)
	s_cmp_lg_u32 s3, 0
	s_cselect_b32 s3, s16, s14
	s_cselect_b32 s2, s2, s7
	s_xor_b64 s[2:3], s[2:3], s[12:13]
	s_delay_alu instid0(SALU_CYCLE_1)
	s_sub_u32 s2, s2, s12
	s_subb_u32 s3, s3, s12
	s_cbranch_execnz .LBB54_5
.LBB54_4:
	v_cvt_f32_u32_e32 v1, s9
	s_sub_i32 s3, 0, s9
	s_delay_alu instid0(VALU_DEP_1) | instskip(SKIP_2) | instid1(VALU_DEP_1)
	v_rcp_iflag_f32_e32 v1, v1
	s_waitcnt_depctr 0xfff
	v_mul_f32_e32 v1, 0x4f7ffffe, v1
	v_cvt_u32_f32_e32 v1, v1
	s_delay_alu instid0(VALU_DEP_1) | instskip(NEXT) | instid1(VALU_DEP_1)
	v_readfirstlane_b32 s2, v1
	s_mul_i32 s3, s3, s2
	s_delay_alu instid0(SALU_CYCLE_1) | instskip(NEXT) | instid1(SALU_CYCLE_1)
	s_mul_hi_u32 s3, s2, s3
	s_add_i32 s2, s2, s3
	s_delay_alu instid0(SALU_CYCLE_1) | instskip(NEXT) | instid1(SALU_CYCLE_1)
	s_mul_hi_u32 s2, s6, s2
	s_mul_i32 s3, s2, s9
	s_delay_alu instid0(SALU_CYCLE_1)
	s_sub_i32 s3, s6, s3
	s_add_i32 s6, s2, 1
	s_sub_i32 s7, s3, s9
	s_cmp_ge_u32 s3, s9
	s_cselect_b32 s2, s6, s2
	s_cselect_b32 s3, s7, s3
	s_add_i32 s6, s2, 1
	s_cmp_ge_u32 s3, s9
	s_mov_b32 s3, 0
	s_cselect_b32 s2, s6, s2
.LBB54_5:
	v_mov_b32_e32 v1, 0
	s_add_u32 s2, s2, 1
	s_addc_u32 s3, s3, 0
	s_mul_hi_u32 s6, s8, s2
	s_mul_i32 s3, s8, s3
	v_mad_u64_u32 v[12:13], null, s10, s15, v[0:1]
	s_mul_hi_u32 s7, s11, s10
	s_add_i32 s3, s6, s3
	s_mul_i32 s7, s7, s2
	s_mul_i32 s2, s8, s2
	s_add_i32 s3, s3, s7
	s_mov_b32 s6, exec_lo
	s_lshl_b64 s[2:3], s[2:3], 1
	s_delay_alu instid0(SALU_CYCLE_1)
	v_cmpx_gt_i64_e64 s[2:3], v[12:13]
	s_cbranch_execz .LBB54_22
; %bb.6:
	v_mad_u64_u32 v[4:5], null, 0xcd9e8d57, v12, 0
	v_alignbit_b32 v16, v3, v2, 2
	v_lshrrev_b32_e32 v17, 2, v3
	s_waitcnt vmcnt(0)
	v_dual_mov_b32 v33, v11 :: v_dual_and_b32 v34, 3, v2
	v_add_co_u32 v19, null, 0x9e3779b9, v10
	v_mad_u64_u32 v[6:7], null, 0xd2511f53, v16, 0
	v_xor3_b32 v1, v10, v5, v17
	s_delay_alu instid0(VALU_DEP_4) | instskip(SKIP_1) | instid1(VALU_DEP_3)
	v_add_co_u32 v18, null, 0xbb67ae85, v33
	v_add_co_u32 v20, null, 0x3c6ef372, v10
	v_mad_u64_u32 v[8:9], null, 0xd2511f53, v1, 0
	v_xor_b32_e32 v1, v7, v11
	v_add_co_u32 v21, null, 0x76cf5d0a, v33
	v_add_co_u32 v22, null, 0x32370b8f, v33
	s_delay_alu instid0(VALU_DEP_3) | instskip(SKIP_3) | instid1(VALU_DEP_4)
	v_xor_b32_e32 v1, v1, v13
	v_xor3_b32 v3, v18, v9, v6
	v_add_co_u32 v23, null, 0xdaa66d2b, v10
	v_add_co_u32 v24, null, 0x78dde6e4, v10
	v_mad_u64_u32 v[5:6], null, 0xcd9e8d57, v1, 0
	s_delay_alu instid0(VALU_DEP_4) | instskip(SKIP_2) | instid1(VALU_DEP_4)
	v_mad_u64_u32 v[14:15], null, 0xcd9e8d57, v3, 0
	v_add_co_u32 v25, null, 0xed9eba14, v33
	v_add_co_u32 v26, null, 0xa9066899, v33
	v_xor3_b32 v1, v19, v6, v4
	v_add_co_u32 v27, null, 0x1715609d, v10
	v_xor3_b32 v7, v20, v15, v5
	v_add_co_u32 v28, null, 0xb54cda56, v10
	s_delay_alu instid0(VALU_DEP_4) | instskip(NEXT) | instid1(VALU_DEP_3)
	v_mad_u64_u32 v[3:4], null, 0xd2511f53, v1, 0
	v_mad_u64_u32 v[5:6], null, 0xd2511f53, v7, 0
	v_add_co_u32 v29, null, 0x646e171e, v33
	v_add_co_u32 v30, null, 0x1fd5c5a3, v33
	s_delay_alu instid0(VALU_DEP_4)
	v_xor3_b32 v1, v21, v4, v8
	v_add_co_u32 v31, null, 0x5384540f, v10
	v_xor3_b32 v8, v22, v6, v3
	s_clause 0x1
	s_load_b64 s[6:7], s[0:1], 0x30
	s_load_b32 s0, s[0:1], 0x38
	v_mad_u64_u32 v[3:4], null, 0xcd9e8d57, v1, 0
	v_add_co_u32 v32, null, 0xf1bbcdc8, v10
	v_mad_u64_u32 v[6:7], null, 0xcd9e8d57, v8, 0
	v_add_co_u32 v33, null, 0xdb3d7428, v33
	s_delay_alu instid0(VALU_DEP_4) | instskip(SKIP_3) | instid1(VALU_DEP_4)
	v_xor3_b32 v1, v23, v4, v14
	v_dual_mov_b32 v39, v12 :: v_dual_add_nc_u32 v36, 0x96a522ad, v11
	v_dual_mov_b32 v40, v13 :: v_dual_add_nc_u32 v35, 0x8ff34781, v10
	v_xor3_b32 v9, v24, v7, v3
	v_mad_u64_u32 v[3:4], null, 0xd2511f53, v1, 0
	s_delay_alu instid0(VALU_DEP_2) | instskip(SKIP_2) | instid1(VALU_DEP_2)
	v_mad_u64_u32 v[7:8], null, 0xd2511f53, v9, 0
	s_waitcnt lgkmcnt(0)
	s_mul_i32 s1, s11, s0
	v_xor3_b32 v1, v25, v4, v5
	s_mul_i32 s1, s1, s10
	s_delay_alu instid0(SALU_CYCLE_1) | instskip(NEXT) | instid1(VALU_DEP_2)
	s_lshl_b32 s1, s1, 1
	v_xor3_b32 v5, v26, v8, v3
	s_delay_alu instid0(VALU_DEP_2) | instskip(NEXT) | instid1(VALU_DEP_2)
	v_mad_u64_u32 v[3:4], null, 0xcd9e8d57, v1, 0
	v_mad_u64_u32 v[8:9], null, 0xcd9e8d57, v5, 0
	s_delay_alu instid0(VALU_DEP_2) | instskip(NEXT) | instid1(VALU_DEP_2)
	v_xor3_b32 v1, v27, v4, v6
	v_xor3_b32 v9, v28, v9, v3
	s_delay_alu instid0(VALU_DEP_2) | instskip(NEXT) | instid1(VALU_DEP_2)
	v_mad_u64_u32 v[3:4], null, 0xd2511f53, v1, 0
	v_mad_u64_u32 v[5:6], null, 0xd2511f53, v9, 0
	s_delay_alu instid0(VALU_DEP_2) | instskip(NEXT) | instid1(VALU_DEP_2)
	v_xor3_b32 v1, v29, v4, v7
	v_xor3_b32 v9, v30, v6, v3
	s_delay_alu instid0(VALU_DEP_2) | instskip(SKIP_1) | instid1(VALU_DEP_3)
	v_mad_u64_u32 v[3:4], null, 0xcd9e8d57, v1, 0
	v_mad_u64_u32 v[14:15], null, s15, s10, v[0:1]
	;; [unrolled: 1-line block ×3, first 2 shown]
	s_add_i32 s15, s15, s11
	s_delay_alu instid0(VALU_DEP_3) | instskip(SKIP_1) | instid1(VALU_DEP_4)
	v_xor3_b32 v4, v31, v4, v8
	v_mad_u64_u32 v[8:9], null, s15, s10, v[0:1]
	v_mul_lo_u32 v37, s0, v14
	s_delay_alu instid0(VALU_DEP_4) | instskip(NEXT) | instid1(VALU_DEP_4)
	v_xor3_b32 v6, v32, v7, v3
	v_mad_u64_u32 v[0:1], null, 0xd2511f53, v4, 0
	s_mov_b32 s10, 0
	s_delay_alu instid0(VALU_DEP_2) | instskip(SKIP_2) | instid1(VALU_DEP_3)
	v_mad_u64_u32 v[3:4], null, 0xd2511f53, v6, 0
	v_mul_lo_u32 v38, s0, v8
	s_mov_b32 s0, 0
	v_xor3_b32 v5, v33, v1, v5
	s_delay_alu instid0(VALU_DEP_1) | instskip(NEXT) | instid1(VALU_DEP_4)
	v_mad_u64_u32 v[1:2], null, 0xcd9e8d57, v5, 0
	v_xor3_b32 v2, v4, v0, v36
	s_branch .LBB54_8
.LBB54_7:                               ;   in Loop: Header=BB54_8 Depth=1
	s_or_b32 exec_lo, exec_lo, s11
	v_add_co_u32 v12, vcc_lo, v12, s9
	v_add_co_ci_u32_e32 v13, vcc_lo, 0, v13, vcc_lo
	v_mov_b32_e32 v6, v14
	v_mov_b32_e32 v0, v3
	v_dual_mov_b32 v1, v4 :: v_dual_mov_b32 v2, v5
	s_delay_alu instid0(VALU_DEP_4) | instskip(NEXT) | instid1(VALU_DEP_4)
	v_cmp_le_i64_e32 vcc_lo, s[2:3], v[12:13]
	v_mov_b32_e32 v3, v6
	s_add_i32 s10, s10, s1
	s_waitcnt_vscnt null, 0x0
	s_barrier
	buffer_gl0_inv
	s_or_b32 s0, vcc_lo, s0
	s_delay_alu instid0(SALU_CYCLE_1)
	s_and_not1_b32 exec_lo, exec_lo, s0
	s_cbranch_execz .LBB54_22
.LBB54_8:                               ; =>This Inner Loop Header: Depth=1
	v_add_co_u32 v16, vcc_lo, v16, 1
	s_delay_alu instid0(VALU_DEP_1) | instskip(SKIP_1) | instid1(VALU_DEP_3)
	v_cndmask_b32_e64 v0, 0, 1, vcc_lo
	v_add_co_ci_u32_e32 v17, vcc_lo, 0, v17, vcc_lo
	v_mad_u64_u32 v[4:5], null, 0xd2511f53, v16, 0
	s_mov_b32 s11, exec_lo
	s_delay_alu instid0(VALU_DEP_2) | instskip(SKIP_1) | instid1(VALU_DEP_1)
	v_cmp_eq_u32_e32 vcc_lo, 0, v17
	v_cndmask_b32_e32 v0, 0, v0, vcc_lo
	v_add_nc_u32_e32 v39, v0, v39
	s_delay_alu instid0(VALU_DEP_1) | instskip(SKIP_2) | instid1(VALU_DEP_2)
	v_cmp_eq_u32_e32 vcc_lo, 0, v39
	v_cndmask_b32_e32 v0, 0, v0, vcc_lo
	v_mad_u64_u32 v[6:7], null, 0xcd9e8d57, v39, 0
	v_add_nc_u32_e32 v40, v0, v40
	v_xor_b32_e32 v0, v5, v11
	s_delay_alu instid0(VALU_DEP_3) | instskip(NEXT) | instid1(VALU_DEP_2)
	v_xor3_b32 v5, v7, v10, v17
	v_xor_b32_e32 v0, v40, v0
	s_delay_alu instid0(VALU_DEP_2) | instskip(NEXT) | instid1(VALU_DEP_2)
	v_mad_u64_u32 v[7:8], null, 0xd2511f53, v5, 0
	v_mad_u64_u32 v[14:15], null, 0xcd9e8d57, v0, 0
	s_delay_alu instid0(VALU_DEP_2) | instskip(NEXT) | instid1(VALU_DEP_2)
	v_xor3_b32 v0, v18, v8, v4
	v_xor3_b32 v6, v19, v15, v6
	s_delay_alu instid0(VALU_DEP_2) | instskip(NEXT) | instid1(VALU_DEP_2)
	v_mad_u64_u32 v[4:5], null, 0xcd9e8d57, v0, 0
	v_mad_u64_u32 v[8:9], null, 0xd2511f53, v6, 0
	s_delay_alu instid0(VALU_DEP_2) | instskip(NEXT) | instid1(VALU_DEP_2)
	v_xor3_b32 v0, v20, v5, v14
	v_xor3_b32 v7, v21, v9, v7
	;; [unrolled: 6-line block ×9, first 2 shown]
	s_delay_alu instid0(VALU_DEP_2)
	v_mov_b32_e32 v5, v8
	v_cmpx_lt_i32_e32 1, v34
	s_xor_b32 s11, exec_lo, s11
	s_cbranch_execnz .LBB54_14
; %bb.9:                                ;   in Loop: Header=BB54_8 Depth=1
	s_and_not1_saveexec_b32 s11, s11
	s_cbranch_execnz .LBB54_19
.LBB54_10:                              ;   in Loop: Header=BB54_8 Depth=1
	s_or_b32 exec_lo, exec_lo, s11
	s_delay_alu instid0(SALU_CYCLE_1)
	s_mov_b32 s11, exec_lo
	v_cmpx_gt_i64_e64 s[4:5], v[12:13]
	s_cbranch_execz .LBB54_12
.LBB54_11:                              ;   in Loop: Header=BB54_8 Depth=1
	v_add_nc_u32_e32 v0, s10, v37
	s_delay_alu instid0(VALU_DEP_1) | instskip(SKIP_1) | instid1(VALU_DEP_2)
	v_ashrrev_i32_e32 v2, 31, v0
	v_add_co_u32 v6, vcc_lo, s6, v0
	v_add_co_ci_u32_e32 v7, vcc_lo, s7, v2, vcc_lo
	global_store_b8 v[6:7], v1, off
.LBB54_12:                              ;   in Loop: Header=BB54_8 Depth=1
	s_or_b32 exec_lo, exec_lo, s11
	v_add_co_u32 v0, vcc_lo, s8, v12
	v_add_co_ci_u32_e32 v1, vcc_lo, 0, v13, vcc_lo
	s_mov_b32 s11, exec_lo
	s_delay_alu instid0(VALU_DEP_1)
	v_cmpx_gt_i64_e64 s[4:5], v[0:1]
	s_cbranch_execz .LBB54_7
; %bb.13:                               ;   in Loop: Header=BB54_8 Depth=1
	v_add_nc_u32_e32 v0, s10, v38
	s_delay_alu instid0(VALU_DEP_1) | instskip(SKIP_1) | instid1(VALU_DEP_2)
	v_ashrrev_i32_e32 v1, 31, v0
	v_add_co_u32 v0, vcc_lo, s6, v0
	v_add_co_ci_u32_e32 v1, vcc_lo, s7, v1, vcc_lo
	global_store_b8 v[0:1], v3, off
	s_branch .LBB54_7
.LBB54_14:                              ;   in Loop: Header=BB54_8 Depth=1
	s_mov_b32 s12, exec_lo
	v_cmpx_lt_i32_e32 2, v34
	s_xor_b32 s12, exec_lo, s12
; %bb.15:                               ;   in Loop: Header=BB54_8 Depth=1
	v_dual_mov_b32 v0, v5 :: v_dual_mov_b32 v1, v6
	v_dual_mov_b32 v2, v7 :: v_dual_mov_b32 v3, v8
; %bb.16:                               ;   in Loop: Header=BB54_8 Depth=1
	s_and_not1_saveexec_b32 s12, s12
; %bb.17:                               ;   in Loop: Header=BB54_8 Depth=1
	s_delay_alu instid0(VALU_DEP_1)
	v_mov_b32_e32 v1, v3
	v_mov_b32_e32 v3, v4
; %bb.18:                               ;   in Loop: Header=BB54_8 Depth=1
	s_or_b32 exec_lo, exec_lo, s12
                                        ; implicit-def: $vgpr6_vgpr7_vgpr8_vgpr9
	s_and_not1_saveexec_b32 s11, s11
	s_cbranch_execz .LBB54_10
.LBB54_19:                              ;   in Loop: Header=BB54_8 Depth=1
	s_mov_b32 s12, exec_lo
	v_cmpx_eq_u32_e32 1, v34
; %bb.20:                               ;   in Loop: Header=BB54_8 Depth=1
	v_mov_b32_e32 v1, v2
	v_mov_b32_e32 v3, v6
; %bb.21:                               ;   in Loop: Header=BB54_8 Depth=1
	s_or_b32 exec_lo, exec_lo, s12
	s_delay_alu instid0(SALU_CYCLE_1) | instskip(NEXT) | instid1(SALU_CYCLE_1)
	s_or_b32 exec_lo, exec_lo, s11
	s_mov_b32 s11, exec_lo
	v_cmpx_gt_i64_e64 s[4:5], v[12:13]
	s_cbranch_execnz .LBB54_11
	s_branch .LBB54_12
.LBB54_22:
	s_endpgm
.LBB54_23:
                                        ; implicit-def: $sgpr2_sgpr3
	s_branch .LBB54_4
	.section	.rodata,"a",@progbits
	.p2align	6, 0x0
	.amdhsa_kernel _ZN2at6native12_GLOBAL__N_143distribution_elementwise_grid_stride_kernelImLi2EZZZNS0_9templates4cuda32random_full_64_bits_range_kernelIPNS_17CUDAGeneratorImplEEEvRNS_18TensorIteratorBaseET_ENKUlvE_clEvENKUlvE0_clEvEUlP25hiprandStatePhilox4_32_10E_ZNS1_27distribution_nullary_kernelIam15HIP_vector_typeIyLj2EES7_SF_ZZZNS5_IS7_EEvS9_SA_ENKSB_clEvENKSC_clEvEUlmE_EEvS9_T2_RKT3_T4_EUlimE_EEvlNS_15PhiloxCudaStateET1_SK_
		.amdhsa_group_segment_fixed_size 0
		.amdhsa_private_segment_fixed_size 0
		.amdhsa_kernarg_size 320
		.amdhsa_user_sgpr_count 15
		.amdhsa_user_sgpr_dispatch_ptr 0
		.amdhsa_user_sgpr_queue_ptr 0
		.amdhsa_user_sgpr_kernarg_segment_ptr 1
		.amdhsa_user_sgpr_dispatch_id 0
		.amdhsa_user_sgpr_private_segment_size 0
		.amdhsa_wavefront_size32 1
		.amdhsa_uses_dynamic_stack 0
		.amdhsa_enable_private_segment 0
		.amdhsa_system_sgpr_workgroup_id_x 1
		.amdhsa_system_sgpr_workgroup_id_y 0
		.amdhsa_system_sgpr_workgroup_id_z 0
		.amdhsa_system_sgpr_workgroup_info 0
		.amdhsa_system_vgpr_workitem_id 0
		.amdhsa_next_free_vgpr 43
		.amdhsa_next_free_sgpr 23
		.amdhsa_reserve_vcc 1
		.amdhsa_float_round_mode_32 0
		.amdhsa_float_round_mode_16_64 0
		.amdhsa_float_denorm_mode_32 3
		.amdhsa_float_denorm_mode_16_64 3
		.amdhsa_dx10_clamp 1
		.amdhsa_ieee_mode 1
		.amdhsa_fp16_overflow 0
		.amdhsa_workgroup_processor_mode 1
		.amdhsa_memory_ordered 1
		.amdhsa_forward_progress 0
		.amdhsa_shared_vgpr_count 0
		.amdhsa_exception_fp_ieee_invalid_op 0
		.amdhsa_exception_fp_denorm_src 0
		.amdhsa_exception_fp_ieee_div_zero 0
		.amdhsa_exception_fp_ieee_overflow 0
		.amdhsa_exception_fp_ieee_underflow 0
		.amdhsa_exception_fp_ieee_inexact 0
		.amdhsa_exception_int_div_zero 0
	.end_amdhsa_kernel
	.section	.text._ZN2at6native12_GLOBAL__N_143distribution_elementwise_grid_stride_kernelImLi2EZZZNS0_9templates4cuda32random_full_64_bits_range_kernelIPNS_17CUDAGeneratorImplEEEvRNS_18TensorIteratorBaseET_ENKUlvE_clEvENKUlvE0_clEvEUlP25hiprandStatePhilox4_32_10E_ZNS1_27distribution_nullary_kernelIam15HIP_vector_typeIyLj2EES7_SF_ZZZNS5_IS7_EEvS9_SA_ENKSB_clEvENKSC_clEvEUlmE_EEvS9_T2_RKT3_T4_EUlimE_EEvlNS_15PhiloxCudaStateET1_SK_,"axG",@progbits,_ZN2at6native12_GLOBAL__N_143distribution_elementwise_grid_stride_kernelImLi2EZZZNS0_9templates4cuda32random_full_64_bits_range_kernelIPNS_17CUDAGeneratorImplEEEvRNS_18TensorIteratorBaseET_ENKUlvE_clEvENKUlvE0_clEvEUlP25hiprandStatePhilox4_32_10E_ZNS1_27distribution_nullary_kernelIam15HIP_vector_typeIyLj2EES7_SF_ZZZNS5_IS7_EEvS9_SA_ENKSB_clEvENKSC_clEvEUlmE_EEvS9_T2_RKT3_T4_EUlimE_EEvlNS_15PhiloxCudaStateET1_SK_,comdat
.Lfunc_end54:
	.size	_ZN2at6native12_GLOBAL__N_143distribution_elementwise_grid_stride_kernelImLi2EZZZNS0_9templates4cuda32random_full_64_bits_range_kernelIPNS_17CUDAGeneratorImplEEEvRNS_18TensorIteratorBaseET_ENKUlvE_clEvENKUlvE0_clEvEUlP25hiprandStatePhilox4_32_10E_ZNS1_27distribution_nullary_kernelIam15HIP_vector_typeIyLj2EES7_SF_ZZZNS5_IS7_EEvS9_SA_ENKSB_clEvENKSC_clEvEUlmE_EEvS9_T2_RKT3_T4_EUlimE_EEvlNS_15PhiloxCudaStateET1_SK_, .Lfunc_end54-_ZN2at6native12_GLOBAL__N_143distribution_elementwise_grid_stride_kernelImLi2EZZZNS0_9templates4cuda32random_full_64_bits_range_kernelIPNS_17CUDAGeneratorImplEEEvRNS_18TensorIteratorBaseET_ENKUlvE_clEvENKUlvE0_clEvEUlP25hiprandStatePhilox4_32_10E_ZNS1_27distribution_nullary_kernelIam15HIP_vector_typeIyLj2EES7_SF_ZZZNS5_IS7_EEvS9_SA_ENKSB_clEvENKSC_clEvEUlmE_EEvS9_T2_RKT3_T4_EUlimE_EEvlNS_15PhiloxCudaStateET1_SK_
                                        ; -- End function
	.section	.AMDGPU.csdata,"",@progbits
; Kernel info:
; codeLenInByte = 2572
; NumSgprs: 25
; NumVgprs: 43
; ScratchSize: 0
; MemoryBound: 0
; FloatMode: 240
; IeeeMode: 1
; LDSByteSize: 0 bytes/workgroup (compile time only)
; SGPRBlocks: 3
; VGPRBlocks: 5
; NumSGPRsForWavesPerEU: 25
; NumVGPRsForWavesPerEU: 43
; Occupancy: 16
; WaveLimiterHint : 0
; COMPUTE_PGM_RSRC2:SCRATCH_EN: 0
; COMPUTE_PGM_RSRC2:USER_SGPR: 15
; COMPUTE_PGM_RSRC2:TRAP_HANDLER: 0
; COMPUTE_PGM_RSRC2:TGID_X_EN: 1
; COMPUTE_PGM_RSRC2:TGID_Y_EN: 0
; COMPUTE_PGM_RSRC2:TGID_Z_EN: 0
; COMPUTE_PGM_RSRC2:TIDIG_COMP_CNT: 0
	.section	.text._ZN2at6native12_GLOBAL__N_143distribution_elementwise_grid_stride_kernelImLi2EZZZNS0_9templates4cuda32random_full_64_bits_range_kernelIPNS_17CUDAGeneratorImplEEEvRNS_18TensorIteratorBaseET_ENKUlvE_clEvENKUlvE0_clEvEUlP25hiprandStatePhilox4_32_10E_ZNS1_27distribution_nullary_kernelIam15HIP_vector_typeIyLj2EES7_SF_ZZZNS5_IS7_EEvS9_SA_ENKSB_clEvENKSC_clEvEUlmE_EEvS9_T2_RKT3_T4_EUlimE0_EEvlNS_15PhiloxCudaStateET1_SK_,"axG",@progbits,_ZN2at6native12_GLOBAL__N_143distribution_elementwise_grid_stride_kernelImLi2EZZZNS0_9templates4cuda32random_full_64_bits_range_kernelIPNS_17CUDAGeneratorImplEEEvRNS_18TensorIteratorBaseET_ENKUlvE_clEvENKUlvE0_clEvEUlP25hiprandStatePhilox4_32_10E_ZNS1_27distribution_nullary_kernelIam15HIP_vector_typeIyLj2EES7_SF_ZZZNS5_IS7_EEvS9_SA_ENKSB_clEvENKSC_clEvEUlmE_EEvS9_T2_RKT3_T4_EUlimE0_EEvlNS_15PhiloxCudaStateET1_SK_,comdat
	.globl	_ZN2at6native12_GLOBAL__N_143distribution_elementwise_grid_stride_kernelImLi2EZZZNS0_9templates4cuda32random_full_64_bits_range_kernelIPNS_17CUDAGeneratorImplEEEvRNS_18TensorIteratorBaseET_ENKUlvE_clEvENKUlvE0_clEvEUlP25hiprandStatePhilox4_32_10E_ZNS1_27distribution_nullary_kernelIam15HIP_vector_typeIyLj2EES7_SF_ZZZNS5_IS7_EEvS9_SA_ENKSB_clEvENKSC_clEvEUlmE_EEvS9_T2_RKT3_T4_EUlimE0_EEvlNS_15PhiloxCudaStateET1_SK_ ; -- Begin function _ZN2at6native12_GLOBAL__N_143distribution_elementwise_grid_stride_kernelImLi2EZZZNS0_9templates4cuda32random_full_64_bits_range_kernelIPNS_17CUDAGeneratorImplEEEvRNS_18TensorIteratorBaseET_ENKUlvE_clEvENKUlvE0_clEvEUlP25hiprandStatePhilox4_32_10E_ZNS1_27distribution_nullary_kernelIam15HIP_vector_typeIyLj2EES7_SF_ZZZNS5_IS7_EEvS9_SA_ENKSB_clEvENKSC_clEvEUlmE_EEvS9_T2_RKT3_T4_EUlimE0_EEvlNS_15PhiloxCudaStateET1_SK_
	.p2align	8
	.type	_ZN2at6native12_GLOBAL__N_143distribution_elementwise_grid_stride_kernelImLi2EZZZNS0_9templates4cuda32random_full_64_bits_range_kernelIPNS_17CUDAGeneratorImplEEEvRNS_18TensorIteratorBaseET_ENKUlvE_clEvENKUlvE0_clEvEUlP25hiprandStatePhilox4_32_10E_ZNS1_27distribution_nullary_kernelIam15HIP_vector_typeIyLj2EES7_SF_ZZZNS5_IS7_EEvS9_SA_ENKSB_clEvENKSC_clEvEUlmE_EEvS9_T2_RKT3_T4_EUlimE0_EEvlNS_15PhiloxCudaStateET1_SK_,@function
_ZN2at6native12_GLOBAL__N_143distribution_elementwise_grid_stride_kernelImLi2EZZZNS0_9templates4cuda32random_full_64_bits_range_kernelIPNS_17CUDAGeneratorImplEEEvRNS_18TensorIteratorBaseET_ENKUlvE_clEvENKUlvE0_clEvEUlP25hiprandStatePhilox4_32_10E_ZNS1_27distribution_nullary_kernelIam15HIP_vector_typeIyLj2EES7_SF_ZZZNS5_IS7_EEvS9_SA_ENKSB_clEvENKSC_clEvEUlmE_EEvS9_T2_RKT3_T4_EUlimE0_EEvlNS_15PhiloxCudaStateET1_SK_: ; @_ZN2at6native12_GLOBAL__N_143distribution_elementwise_grid_stride_kernelImLi2EZZZNS0_9templates4cuda32random_full_64_bits_range_kernelIPNS_17CUDAGeneratorImplEEEvRNS_18TensorIteratorBaseET_ENKUlvE_clEvENKUlvE0_clEvEUlP25hiprandStatePhilox4_32_10E_ZNS1_27distribution_nullary_kernelIam15HIP_vector_typeIyLj2EES7_SF_ZZZNS5_IS7_EEvS9_SA_ENKSB_clEvENKSC_clEvEUlmE_EEvS9_T2_RKT3_T4_EUlimE0_EEvlNS_15PhiloxCudaStateET1_SK_
; %bb.0:
	s_clause 0x2
	s_load_b64 s[4:5], s[0:1], 0x10
	s_load_b128 s[16:19], s[0:1], 0x0
	s_load_b32 s2, s[0:1], 0x20
	s_waitcnt lgkmcnt(0)
	v_dual_mov_b32 v2, s4 :: v_dual_mov_b32 v3, s5
	v_dual_mov_b32 v10, s18 :: v_dual_mov_b32 v11, s19
	s_bitcmp0_b32 s2, 0
	s_mov_b32 s2, 0
	s_cbranch_scc1 .LBB55_2
; %bb.1:
	v_dual_mov_b32 v1, s4 :: v_dual_mov_b32 v2, s5
	v_dual_mov_b32 v4, s18 :: v_dual_mov_b32 v5, s19
	s_load_b64 s[4:5], s[0:1], 0x18
	flat_load_b64 v[2:3], v[1:2]
	flat_load_b64 v[10:11], v[4:5]
	s_waitcnt vmcnt(1) lgkmcnt(0)
	v_add_co_u32 v2, vcc_lo, v2, s4
	v_add_co_ci_u32_e32 v3, vcc_lo, s5, v3, vcc_lo
.LBB55_2:
	s_clause 0x1
	s_load_b32 s3, s[0:1], 0x154
	s_load_b32 s4, s[0:1], 0x148
	s_waitcnt lgkmcnt(0)
	s_and_b32 s5, s3, 0xffff
	s_add_u32 s6, s16, -1
	s_mul_i32 s24, s4, s5
	s_addc_u32 s3, s17, -1
	s_lshl_b32 s25, s24, 1
	s_cmp_lg_u64 s[2:3], 0
	s_cbranch_scc0 .LBB55_49
; %bb.3:
	v_cvt_f32_ubyte0_e32 v1, 0
	v_cvt_f32_u32_e32 v4, s25
	s_sub_u32 s8, 0, s25
	s_subb_u32 s9, 0, 0
	s_delay_alu instid0(VALU_DEP_1) | instskip(NEXT) | instid1(VALU_DEP_1)
	v_fmamk_f32 v1, v1, 0x4f800000, v4
	v_rcp_f32_e32 v1, v1
	s_waitcnt_depctr 0xfff
	v_mul_f32_e32 v1, 0x5f7ffffc, v1
	s_delay_alu instid0(VALU_DEP_1) | instskip(NEXT) | instid1(VALU_DEP_1)
	v_mul_f32_e32 v4, 0x2f800000, v1
	v_trunc_f32_e32 v4, v4
	s_delay_alu instid0(VALU_DEP_1) | instskip(SKIP_1) | instid1(VALU_DEP_2)
	v_fmamk_f32 v1, v4, 0xcf800000, v1
	v_cvt_u32_f32_e32 v4, v4
	v_cvt_u32_f32_e32 v1, v1
	s_delay_alu instid0(VALU_DEP_2) | instskip(NEXT) | instid1(VALU_DEP_2)
	v_readfirstlane_b32 s2, v4
	v_readfirstlane_b32 s7, v1
	s_delay_alu instid0(VALU_DEP_2) | instskip(NEXT) | instid1(VALU_DEP_1)
	s_mul_i32 s10, s8, s2
	s_mul_hi_u32 s12, s8, s7
	s_mul_i32 s11, s9, s7
	s_add_i32 s10, s12, s10
	s_mul_i32 s13, s8, s7
	s_add_i32 s10, s10, s11
	s_mul_hi_u32 s12, s7, s13
	s_mul_hi_u32 s14, s2, s13
	s_mul_i32 s11, s2, s13
	s_mul_hi_u32 s13, s7, s10
	s_mul_i32 s7, s7, s10
	s_mul_hi_u32 s18, s2, s10
	s_add_u32 s7, s12, s7
	s_addc_u32 s12, 0, s13
	s_add_u32 s7, s7, s11
	s_mul_i32 s10, s2, s10
	s_addc_u32 s7, s12, s14
	s_addc_u32 s11, s18, 0
	s_add_u32 s7, s7, s10
	s_addc_u32 s10, 0, s11
	v_add_co_u32 v1, s7, v1, s7
	s_delay_alu instid0(VALU_DEP_1) | instskip(SKIP_1) | instid1(VALU_DEP_1)
	s_cmp_lg_u32 s7, 0
	s_addc_u32 s2, s2, s10
	v_readfirstlane_b32 s7, v1
	s_mul_i32 s10, s8, s2
	s_delay_alu instid0(VALU_DEP_1)
	s_mul_hi_u32 s11, s8, s7
	s_mul_i32 s9, s9, s7
	s_add_i32 s10, s11, s10
	s_mul_i32 s8, s8, s7
	s_add_i32 s10, s10, s9
	s_mul_hi_u32 s11, s2, s8
	s_mul_i32 s12, s2, s8
	s_mul_hi_u32 s8, s7, s8
	s_mul_hi_u32 s13, s7, s10
	s_mul_i32 s7, s7, s10
	s_mul_hi_u32 s9, s2, s10
	s_add_u32 s7, s8, s7
	s_addc_u32 s8, 0, s13
	s_add_u32 s7, s7, s12
	s_mul_i32 s10, s2, s10
	s_addc_u32 s7, s8, s11
	s_addc_u32 s8, s9, 0
	s_add_u32 s7, s7, s10
	s_addc_u32 s8, 0, s8
	v_add_co_u32 v1, s7, v1, s7
	s_delay_alu instid0(VALU_DEP_1) | instskip(SKIP_2) | instid1(VALU_DEP_1)
	s_cmp_lg_u32 s7, 0
	s_addc_u32 s7, s2, s8
	s_ashr_i32 s8, s3, 31
	v_readfirstlane_b32 s10, v1
	s_add_u32 s2, s6, s8
	s_mov_b32 s9, s8
	s_addc_u32 s3, s3, s8
	s_delay_alu instid0(SALU_CYCLE_1) | instskip(NEXT) | instid1(SALU_CYCLE_1)
	s_xor_b64 s[2:3], s[2:3], s[8:9]
	s_mul_i32 s12, s2, s7
	s_mul_hi_u32 s13, s2, s10
	s_mul_hi_u32 s11, s2, s7
	;; [unrolled: 1-line block ×3, first 2 shown]
	s_mul_i32 s10, s3, s10
	s_add_u32 s12, s13, s12
	s_addc_u32 s11, 0, s11
	s_mul_hi_u32 s14, s3, s7
	s_add_u32 s10, s12, s10
	s_mul_i32 s7, s3, s7
	s_addc_u32 s10, s11, s18
	s_addc_u32 s11, s14, 0
	s_add_u32 s7, s10, s7
	s_addc_u32 s10, 0, s11
	s_mul_i32 s12, s25, s7
	s_add_u32 s11, s7, 1
	v_sub_co_u32 v1, s2, s2, s12
	s_mul_hi_u32 s12, s25, s7
	s_addc_u32 s13, s10, 0
	s_mul_i32 s14, s25, s10
	s_delay_alu instid0(VALU_DEP_1)
	v_sub_co_u32 v4, s18, v1, s25
	s_add_u32 s19, s7, 2
	s_addc_u32 s20, s10, 0
	s_add_i32 s12, s12, s14
	s_cmp_lg_u32 s2, 0
	v_readfirstlane_b32 s2, v4
	s_subb_u32 s3, s3, s12
	s_cmp_lg_u32 s18, 0
	s_subb_u32 s12, s3, 0
	s_delay_alu instid0(VALU_DEP_1) | instskip(SKIP_4) | instid1(SALU_CYCLE_1)
	s_cmp_ge_u32 s2, s25
	s_cselect_b32 s2, -1, 0
	s_cmp_eq_u32 s12, 0
	v_readfirstlane_b32 s12, v1
	s_cselect_b32 s2, s2, -1
	s_cmp_lg_u32 s2, 0
	s_cselect_b32 s2, s19, s11
	s_cselect_b32 s11, s20, s13
	s_cmp_ge_u32 s12, s25
	s_cselect_b32 s12, -1, 0
	s_cmp_eq_u32 s3, 0
	s_cselect_b32 s3, s12, -1
	s_delay_alu instid0(SALU_CYCLE_1) | instskip(SKIP_2) | instid1(SALU_CYCLE_1)
	s_cmp_lg_u32 s3, 0
	s_cselect_b32 s3, s11, s10
	s_cselect_b32 s2, s2, s7
	s_xor_b64 s[2:3], s[2:3], s[8:9]
	s_delay_alu instid0(SALU_CYCLE_1)
	s_sub_u32 s2, s2, s8
	s_subb_u32 s3, s3, s8
	s_cbranch_execnz .LBB55_5
.LBB55_4:
	v_cvt_f32_u32_e32 v1, s25
	s_sub_i32 s3, 0, s25
	s_delay_alu instid0(VALU_DEP_1) | instskip(SKIP_2) | instid1(VALU_DEP_1)
	v_rcp_iflag_f32_e32 v1, v1
	s_waitcnt_depctr 0xfff
	v_mul_f32_e32 v1, 0x4f7ffffe, v1
	v_cvt_u32_f32_e32 v1, v1
	s_delay_alu instid0(VALU_DEP_1) | instskip(NEXT) | instid1(VALU_DEP_1)
	v_readfirstlane_b32 s2, v1
	s_mul_i32 s3, s3, s2
	s_delay_alu instid0(SALU_CYCLE_1) | instskip(NEXT) | instid1(SALU_CYCLE_1)
	s_mul_hi_u32 s3, s2, s3
	s_add_i32 s2, s2, s3
	s_delay_alu instid0(SALU_CYCLE_1) | instskip(NEXT) | instid1(SALU_CYCLE_1)
	s_mul_hi_u32 s2, s6, s2
	s_mul_i32 s3, s2, s25
	s_delay_alu instid0(SALU_CYCLE_1)
	s_sub_i32 s3, s6, s3
	s_add_i32 s6, s2, 1
	s_sub_i32 s7, s3, s25
	s_cmp_ge_u32 s3, s25
	s_cselect_b32 s2, s6, s2
	s_cselect_b32 s3, s7, s3
	s_add_i32 s6, s2, 1
	s_cmp_ge_u32 s3, s25
	s_mov_b32 s3, 0
	s_cselect_b32 s2, s6, s2
.LBB55_5:
	v_mov_b32_e32 v1, 0
	s_add_u32 s2, s2, 1
	s_addc_u32 s3, s3, 0
	s_mul_hi_u32 s6, s24, s2
	s_mul_i32 s3, s24, s3
	v_mad_u64_u32 v[12:13], null, s5, s15, v[0:1]
	s_mul_hi_u32 s4, s4, s5
	s_add_i32 s3, s6, s3
	s_mul_i32 s4, s4, s2
	s_mul_i32 s2, s24, s2
	s_add_i32 s3, s3, s4
	s_mov_b32 s4, exec_lo
	s_lshl_b64 s[2:3], s[2:3], 1
	s_delay_alu instid0(SALU_CYCLE_1)
	v_cmpx_gt_i64_e64 s[2:3], v[12:13]
	s_cbranch_execz .LBB55_48
; %bb.6:
	v_alignbit_b32 v16, v3, v2, 2
	v_mad_u64_u32 v[0:1], null, 0xcd9e8d57, v12, 0
	v_lshrrev_b32_e32 v17, 2, v3
	s_waitcnt vmcnt(0)
	v_dual_mov_b32 v9, v11 :: v_dual_and_b32 v26, 3, v2
	v_mad_u64_u32 v[3:4], null, 0xd2511f53, v16, 0
	v_add_co_u32 v19, null, 0x9e3779b9, v10
	v_xor3_b32 v1, v10, v1, v17
	s_delay_alu instid0(VALU_DEP_4) | instskip(SKIP_2) | instid1(VALU_DEP_4)
	v_add_co_u32 v18, null, 0xbb67ae85, v9
	v_add_co_u32 v20, null, 0x3c6ef372, v10
	v_xor_b32_e32 v6, v4, v11
	v_mad_u64_u32 v[4:5], null, 0xd2511f53, v1, 0
	v_add_co_u32 v21, null, 0x76cf5d0a, v9
	s_delay_alu instid0(VALU_DEP_3) | instskip(SKIP_3) | instid1(VALU_DEP_4)
	v_xor_b32_e32 v1, v6, v13
	v_add_co_u32 v22, null, 0x32370b8f, v9
	v_add_co_u32 v23, null, 0xdaa66d2b, v10
	v_xor3_b32 v3, v18, v5, v3
	v_mad_u64_u32 v[5:6], null, 0xcd9e8d57, v1, 0
	v_add_co_u32 v24, null, 0x78dde6e4, v10
	s_delay_alu instid0(VALU_DEP_3) | instskip(SKIP_1) | instid1(VALU_DEP_4)
	v_mad_u64_u32 v[7:8], null, 0xcd9e8d57, v3, 0
	v_add_co_u32 v25, null, 0xed9eba14, v9
	v_xor3_b32 v3, v19, v6, v0
	v_add_co_u32 v27, null, 0xa9066899, v9
	v_add_co_u32 v29, null, 0x1715609d, v10
	v_xor3_b32 v8, v20, v8, v5
	s_delay_alu instid0(VALU_DEP_4) | instskip(SKIP_1) | instid1(VALU_DEP_3)
	v_mad_u64_u32 v[0:1], null, 0xd2511f53, v3, 0
	v_add_co_u32 v30, null, 0xb54cda56, v10
	v_mad_u64_u32 v[5:6], null, 0xd2511f53, v8, 0
	v_add_co_u32 v32, null, 0x646e171e, v9
	s_delay_alu instid0(VALU_DEP_4) | instskip(SKIP_2) | instid1(VALU_DEP_4)
	v_xor3_b32 v3, v21, v1, v4
	s_load_b256 s[4:11], s[0:1], 0x30
	v_add_co_u32 v33, null, 0x1fd5c5a3, v9
	v_xor3_b32 v6, v22, v6, v0
	s_delay_alu instid0(VALU_DEP_3) | instskip(SKIP_1) | instid1(VALU_DEP_3)
	v_mad_u64_u32 v[0:1], null, 0xcd9e8d57, v3, 0
	v_add_co_u32 v28, null, 0x5384540f, v10
	v_mad_u64_u32 v[3:4], null, 0xcd9e8d57, v6, 0
	v_add_co_u32 v31, null, 0xf1bbcdc8, v10
	s_delay_alu instid0(VALU_DEP_4)
	v_xor3_b32 v6, v23, v1, v7
	s_add_u32 s12, s0, 48
	s_addc_u32 s13, s1, 0
	s_clause 0x1
	s_load_b64 s[14:15], s[0:1], 0xf4
	s_load_b64 s[18:19], s[0:1], 0x138
	v_xor3_b32 v4, v24, v4, v0
	v_mad_u64_u32 v[0:1], null, 0xd2511f53, v6, 0
	v_add_co_u32 v34, null, 0xdb3d7428, v9
	s_delay_alu instid0(VALU_DEP_3) | instskip(SKIP_3) | instid1(VALU_DEP_4)
	v_mad_u64_u32 v[6:7], null, 0xd2511f53, v4, 0
	s_waitcnt lgkmcnt(0)
	s_add_i32 s20, s4, -1
	v_dual_mov_b32 v37, v12 :: v_dual_add_nc_u32 v36, 0x96a522ad, v11
	v_xor3_b32 v2, v25, v1, v5
	s_cmp_gt_u32 s20, 1
	v_dual_mov_b32 v38, v13 :: v_dual_add_nc_u32 v35, 0x8ff34781, v10
	s_delay_alu instid0(VALU_DEP_4) | instskip(NEXT) | instid1(VALU_DEP_3)
	v_xor3_b32 v7, v27, v7, v0
	v_mad_u64_u32 v[0:1], null, 0xcd9e8d57, v2, 0
	s_cselect_b32 s11, -1, 0
	s_cmp_lg_u32 s4, 0
	s_delay_alu instid0(VALU_DEP_2) | instskip(SKIP_2) | instid1(VALU_DEP_2)
	v_mad_u64_u32 v[4:5], null, 0xcd9e8d57, v7, 0
	s_cselect_b32 s27, -1, 0
	s_add_u32 s0, s0, 0xf4
	v_xor3_b32 v2, v29, v1, v3
	s_addc_u32 s1, s1, 0
	s_min_u32 s21, s20, 15
	s_cmp_gt_u32 s4, 1
	s_delay_alu instid0(VALU_DEP_2) | instskip(SKIP_3) | instid1(VALU_DEP_2)
	v_xor3_b32 v5, v30, v5, v0
	v_mad_u64_u32 v[0:1], null, 0xd2511f53, v2, 0
	s_cselect_b32 s4, -1, 0
	s_add_i32 s21, s21, 1
	v_mad_u64_u32 v[2:3], null, 0xd2511f53, v5, 0
	s_and_b32 s28, s21, 3
	s_cmp_lg_u32 s20, 2
	s_delay_alu instid0(VALU_DEP_2) | instskip(SKIP_3) | instid1(VALU_DEP_2)
	v_xor3_b32 v5, v32, v1, v6
	s_cselect_b32 s29, -1, 0
	s_and_b32 s30, s21, 28
	s_cmp_lg_u32 s28, 0
	v_xor3_b32 v3, v33, v3, v0
	v_mad_u64_u32 v[0:1], null, 0xcd9e8d57, v5, 0
	s_mov_b32 s26, 0
	s_cselect_b32 s31, -1, 0
	s_delay_alu instid0(VALU_DEP_2) | instskip(NEXT) | instid1(VALU_DEP_2)
	v_mad_u64_u32 v[5:6], null, 0xcd9e8d57, v3, 0
	v_xor3_b32 v3, v28, v1, v4
	s_delay_alu instid0(VALU_DEP_2) | instskip(NEXT) | instid1(VALU_DEP_2)
	v_xor3_b32 v5, v31, v6, v0
	v_mad_u64_u32 v[0:1], null, 0xd2511f53, v3, 0
	s_delay_alu instid0(VALU_DEP_2) | instskip(NEXT) | instid1(VALU_DEP_2)
	v_mad_u64_u32 v[3:4], null, 0xd2511f53, v5, 0
	v_xor3_b32 v5, v34, v1, v2
	s_delay_alu instid0(VALU_DEP_1) | instskip(NEXT) | instid1(VALU_DEP_3)
	v_mad_u64_u32 v[1:2], null, 0xcd9e8d57, v5, 0
	v_xor3_b32 v2, v4, v0, v36
	s_branch .LBB55_9
.LBB55_7:                               ;   in Loop: Header=BB55_9 Depth=1
	global_store_b8 v1, v3, s[18:19]
.LBB55_8:                               ;   in Loop: Header=BB55_9 Depth=1
	s_or_b32 exec_lo, exec_lo, s33
	v_add_co_u32 v12, vcc_lo, v12, s25
	v_add_co_ci_u32_e32 v13, vcc_lo, 0, v13, vcc_lo
	v_mov_b32_e32 v6, v14
	v_mov_b32_e32 v0, v3
	v_dual_mov_b32 v1, v4 :: v_dual_mov_b32 v2, v5
	s_delay_alu instid0(VALU_DEP_4) | instskip(NEXT) | instid1(VALU_DEP_4)
	v_cmp_le_i64_e32 vcc_lo, s[2:3], v[12:13]
	v_mov_b32_e32 v3, v6
	s_waitcnt_vscnt null, 0x0
	s_barrier
	buffer_gl0_inv
	s_or_b32 s26, vcc_lo, s26
	s_delay_alu instid0(SALU_CYCLE_1)
	s_and_not1_b32 exec_lo, exec_lo, s26
	s_cbranch_execz .LBB55_48
.LBB55_9:                               ; =>This Loop Header: Depth=1
                                        ;     Child Loop BB55_24 Depth 2
                                        ;     Child Loop BB55_29 Depth 2
	;; [unrolled: 1-line block ×4, first 2 shown]
	v_add_co_u32 v16, vcc_lo, v16, 1
	s_delay_alu instid0(VALU_DEP_1) | instskip(SKIP_1) | instid1(VALU_DEP_3)
	v_cndmask_b32_e64 v0, 0, 1, vcc_lo
	v_add_co_ci_u32_e32 v17, vcc_lo, 0, v17, vcc_lo
	v_mad_u64_u32 v[4:5], null, 0xd2511f53, v16, 0
	s_mov_b32 s20, exec_lo
	s_delay_alu instid0(VALU_DEP_2) | instskip(SKIP_1) | instid1(VALU_DEP_1)
	v_cmp_eq_u32_e32 vcc_lo, 0, v17
	v_cndmask_b32_e32 v0, 0, v0, vcc_lo
	v_add_nc_u32_e32 v37, v0, v37
	s_delay_alu instid0(VALU_DEP_1) | instskip(SKIP_2) | instid1(VALU_DEP_2)
	v_cmp_eq_u32_e32 vcc_lo, 0, v37
	v_cndmask_b32_e32 v0, 0, v0, vcc_lo
	v_mad_u64_u32 v[6:7], null, 0xcd9e8d57, v37, 0
	v_add_nc_u32_e32 v38, v0, v38
	v_xor_b32_e32 v0, v5, v11
	s_delay_alu instid0(VALU_DEP_3) | instskip(NEXT) | instid1(VALU_DEP_2)
	v_xor3_b32 v5, v7, v10, v17
	v_xor_b32_e32 v0, v38, v0
	s_delay_alu instid0(VALU_DEP_2) | instskip(NEXT) | instid1(VALU_DEP_2)
	v_mad_u64_u32 v[7:8], null, 0xd2511f53, v5, 0
	v_mad_u64_u32 v[14:15], null, 0xcd9e8d57, v0, 0
	s_delay_alu instid0(VALU_DEP_2) | instskip(NEXT) | instid1(VALU_DEP_2)
	v_xor3_b32 v0, v18, v8, v4
	v_xor3_b32 v6, v19, v15, v6
	s_delay_alu instid0(VALU_DEP_2) | instskip(NEXT) | instid1(VALU_DEP_2)
	v_mad_u64_u32 v[4:5], null, 0xcd9e8d57, v0, 0
	v_mad_u64_u32 v[8:9], null, 0xd2511f53, v6, 0
	s_delay_alu instid0(VALU_DEP_2) | instskip(NEXT) | instid1(VALU_DEP_2)
	v_xor3_b32 v0, v20, v5, v14
	v_xor3_b32 v7, v21, v9, v7
	;; [unrolled: 6-line block ×9, first 2 shown]
	s_delay_alu instid0(VALU_DEP_2)
	v_mov_b32_e32 v5, v8
	v_cmpx_lt_i32_e32 1, v26
	s_xor_b32 s20, exec_lo, s20
	s_cbranch_execnz .LBB55_12
; %bb.10:                               ;   in Loop: Header=BB55_9 Depth=1
	s_and_not1_saveexec_b32 s20, s20
	s_cbranch_execnz .LBB55_17
.LBB55_11:                              ;   in Loop: Header=BB55_9 Depth=1
	s_or_b32 exec_lo, exec_lo, s20
	s_delay_alu instid0(SALU_CYCLE_1)
	s_mov_b32 s33, exec_lo
	v_cmpx_gt_i64_e64 s[16:17], v[12:13]
	s_cbranch_execnz .LBB55_20
	s_branch .LBB55_34
.LBB55_12:                              ;   in Loop: Header=BB55_9 Depth=1
	s_mov_b32 s21, exec_lo
	v_cmpx_lt_i32_e32 2, v26
	s_xor_b32 s21, exec_lo, s21
; %bb.13:                               ;   in Loop: Header=BB55_9 Depth=1
	v_dual_mov_b32 v0, v5 :: v_dual_mov_b32 v1, v6
	v_dual_mov_b32 v2, v7 :: v_dual_mov_b32 v3, v8
; %bb.14:                               ;   in Loop: Header=BB55_9 Depth=1
	s_and_not1_saveexec_b32 s21, s21
; %bb.15:                               ;   in Loop: Header=BB55_9 Depth=1
	s_delay_alu instid0(VALU_DEP_1)
	v_mov_b32_e32 v1, v3
	v_mov_b32_e32 v3, v4
; %bb.16:                               ;   in Loop: Header=BB55_9 Depth=1
	s_or_b32 exec_lo, exec_lo, s21
                                        ; implicit-def: $vgpr6_vgpr7_vgpr8_vgpr9
	s_and_not1_saveexec_b32 s20, s20
	s_cbranch_execz .LBB55_11
.LBB55_17:                              ;   in Loop: Header=BB55_9 Depth=1
	s_mov_b32 s21, exec_lo
	v_cmpx_eq_u32_e32 1, v26
; %bb.18:                               ;   in Loop: Header=BB55_9 Depth=1
	v_mov_b32_e32 v1, v2
	v_mov_b32_e32 v3, v6
; %bb.19:                               ;   in Loop: Header=BB55_9 Depth=1
	s_or_b32 exec_lo, exec_lo, s21
	s_delay_alu instid0(SALU_CYCLE_1) | instskip(NEXT) | instid1(SALU_CYCLE_1)
	s_or_b32 exec_lo, exec_lo, s20
	s_mov_b32 s33, exec_lo
	v_cmpx_gt_i64_e64 s[16:17], v[12:13]
	s_cbranch_execz .LBB55_34
.LBB55_20:                              ;   in Loop: Header=BB55_9 Depth=1
	s_and_not1_b32 vcc_lo, exec_lo, s11
	s_cbranch_vccnz .LBB55_26
; %bb.21:                               ;   in Loop: Header=BB55_9 Depth=1
	v_mov_b32_e32 v0, 0
	s_and_not1_b32 vcc_lo, exec_lo, s27
	s_cbranch_vccnz .LBB55_30
; %bb.22:                               ;   in Loop: Header=BB55_9 Depth=1
	s_and_not1_b32 vcc_lo, exec_lo, s29
	s_mov_b32 s20, 0
	s_cbranch_vccnz .LBB55_27
; %bb.23:                               ;   in Loop: Header=BB55_9 Depth=1
	v_mov_b32_e32 v0, 0
	v_mov_b32_e32 v2, v12
	s_mov_b32 s34, 0
	s_mov_b64 s[20:21], s[12:13]
	s_mov_b64 s[22:23], s[0:1]
.LBB55_24:                              ;   Parent Loop BB55_9 Depth=1
                                        ; =>  This Inner Loop Header: Depth=2
	s_clause 0x1
	s_load_b256 s[36:43], s[20:21], 0x4
	s_load_b128 s[44:47], s[20:21], 0x24
	s_load_b128 s[48:51], s[22:23], 0x0
	s_add_u32 s20, s20, 48
	s_addc_u32 s21, s21, 0
	s_add_i32 s34, s34, 4
	s_add_u32 s22, s22, 16
	s_addc_u32 s23, s23, 0
	s_cmp_lg_u32 s30, s34
	s_waitcnt lgkmcnt(0)
	v_mul_hi_u32 v6, s37, v2
	s_delay_alu instid0(VALU_DEP_1) | instskip(NEXT) | instid1(VALU_DEP_1)
	v_add_nc_u32_e32 v6, v2, v6
	v_lshrrev_b32_e32 v6, s38, v6
	s_delay_alu instid0(VALU_DEP_1) | instskip(SKIP_1) | instid1(VALU_DEP_2)
	v_mul_hi_u32 v7, s40, v6
	v_mul_lo_u32 v15, v6, s36
	v_add_nc_u32_e32 v7, v6, v7
	s_delay_alu instid0(VALU_DEP_2) | instskip(NEXT) | instid1(VALU_DEP_2)
	v_sub_nc_u32_e32 v15, v2, v15
	v_lshrrev_b32_e32 v7, s41, v7
	s_delay_alu instid0(VALU_DEP_2) | instskip(NEXT) | instid1(VALU_DEP_2)
	v_mul_lo_u32 v15, v15, s48
	v_mul_hi_u32 v8, s43, v7
	v_mul_lo_u32 v39, v7, s39
	s_delay_alu instid0(VALU_DEP_2) | instskip(NEXT) | instid1(VALU_DEP_2)
	v_add_nc_u32_e32 v8, v7, v8
	v_sub_nc_u32_e32 v6, v6, v39
	s_delay_alu instid0(VALU_DEP_2) | instskip(NEXT) | instid1(VALU_DEP_2)
	v_lshrrev_b32_e32 v8, s44, v8
	v_mul_lo_u32 v6, v6, s49
	s_delay_alu instid0(VALU_DEP_2) | instskip(NEXT) | instid1(VALU_DEP_2)
	v_mul_hi_u32 v9, s46, v8
	v_add3_u32 v0, v15, v0, v6
	s_delay_alu instid0(VALU_DEP_2) | instskip(NEXT) | instid1(VALU_DEP_1)
	v_add_nc_u32_e32 v9, v8, v9
	v_lshrrev_b32_e32 v2, s47, v9
	v_mul_lo_u32 v9, v8, s42
	s_delay_alu instid0(VALU_DEP_2) | instskip(NEXT) | instid1(VALU_DEP_2)
	v_mul_lo_u32 v40, v2, s45
	v_sub_nc_u32_e32 v7, v7, v9
	s_delay_alu instid0(VALU_DEP_2) | instskip(NEXT) | instid1(VALU_DEP_2)
	v_sub_nc_u32_e32 v8, v8, v40
	v_mul_lo_u32 v7, v7, s50
	s_delay_alu instid0(VALU_DEP_2) | instskip(NEXT) | instid1(VALU_DEP_1)
	v_mul_lo_u32 v8, v8, s51
	v_add3_u32 v0, v7, v0, v8
	s_cbranch_scc1 .LBB55_24
; %bb.25:                               ;   in Loop: Header=BB55_9 Depth=1
	s_mov_b32 s20, s30
	s_and_not1_b32 vcc_lo, exec_lo, s31
	s_cbranch_vccz .LBB55_28
	s_branch .LBB55_30
.LBB55_26:                              ;   in Loop: Header=BB55_9 Depth=1
                                        ; implicit-def: $vgpr0
	s_branch .LBB55_31
.LBB55_27:                              ;   in Loop: Header=BB55_9 Depth=1
	v_mov_b32_e32 v2, v12
	s_and_not1_b32 vcc_lo, exec_lo, s31
	s_cbranch_vccnz .LBB55_30
.LBB55_28:                              ;   in Loop: Header=BB55_9 Depth=1
	s_lshl_b32 s21, s20, 2
	s_mul_i32 s22, s20, 12
	s_add_u32 s20, s0, s21
	s_addc_u32 s21, s1, 0
	s_add_u32 s22, s12, s22
	s_addc_u32 s23, s13, 0
	s_mov_b32 s34, s28
	.p2align	6
.LBB55_29:                              ;   Parent Loop BB55_9 Depth=1
                                        ; =>  This Inner Loop Header: Depth=2
	s_clause 0x1
	s_load_b64 s[36:37], s[22:23], 0x4
	s_load_b32 s35, s[22:23], 0xc
	s_add_u32 s22, s22, 12
	s_addc_u32 s23, s23, 0
	s_waitcnt lgkmcnt(0)
	v_mul_hi_u32 v6, s37, v2
	s_load_b32 s37, s[20:21], 0x0
	s_add_u32 s20, s20, 4
	s_addc_u32 s21, s21, 0
	s_add_i32 s34, s34, -1
	s_delay_alu instid0(SALU_CYCLE_1) | instskip(NEXT) | instid1(VALU_DEP_1)
	s_cmp_lg_u32 s34, 0
	v_add_nc_u32_e32 v6, v2, v6
	s_delay_alu instid0(VALU_DEP_1) | instskip(NEXT) | instid1(VALU_DEP_1)
	v_lshrrev_b32_e32 v8, s35, v6
	v_mul_lo_u32 v6, v8, s36
	s_delay_alu instid0(VALU_DEP_1) | instskip(SKIP_1) | instid1(VALU_DEP_1)
	v_sub_nc_u32_e32 v2, v2, v6
	s_waitcnt lgkmcnt(0)
	v_mad_u64_u32 v[6:7], null, v2, s37, v[0:1]
	v_mov_b32_e32 v2, v8
	s_delay_alu instid0(VALU_DEP_2)
	v_mov_b32_e32 v0, v6
	s_cbranch_scc1 .LBB55_29
.LBB55_30:                              ;   in Loop: Header=BB55_9 Depth=1
	s_cbranch_execnz .LBB55_33
.LBB55_31:                              ;   in Loop: Header=BB55_9 Depth=1
	v_mul_hi_u32 v0, v12, s6
	s_and_not1_b32 vcc_lo, exec_lo, s4
	s_delay_alu instid0(VALU_DEP_1) | instskip(NEXT) | instid1(VALU_DEP_1)
	v_add_nc_u32_e32 v0, v0, v12
	v_lshrrev_b32_e32 v2, s7, v0
	s_delay_alu instid0(VALU_DEP_1) | instskip(NEXT) | instid1(VALU_DEP_1)
	v_mul_lo_u32 v0, v2, s5
	v_sub_nc_u32_e32 v0, v12, v0
	s_delay_alu instid0(VALU_DEP_1)
	v_mul_lo_u32 v0, v0, s14
	s_cbranch_vccnz .LBB55_33
; %bb.32:                               ;   in Loop: Header=BB55_9 Depth=1
	v_mul_hi_u32 v6, s9, v2
	s_delay_alu instid0(VALU_DEP_1) | instskip(NEXT) | instid1(VALU_DEP_1)
	v_add_nc_u32_e32 v6, v2, v6
	v_lshrrev_b32_e32 v6, s10, v6
	s_delay_alu instid0(VALU_DEP_1) | instskip(NEXT) | instid1(VALU_DEP_1)
	v_mul_lo_u32 v6, v6, s8
	v_sub_nc_u32_e32 v2, v2, v6
	s_delay_alu instid0(VALU_DEP_1) | instskip(NEXT) | instid1(VALU_DEP_1)
	v_mad_u64_u32 v[6:7], null, v2, s15, v[0:1]
	v_mov_b32_e32 v0, v6
.LBB55_33:                              ;   in Loop: Header=BB55_9 Depth=1
	global_store_b8 v0, v1, s[18:19]
.LBB55_34:                              ;   in Loop: Header=BB55_9 Depth=1
	s_or_b32 exec_lo, exec_lo, s33
	v_add_co_u32 v0, vcc_lo, v12, s24
	v_add_co_ci_u32_e32 v1, vcc_lo, 0, v13, vcc_lo
	s_mov_b32 s33, exec_lo
	s_delay_alu instid0(VALU_DEP_1)
	v_cmpx_gt_i64_e64 s[16:17], v[0:1]
	s_cbranch_execz .LBB55_8
; %bb.35:                               ;   in Loop: Header=BB55_9 Depth=1
	s_and_not1_b32 vcc_lo, exec_lo, s11
	s_cbranch_vccnz .LBB55_41
; %bb.36:                               ;   in Loop: Header=BB55_9 Depth=1
	v_mov_b32_e32 v1, 0
	s_and_not1_b32 vcc_lo, exec_lo, s27
	s_cbranch_vccnz .LBB55_45
; %bb.37:                               ;   in Loop: Header=BB55_9 Depth=1
	s_and_not1_b32 vcc_lo, exec_lo, s29
	s_mov_b32 s20, 0
	s_cbranch_vccnz .LBB55_42
; %bb.38:                               ;   in Loop: Header=BB55_9 Depth=1
	v_dual_mov_b32 v1, 0 :: v_dual_mov_b32 v2, v0
	s_mov_b32 s34, 0
	s_mov_b64 s[20:21], s[12:13]
	s_mov_b64 s[22:23], s[0:1]
.LBB55_39:                              ;   Parent Loop BB55_9 Depth=1
                                        ; =>  This Inner Loop Header: Depth=2
	s_clause 0x1
	s_load_b256 s[36:43], s[20:21], 0x4
	s_load_b128 s[44:47], s[20:21], 0x24
	s_load_b128 s[48:51], s[22:23], 0x0
	s_add_u32 s20, s20, 48
	s_addc_u32 s21, s21, 0
	s_add_i32 s34, s34, 4
	s_add_u32 s22, s22, 16
	s_addc_u32 s23, s23, 0
	s_cmp_eq_u32 s30, s34
	s_waitcnt lgkmcnt(0)
	v_mul_hi_u32 v6, s37, v2
	s_delay_alu instid0(VALU_DEP_1) | instskip(NEXT) | instid1(VALU_DEP_1)
	v_add_nc_u32_e32 v6, v2, v6
	v_lshrrev_b32_e32 v6, s38, v6
	s_delay_alu instid0(VALU_DEP_1) | instskip(SKIP_1) | instid1(VALU_DEP_2)
	v_mul_hi_u32 v7, s40, v6
	v_mul_lo_u32 v15, v6, s36
	v_add_nc_u32_e32 v7, v6, v7
	s_delay_alu instid0(VALU_DEP_2) | instskip(NEXT) | instid1(VALU_DEP_2)
	v_sub_nc_u32_e32 v15, v2, v15
	v_lshrrev_b32_e32 v7, s41, v7
	s_delay_alu instid0(VALU_DEP_2) | instskip(NEXT) | instid1(VALU_DEP_2)
	v_mul_lo_u32 v15, v15, s48
	v_mul_hi_u32 v8, s43, v7
	v_mul_lo_u32 v39, v7, s39
	s_delay_alu instid0(VALU_DEP_2) | instskip(NEXT) | instid1(VALU_DEP_2)
	v_add_nc_u32_e32 v8, v7, v8
	v_sub_nc_u32_e32 v6, v6, v39
	s_delay_alu instid0(VALU_DEP_2) | instskip(NEXT) | instid1(VALU_DEP_2)
	v_lshrrev_b32_e32 v8, s44, v8
	v_mul_lo_u32 v6, v6, s49
	s_delay_alu instid0(VALU_DEP_2) | instskip(NEXT) | instid1(VALU_DEP_2)
	v_mul_hi_u32 v9, s46, v8
	v_add3_u32 v1, v15, v1, v6
	s_delay_alu instid0(VALU_DEP_2) | instskip(NEXT) | instid1(VALU_DEP_1)
	v_add_nc_u32_e32 v9, v8, v9
	v_lshrrev_b32_e32 v2, s47, v9
	v_mul_lo_u32 v9, v8, s42
	s_delay_alu instid0(VALU_DEP_2) | instskip(NEXT) | instid1(VALU_DEP_2)
	v_mul_lo_u32 v40, v2, s45
	v_sub_nc_u32_e32 v7, v7, v9
	s_delay_alu instid0(VALU_DEP_2) | instskip(NEXT) | instid1(VALU_DEP_2)
	v_sub_nc_u32_e32 v8, v8, v40
	v_mul_lo_u32 v7, v7, s50
	s_delay_alu instid0(VALU_DEP_2) | instskip(NEXT) | instid1(VALU_DEP_1)
	v_mul_lo_u32 v8, v8, s51
	v_add3_u32 v1, v7, v1, v8
	s_cbranch_scc0 .LBB55_39
; %bb.40:                               ;   in Loop: Header=BB55_9 Depth=1
	s_mov_b32 s20, s30
	s_and_not1_b32 vcc_lo, exec_lo, s31
	s_cbranch_vccz .LBB55_43
	s_branch .LBB55_45
.LBB55_41:                              ;   in Loop: Header=BB55_9 Depth=1
                                        ; implicit-def: $vgpr1
	s_branch .LBB55_46
.LBB55_42:                              ;   in Loop: Header=BB55_9 Depth=1
	v_mov_b32_e32 v2, v0
	s_and_not1_b32 vcc_lo, exec_lo, s31
	s_cbranch_vccnz .LBB55_45
.LBB55_43:                              ;   in Loop: Header=BB55_9 Depth=1
	s_lshl_b32 s21, s20, 2
	s_mul_i32 s22, s20, 12
	s_add_u32 s20, s0, s21
	s_addc_u32 s21, s1, 0
	s_add_u32 s22, s12, s22
	s_addc_u32 s23, s13, 0
	s_mov_b32 s34, s28
	.p2align	6
.LBB55_44:                              ;   Parent Loop BB55_9 Depth=1
                                        ; =>  This Inner Loop Header: Depth=2
	s_clause 0x1
	s_load_b64 s[36:37], s[22:23], 0x4
	s_load_b32 s35, s[22:23], 0xc
	s_add_u32 s22, s22, 12
	s_addc_u32 s23, s23, 0
	s_waitcnt lgkmcnt(0)
	v_mul_hi_u32 v6, s37, v2
	s_load_b32 s37, s[20:21], 0x0
	s_add_u32 s20, s20, 4
	s_addc_u32 s21, s21, 0
	s_add_i32 s34, s34, -1
	s_delay_alu instid0(SALU_CYCLE_1) | instskip(NEXT) | instid1(VALU_DEP_1)
	s_cmp_lg_u32 s34, 0
	v_add_nc_u32_e32 v6, v2, v6
	s_delay_alu instid0(VALU_DEP_1) | instskip(NEXT) | instid1(VALU_DEP_1)
	v_lshrrev_b32_e32 v8, s35, v6
	v_mul_lo_u32 v6, v8, s36
	s_delay_alu instid0(VALU_DEP_1) | instskip(SKIP_1) | instid1(VALU_DEP_1)
	v_sub_nc_u32_e32 v2, v2, v6
	s_waitcnt lgkmcnt(0)
	v_mad_u64_u32 v[6:7], null, v2, s37, v[1:2]
	s_delay_alu instid0(VALU_DEP_1)
	v_dual_mov_b32 v2, v8 :: v_dual_mov_b32 v1, v6
	s_cbranch_scc1 .LBB55_44
.LBB55_45:                              ;   in Loop: Header=BB55_9 Depth=1
	s_cbranch_execnz .LBB55_7
.LBB55_46:                              ;   in Loop: Header=BB55_9 Depth=1
	v_mul_hi_u32 v1, v0, s6
	s_and_not1_b32 vcc_lo, exec_lo, s4
	s_delay_alu instid0(VALU_DEP_1) | instskip(NEXT) | instid1(VALU_DEP_1)
	v_add_nc_u32_e32 v1, v1, v0
	v_lshrrev_b32_e32 v2, s7, v1
	s_delay_alu instid0(VALU_DEP_1) | instskip(NEXT) | instid1(VALU_DEP_1)
	v_mul_lo_u32 v1, v2, s5
	v_sub_nc_u32_e32 v0, v0, v1
	s_delay_alu instid0(VALU_DEP_1)
	v_mul_lo_u32 v1, v0, s14
	s_cbranch_vccnz .LBB55_7
; %bb.47:                               ;   in Loop: Header=BB55_9 Depth=1
	v_mul_hi_u32 v0, s9, v2
	s_delay_alu instid0(VALU_DEP_1) | instskip(NEXT) | instid1(VALU_DEP_1)
	v_add_nc_u32_e32 v0, v2, v0
	v_lshrrev_b32_e32 v0, s10, v0
	s_delay_alu instid0(VALU_DEP_1) | instskip(NEXT) | instid1(VALU_DEP_1)
	v_mul_lo_u32 v0, v0, s8
	v_sub_nc_u32_e32 v0, v2, v0
	s_delay_alu instid0(VALU_DEP_1) | instskip(NEXT) | instid1(VALU_DEP_1)
	v_mad_u64_u32 v[6:7], null, v0, s15, v[1:2]
	v_mov_b32_e32 v1, v6
	s_branch .LBB55_7
.LBB55_48:
	s_endpgm
.LBB55_49:
                                        ; implicit-def: $sgpr2_sgpr3
	s_branch .LBB55_4
	.section	.rodata,"a",@progbits
	.p2align	6, 0x0
	.amdhsa_kernel _ZN2at6native12_GLOBAL__N_143distribution_elementwise_grid_stride_kernelImLi2EZZZNS0_9templates4cuda32random_full_64_bits_range_kernelIPNS_17CUDAGeneratorImplEEEvRNS_18TensorIteratorBaseET_ENKUlvE_clEvENKUlvE0_clEvEUlP25hiprandStatePhilox4_32_10E_ZNS1_27distribution_nullary_kernelIam15HIP_vector_typeIyLj2EES7_SF_ZZZNS5_IS7_EEvS9_SA_ENKSB_clEvENKSC_clEvEUlmE_EEvS9_T2_RKT3_T4_EUlimE0_EEvlNS_15PhiloxCudaStateET1_SK_
		.amdhsa_group_segment_fixed_size 0
		.amdhsa_private_segment_fixed_size 0
		.amdhsa_kernarg_size 584
		.amdhsa_user_sgpr_count 15
		.amdhsa_user_sgpr_dispatch_ptr 0
		.amdhsa_user_sgpr_queue_ptr 0
		.amdhsa_user_sgpr_kernarg_segment_ptr 1
		.amdhsa_user_sgpr_dispatch_id 0
		.amdhsa_user_sgpr_private_segment_size 0
		.amdhsa_wavefront_size32 1
		.amdhsa_uses_dynamic_stack 0
		.amdhsa_enable_private_segment 0
		.amdhsa_system_sgpr_workgroup_id_x 1
		.amdhsa_system_sgpr_workgroup_id_y 0
		.amdhsa_system_sgpr_workgroup_id_z 0
		.amdhsa_system_sgpr_workgroup_info 0
		.amdhsa_system_vgpr_workitem_id 0
		.amdhsa_next_free_vgpr 41
		.amdhsa_next_free_sgpr 52
		.amdhsa_reserve_vcc 1
		.amdhsa_float_round_mode_32 0
		.amdhsa_float_round_mode_16_64 0
		.amdhsa_float_denorm_mode_32 3
		.amdhsa_float_denorm_mode_16_64 3
		.amdhsa_dx10_clamp 1
		.amdhsa_ieee_mode 1
		.amdhsa_fp16_overflow 0
		.amdhsa_workgroup_processor_mode 1
		.amdhsa_memory_ordered 1
		.amdhsa_forward_progress 0
		.amdhsa_shared_vgpr_count 0
		.amdhsa_exception_fp_ieee_invalid_op 0
		.amdhsa_exception_fp_denorm_src 0
		.amdhsa_exception_fp_ieee_div_zero 0
		.amdhsa_exception_fp_ieee_overflow 0
		.amdhsa_exception_fp_ieee_underflow 0
		.amdhsa_exception_fp_ieee_inexact 0
		.amdhsa_exception_int_div_zero 0
	.end_amdhsa_kernel
	.section	.text._ZN2at6native12_GLOBAL__N_143distribution_elementwise_grid_stride_kernelImLi2EZZZNS0_9templates4cuda32random_full_64_bits_range_kernelIPNS_17CUDAGeneratorImplEEEvRNS_18TensorIteratorBaseET_ENKUlvE_clEvENKUlvE0_clEvEUlP25hiprandStatePhilox4_32_10E_ZNS1_27distribution_nullary_kernelIam15HIP_vector_typeIyLj2EES7_SF_ZZZNS5_IS7_EEvS9_SA_ENKSB_clEvENKSC_clEvEUlmE_EEvS9_T2_RKT3_T4_EUlimE0_EEvlNS_15PhiloxCudaStateET1_SK_,"axG",@progbits,_ZN2at6native12_GLOBAL__N_143distribution_elementwise_grid_stride_kernelImLi2EZZZNS0_9templates4cuda32random_full_64_bits_range_kernelIPNS_17CUDAGeneratorImplEEEvRNS_18TensorIteratorBaseET_ENKUlvE_clEvENKUlvE0_clEvEUlP25hiprandStatePhilox4_32_10E_ZNS1_27distribution_nullary_kernelIam15HIP_vector_typeIyLj2EES7_SF_ZZZNS5_IS7_EEvS9_SA_ENKSB_clEvENKSC_clEvEUlmE_EEvS9_T2_RKT3_T4_EUlimE0_EEvlNS_15PhiloxCudaStateET1_SK_,comdat
.Lfunc_end55:
	.size	_ZN2at6native12_GLOBAL__N_143distribution_elementwise_grid_stride_kernelImLi2EZZZNS0_9templates4cuda32random_full_64_bits_range_kernelIPNS_17CUDAGeneratorImplEEEvRNS_18TensorIteratorBaseET_ENKUlvE_clEvENKUlvE0_clEvEUlP25hiprandStatePhilox4_32_10E_ZNS1_27distribution_nullary_kernelIam15HIP_vector_typeIyLj2EES7_SF_ZZZNS5_IS7_EEvS9_SA_ENKSB_clEvENKSC_clEvEUlmE_EEvS9_T2_RKT3_T4_EUlimE0_EEvlNS_15PhiloxCudaStateET1_SK_, .Lfunc_end55-_ZN2at6native12_GLOBAL__N_143distribution_elementwise_grid_stride_kernelImLi2EZZZNS0_9templates4cuda32random_full_64_bits_range_kernelIPNS_17CUDAGeneratorImplEEEvRNS_18TensorIteratorBaseET_ENKUlvE_clEvENKUlvE0_clEvEUlP25hiprandStatePhilox4_32_10E_ZNS1_27distribution_nullary_kernelIam15HIP_vector_typeIyLj2EES7_SF_ZZZNS5_IS7_EEvS9_SA_ENKSB_clEvENKSC_clEvEUlmE_EEvS9_T2_RKT3_T4_EUlimE0_EEvlNS_15PhiloxCudaStateET1_SK_
                                        ; -- End function
	.section	.AMDGPU.csdata,"",@progbits
; Kernel info:
; codeLenInByte = 3776
; NumSgprs: 54
; NumVgprs: 41
; ScratchSize: 0
; MemoryBound: 0
; FloatMode: 240
; IeeeMode: 1
; LDSByteSize: 0 bytes/workgroup (compile time only)
; SGPRBlocks: 6
; VGPRBlocks: 5
; NumSGPRsForWavesPerEU: 54
; NumVGPRsForWavesPerEU: 41
; Occupancy: 16
; WaveLimiterHint : 1
; COMPUTE_PGM_RSRC2:SCRATCH_EN: 0
; COMPUTE_PGM_RSRC2:USER_SGPR: 15
; COMPUTE_PGM_RSRC2:TRAP_HANDLER: 0
; COMPUTE_PGM_RSRC2:TGID_X_EN: 1
; COMPUTE_PGM_RSRC2:TGID_Y_EN: 0
; COMPUTE_PGM_RSRC2:TGID_Z_EN: 0
; COMPUTE_PGM_RSRC2:TIDIG_COMP_CNT: 0
	.section	.text._ZN2at6native12_GLOBAL__N_143distribution_elementwise_grid_stride_kernelImLi2EZZZNS0_9templates4cuda32random_full_64_bits_range_kernelIPNS_17CUDAGeneratorImplEEEvRNS_18TensorIteratorBaseET_ENKUlvE_clEvENKUlvE1_clEvEUlP25hiprandStatePhilox4_32_10E_ZNS1_27distribution_nullary_kernelIim15HIP_vector_typeIyLj2EES7_SF_ZZZNS5_IS7_EEvS9_SA_ENKSB_clEvENKSC_clEvEUlmE_EEvS9_T2_RKT3_T4_EUlimE_EEvlNS_15PhiloxCudaStateET1_SK_,"axG",@progbits,_ZN2at6native12_GLOBAL__N_143distribution_elementwise_grid_stride_kernelImLi2EZZZNS0_9templates4cuda32random_full_64_bits_range_kernelIPNS_17CUDAGeneratorImplEEEvRNS_18TensorIteratorBaseET_ENKUlvE_clEvENKUlvE1_clEvEUlP25hiprandStatePhilox4_32_10E_ZNS1_27distribution_nullary_kernelIim15HIP_vector_typeIyLj2EES7_SF_ZZZNS5_IS7_EEvS9_SA_ENKSB_clEvENKSC_clEvEUlmE_EEvS9_T2_RKT3_T4_EUlimE_EEvlNS_15PhiloxCudaStateET1_SK_,comdat
	.globl	_ZN2at6native12_GLOBAL__N_143distribution_elementwise_grid_stride_kernelImLi2EZZZNS0_9templates4cuda32random_full_64_bits_range_kernelIPNS_17CUDAGeneratorImplEEEvRNS_18TensorIteratorBaseET_ENKUlvE_clEvENKUlvE1_clEvEUlP25hiprandStatePhilox4_32_10E_ZNS1_27distribution_nullary_kernelIim15HIP_vector_typeIyLj2EES7_SF_ZZZNS5_IS7_EEvS9_SA_ENKSB_clEvENKSC_clEvEUlmE_EEvS9_T2_RKT3_T4_EUlimE_EEvlNS_15PhiloxCudaStateET1_SK_ ; -- Begin function _ZN2at6native12_GLOBAL__N_143distribution_elementwise_grid_stride_kernelImLi2EZZZNS0_9templates4cuda32random_full_64_bits_range_kernelIPNS_17CUDAGeneratorImplEEEvRNS_18TensorIteratorBaseET_ENKUlvE_clEvENKUlvE1_clEvEUlP25hiprandStatePhilox4_32_10E_ZNS1_27distribution_nullary_kernelIim15HIP_vector_typeIyLj2EES7_SF_ZZZNS5_IS7_EEvS9_SA_ENKSB_clEvENKSC_clEvEUlmE_EEvS9_T2_RKT3_T4_EUlimE_EEvlNS_15PhiloxCudaStateET1_SK_
	.p2align	8
	.type	_ZN2at6native12_GLOBAL__N_143distribution_elementwise_grid_stride_kernelImLi2EZZZNS0_9templates4cuda32random_full_64_bits_range_kernelIPNS_17CUDAGeneratorImplEEEvRNS_18TensorIteratorBaseET_ENKUlvE_clEvENKUlvE1_clEvEUlP25hiprandStatePhilox4_32_10E_ZNS1_27distribution_nullary_kernelIim15HIP_vector_typeIyLj2EES7_SF_ZZZNS5_IS7_EEvS9_SA_ENKSB_clEvENKSC_clEvEUlmE_EEvS9_T2_RKT3_T4_EUlimE_EEvlNS_15PhiloxCudaStateET1_SK_,@function
_ZN2at6native12_GLOBAL__N_143distribution_elementwise_grid_stride_kernelImLi2EZZZNS0_9templates4cuda32random_full_64_bits_range_kernelIPNS_17CUDAGeneratorImplEEEvRNS_18TensorIteratorBaseET_ENKUlvE_clEvENKUlvE1_clEvEUlP25hiprandStatePhilox4_32_10E_ZNS1_27distribution_nullary_kernelIim15HIP_vector_typeIyLj2EES7_SF_ZZZNS5_IS7_EEvS9_SA_ENKSB_clEvENKSC_clEvEUlmE_EEvS9_T2_RKT3_T4_EUlimE_EEvlNS_15PhiloxCudaStateET1_SK_: ; @_ZN2at6native12_GLOBAL__N_143distribution_elementwise_grid_stride_kernelImLi2EZZZNS0_9templates4cuda32random_full_64_bits_range_kernelIPNS_17CUDAGeneratorImplEEEvRNS_18TensorIteratorBaseET_ENKUlvE_clEvENKUlvE1_clEvEUlP25hiprandStatePhilox4_32_10E_ZNS1_27distribution_nullary_kernelIim15HIP_vector_typeIyLj2EES7_SF_ZZZNS5_IS7_EEvS9_SA_ENKSB_clEvENKSC_clEvEUlmE_EEvS9_T2_RKT3_T4_EUlimE_EEvlNS_15PhiloxCudaStateET1_SK_
; %bb.0:
	s_clause 0x2
	s_load_b64 s[8:9], s[0:1], 0x10
	s_load_b128 s[4:7], s[0:1], 0x0
	s_load_b32 s2, s[0:1], 0x20
	s_waitcnt lgkmcnt(0)
	v_dual_mov_b32 v2, s8 :: v_dual_mov_b32 v3, s9
	v_dual_mov_b32 v11, s7 :: v_dual_mov_b32 v10, s6
	s_bitcmp0_b32 s2, 0
	s_mov_b32 s2, 0
	s_cbranch_scc1 .LBB56_2
; %bb.1:
	v_dual_mov_b32 v1, s8 :: v_dual_mov_b32 v2, s9
	v_dual_mov_b32 v4, s6 :: v_dual_mov_b32 v5, s7
	s_load_b64 s[6:7], s[0:1], 0x18
	flat_load_b64 v[2:3], v[1:2]
	flat_load_b64 v[10:11], v[4:5]
	s_waitcnt vmcnt(1) lgkmcnt(0)
	v_add_co_u32 v2, vcc_lo, v2, s6
	v_add_co_ci_u32_e32 v3, vcc_lo, s7, v3, vcc_lo
.LBB56_2:
	s_clause 0x1
	s_load_b32 s3, s[0:1], 0x4c
	s_load_b32 s11, s[0:1], 0x40
	s_waitcnt lgkmcnt(0)
	s_and_b32 s10, s3, 0xffff
	s_add_u32 s6, s4, -1
	s_mul_i32 s8, s11, s10
	s_addc_u32 s3, s5, -1
	s_lshl_b32 s9, s8, 1
	s_cmp_lg_u64 s[2:3], 0
	s_cbranch_scc0 .LBB56_23
; %bb.3:
	v_cvt_f32_ubyte0_e32 v1, 0
	v_cvt_f32_u32_e32 v4, s9
	s_sub_u32 s12, 0, s9
	s_subb_u32 s13, 0, 0
	s_delay_alu instid0(VALU_DEP_1) | instskip(NEXT) | instid1(VALU_DEP_1)
	v_fmamk_f32 v1, v1, 0x4f800000, v4
	v_rcp_f32_e32 v1, v1
	s_waitcnt_depctr 0xfff
	v_mul_f32_e32 v1, 0x5f7ffffc, v1
	s_delay_alu instid0(VALU_DEP_1) | instskip(NEXT) | instid1(VALU_DEP_1)
	v_mul_f32_e32 v4, 0x2f800000, v1
	v_trunc_f32_e32 v4, v4
	s_delay_alu instid0(VALU_DEP_1) | instskip(SKIP_1) | instid1(VALU_DEP_2)
	v_fmamk_f32 v1, v4, 0xcf800000, v1
	v_cvt_u32_f32_e32 v4, v4
	v_cvt_u32_f32_e32 v1, v1
	s_delay_alu instid0(VALU_DEP_2) | instskip(NEXT) | instid1(VALU_DEP_2)
	v_readfirstlane_b32 s2, v4
	v_readfirstlane_b32 s7, v1
	s_delay_alu instid0(VALU_DEP_2) | instskip(NEXT) | instid1(VALU_DEP_1)
	s_mul_i32 s14, s12, s2
	s_mul_hi_u32 s17, s12, s7
	s_mul_i32 s16, s13, s7
	s_add_i32 s14, s17, s14
	s_mul_i32 s18, s12, s7
	s_add_i32 s14, s14, s16
	s_mul_hi_u32 s17, s7, s18
	s_mul_hi_u32 s19, s2, s18
	s_mul_i32 s16, s2, s18
	s_mul_hi_u32 s18, s7, s14
	s_mul_i32 s7, s7, s14
	s_mul_hi_u32 s20, s2, s14
	s_add_u32 s7, s17, s7
	s_addc_u32 s17, 0, s18
	s_add_u32 s7, s7, s16
	s_mul_i32 s14, s2, s14
	s_addc_u32 s7, s17, s19
	s_addc_u32 s16, s20, 0
	s_add_u32 s7, s7, s14
	s_addc_u32 s14, 0, s16
	v_add_co_u32 v1, s7, v1, s7
	s_delay_alu instid0(VALU_DEP_1) | instskip(SKIP_1) | instid1(VALU_DEP_1)
	s_cmp_lg_u32 s7, 0
	s_addc_u32 s2, s2, s14
	v_readfirstlane_b32 s7, v1
	s_mul_i32 s14, s12, s2
	s_delay_alu instid0(VALU_DEP_1)
	s_mul_hi_u32 s16, s12, s7
	s_mul_i32 s13, s13, s7
	s_add_i32 s14, s16, s14
	s_mul_i32 s12, s12, s7
	s_add_i32 s14, s14, s13
	s_mul_hi_u32 s16, s2, s12
	s_mul_i32 s17, s2, s12
	s_mul_hi_u32 s12, s7, s12
	s_mul_hi_u32 s18, s7, s14
	s_mul_i32 s7, s7, s14
	s_mul_hi_u32 s13, s2, s14
	s_add_u32 s7, s12, s7
	s_addc_u32 s12, 0, s18
	s_add_u32 s7, s7, s17
	s_mul_i32 s14, s2, s14
	s_addc_u32 s7, s12, s16
	s_addc_u32 s12, s13, 0
	s_add_u32 s7, s7, s14
	s_addc_u32 s12, 0, s12
	v_add_co_u32 v1, s7, v1, s7
	s_delay_alu instid0(VALU_DEP_1) | instskip(SKIP_2) | instid1(VALU_DEP_1)
	s_cmp_lg_u32 s7, 0
	s_addc_u32 s7, s2, s12
	s_ashr_i32 s12, s3, 31
	v_readfirstlane_b32 s14, v1
	s_add_u32 s2, s6, s12
	s_mov_b32 s13, s12
	s_addc_u32 s3, s3, s12
	s_delay_alu instid0(SALU_CYCLE_1) | instskip(NEXT) | instid1(SALU_CYCLE_1)
	s_xor_b64 s[2:3], s[2:3], s[12:13]
	s_mul_i32 s17, s2, s7
	s_mul_hi_u32 s18, s2, s14
	s_mul_hi_u32 s16, s2, s7
	;; [unrolled: 1-line block ×3, first 2 shown]
	s_mul_i32 s14, s3, s14
	s_add_u32 s17, s18, s17
	s_addc_u32 s16, 0, s16
	s_mul_hi_u32 s19, s3, s7
	s_add_u32 s14, s17, s14
	s_mul_i32 s7, s3, s7
	s_addc_u32 s14, s16, s20
	s_addc_u32 s16, s19, 0
	s_add_u32 s7, s14, s7
	s_addc_u32 s14, 0, s16
	s_mul_i32 s17, s9, s7
	s_add_u32 s16, s7, 1
	v_sub_co_u32 v1, s2, s2, s17
	s_mul_hi_u32 s17, s9, s7
	s_addc_u32 s18, s14, 0
	s_mul_i32 s19, s9, s14
	s_delay_alu instid0(VALU_DEP_1)
	v_sub_co_u32 v4, s20, v1, s9
	s_add_u32 s21, s7, 2
	s_addc_u32 s22, s14, 0
	s_add_i32 s17, s17, s19
	s_cmp_lg_u32 s2, 0
	v_readfirstlane_b32 s2, v4
	s_subb_u32 s3, s3, s17
	s_cmp_lg_u32 s20, 0
	s_subb_u32 s17, s3, 0
	s_delay_alu instid0(VALU_DEP_1) | instskip(SKIP_4) | instid1(SALU_CYCLE_1)
	s_cmp_ge_u32 s2, s9
	s_cselect_b32 s2, -1, 0
	s_cmp_eq_u32 s17, 0
	v_readfirstlane_b32 s17, v1
	s_cselect_b32 s2, s2, -1
	s_cmp_lg_u32 s2, 0
	s_cselect_b32 s2, s21, s16
	s_cselect_b32 s16, s22, s18
	s_cmp_ge_u32 s17, s9
	s_cselect_b32 s17, -1, 0
	s_cmp_eq_u32 s3, 0
	s_cselect_b32 s3, s17, -1
	s_delay_alu instid0(SALU_CYCLE_1) | instskip(SKIP_2) | instid1(SALU_CYCLE_1)
	s_cmp_lg_u32 s3, 0
	s_cselect_b32 s3, s16, s14
	s_cselect_b32 s2, s2, s7
	s_xor_b64 s[2:3], s[2:3], s[12:13]
	s_delay_alu instid0(SALU_CYCLE_1)
	s_sub_u32 s2, s2, s12
	s_subb_u32 s3, s3, s12
	s_cbranch_execnz .LBB56_5
.LBB56_4:
	v_cvt_f32_u32_e32 v1, s9
	s_sub_i32 s3, 0, s9
	s_delay_alu instid0(VALU_DEP_1) | instskip(SKIP_2) | instid1(VALU_DEP_1)
	v_rcp_iflag_f32_e32 v1, v1
	s_waitcnt_depctr 0xfff
	v_mul_f32_e32 v1, 0x4f7ffffe, v1
	v_cvt_u32_f32_e32 v1, v1
	s_delay_alu instid0(VALU_DEP_1) | instskip(NEXT) | instid1(VALU_DEP_1)
	v_readfirstlane_b32 s2, v1
	s_mul_i32 s3, s3, s2
	s_delay_alu instid0(SALU_CYCLE_1) | instskip(NEXT) | instid1(SALU_CYCLE_1)
	s_mul_hi_u32 s3, s2, s3
	s_add_i32 s2, s2, s3
	s_delay_alu instid0(SALU_CYCLE_1) | instskip(NEXT) | instid1(SALU_CYCLE_1)
	s_mul_hi_u32 s2, s6, s2
	s_mul_i32 s3, s2, s9
	s_delay_alu instid0(SALU_CYCLE_1)
	s_sub_i32 s3, s6, s3
	s_add_i32 s6, s2, 1
	s_sub_i32 s7, s3, s9
	s_cmp_ge_u32 s3, s9
	s_cselect_b32 s2, s6, s2
	s_cselect_b32 s3, s7, s3
	s_add_i32 s6, s2, 1
	s_cmp_ge_u32 s3, s9
	s_mov_b32 s3, 0
	s_cselect_b32 s2, s6, s2
.LBB56_5:
	v_mov_b32_e32 v1, 0
	s_add_u32 s2, s2, 1
	s_addc_u32 s3, s3, 0
	s_mul_hi_u32 s6, s8, s2
	s_mul_i32 s3, s8, s3
	v_mad_u64_u32 v[12:13], null, s10, s15, v[0:1]
	s_mul_hi_u32 s7, s11, s10
	s_add_i32 s3, s6, s3
	s_mul_i32 s7, s7, s2
	s_mul_i32 s2, s8, s2
	s_add_i32 s3, s3, s7
	s_mov_b32 s6, exec_lo
	s_lshl_b64 s[2:3], s[2:3], 1
	s_delay_alu instid0(SALU_CYCLE_1)
	v_cmpx_gt_i64_e64 s[2:3], v[12:13]
	s_cbranch_execz .LBB56_22
; %bb.6:
	v_mad_u64_u32 v[4:5], null, 0xcd9e8d57, v12, 0
	v_alignbit_b32 v16, v3, v2, 2
	v_lshrrev_b32_e32 v17, 2, v3
	s_waitcnt vmcnt(0)
	v_dual_mov_b32 v33, v11 :: v_dual_and_b32 v34, 3, v2
	v_add_co_u32 v19, null, 0x9e3779b9, v10
	v_mad_u64_u32 v[6:7], null, 0xd2511f53, v16, 0
	v_xor3_b32 v1, v10, v5, v17
	s_delay_alu instid0(VALU_DEP_4) | instskip(SKIP_1) | instid1(VALU_DEP_3)
	v_add_co_u32 v18, null, 0xbb67ae85, v33
	v_add_co_u32 v20, null, 0x3c6ef372, v10
	v_mad_u64_u32 v[8:9], null, 0xd2511f53, v1, 0
	v_xor_b32_e32 v1, v7, v11
	v_add_co_u32 v21, null, 0x76cf5d0a, v33
	v_add_co_u32 v22, null, 0x32370b8f, v33
	s_delay_alu instid0(VALU_DEP_3) | instskip(SKIP_3) | instid1(VALU_DEP_4)
	v_xor_b32_e32 v1, v1, v13
	v_xor3_b32 v3, v18, v9, v6
	v_add_co_u32 v23, null, 0xdaa66d2b, v10
	v_add_co_u32 v24, null, 0x78dde6e4, v10
	v_mad_u64_u32 v[5:6], null, 0xcd9e8d57, v1, 0
	s_delay_alu instid0(VALU_DEP_4) | instskip(SKIP_2) | instid1(VALU_DEP_4)
	v_mad_u64_u32 v[14:15], null, 0xcd9e8d57, v3, 0
	v_add_co_u32 v25, null, 0xed9eba14, v33
	v_add_co_u32 v26, null, 0xa9066899, v33
	v_xor3_b32 v1, v19, v6, v4
	v_add_co_u32 v27, null, 0x1715609d, v10
	v_xor3_b32 v7, v20, v15, v5
	v_add_co_u32 v28, null, 0xb54cda56, v10
	s_delay_alu instid0(VALU_DEP_4) | instskip(NEXT) | instid1(VALU_DEP_3)
	v_mad_u64_u32 v[3:4], null, 0xd2511f53, v1, 0
	v_mad_u64_u32 v[5:6], null, 0xd2511f53, v7, 0
	v_add_co_u32 v29, null, 0x646e171e, v33
	v_add_co_u32 v30, null, 0x1fd5c5a3, v33
	s_delay_alu instid0(VALU_DEP_4)
	v_xor3_b32 v1, v21, v4, v8
	v_add_co_u32 v31, null, 0x5384540f, v10
	v_xor3_b32 v8, v22, v6, v3
	s_clause 0x1
	s_load_b64 s[6:7], s[0:1], 0x30
	s_load_b32 s0, s[0:1], 0x38
	v_mad_u64_u32 v[3:4], null, 0xcd9e8d57, v1, 0
	v_add_co_u32 v32, null, 0xf1bbcdc8, v10
	v_mad_u64_u32 v[6:7], null, 0xcd9e8d57, v8, 0
	v_add_co_u32 v33, null, 0xdb3d7428, v33
	s_delay_alu instid0(VALU_DEP_4) | instskip(SKIP_3) | instid1(VALU_DEP_4)
	v_xor3_b32 v1, v23, v4, v14
	v_dual_mov_b32 v39, v12 :: v_dual_add_nc_u32 v36, 0x96a522ad, v11
	v_dual_mov_b32 v40, v13 :: v_dual_add_nc_u32 v35, 0x8ff34781, v10
	v_xor3_b32 v9, v24, v7, v3
	v_mad_u64_u32 v[3:4], null, 0xd2511f53, v1, 0
	s_delay_alu instid0(VALU_DEP_2) | instskip(SKIP_2) | instid1(VALU_DEP_2)
	v_mad_u64_u32 v[7:8], null, 0xd2511f53, v9, 0
	s_waitcnt lgkmcnt(0)
	s_mul_i32 s1, s11, s0
	v_xor3_b32 v1, v25, v4, v5
	s_mul_i32 s1, s1, s10
	s_delay_alu instid0(SALU_CYCLE_1) | instskip(NEXT) | instid1(VALU_DEP_2)
	s_lshl_b32 s1, s1, 1
	v_xor3_b32 v5, v26, v8, v3
	s_delay_alu instid0(VALU_DEP_2) | instskip(NEXT) | instid1(VALU_DEP_2)
	v_mad_u64_u32 v[3:4], null, 0xcd9e8d57, v1, 0
	v_mad_u64_u32 v[8:9], null, 0xcd9e8d57, v5, 0
	s_delay_alu instid0(VALU_DEP_2) | instskip(NEXT) | instid1(VALU_DEP_2)
	v_xor3_b32 v1, v27, v4, v6
	v_xor3_b32 v9, v28, v9, v3
	s_delay_alu instid0(VALU_DEP_2) | instskip(NEXT) | instid1(VALU_DEP_2)
	v_mad_u64_u32 v[3:4], null, 0xd2511f53, v1, 0
	v_mad_u64_u32 v[5:6], null, 0xd2511f53, v9, 0
	s_delay_alu instid0(VALU_DEP_2) | instskip(NEXT) | instid1(VALU_DEP_2)
	v_xor3_b32 v1, v29, v4, v7
	v_xor3_b32 v9, v30, v6, v3
	s_delay_alu instid0(VALU_DEP_2) | instskip(SKIP_1) | instid1(VALU_DEP_3)
	v_mad_u64_u32 v[3:4], null, 0xcd9e8d57, v1, 0
	v_mad_u64_u32 v[14:15], null, s15, s10, v[0:1]
	;; [unrolled: 1-line block ×3, first 2 shown]
	s_add_i32 s15, s15, s11
	s_delay_alu instid0(VALU_DEP_3) | instskip(SKIP_1) | instid1(VALU_DEP_4)
	v_xor3_b32 v4, v31, v4, v8
	v_mad_u64_u32 v[8:9], null, s15, s10, v[0:1]
	v_mul_lo_u32 v37, s0, v14
	s_delay_alu instid0(VALU_DEP_4) | instskip(NEXT) | instid1(VALU_DEP_4)
	v_xor3_b32 v6, v32, v7, v3
	v_mad_u64_u32 v[0:1], null, 0xd2511f53, v4, 0
	s_mov_b32 s10, 0
	s_delay_alu instid0(VALU_DEP_2) | instskip(SKIP_2) | instid1(VALU_DEP_3)
	v_mad_u64_u32 v[3:4], null, 0xd2511f53, v6, 0
	v_mul_lo_u32 v38, s0, v8
	s_mov_b32 s0, 0
	v_xor3_b32 v5, v33, v1, v5
	s_delay_alu instid0(VALU_DEP_1) | instskip(NEXT) | instid1(VALU_DEP_4)
	v_mad_u64_u32 v[1:2], null, 0xcd9e8d57, v5, 0
	v_xor3_b32 v2, v4, v0, v36
	s_branch .LBB56_8
.LBB56_7:                               ;   in Loop: Header=BB56_8 Depth=1
	s_or_b32 exec_lo, exec_lo, s11
	v_add_co_u32 v12, vcc_lo, v12, s9
	v_add_co_ci_u32_e32 v13, vcc_lo, 0, v13, vcc_lo
	v_mov_b32_e32 v6, v14
	v_mov_b32_e32 v0, v3
	v_dual_mov_b32 v1, v4 :: v_dual_mov_b32 v2, v5
	s_delay_alu instid0(VALU_DEP_4) | instskip(NEXT) | instid1(VALU_DEP_4)
	v_cmp_le_i64_e32 vcc_lo, s[2:3], v[12:13]
	v_mov_b32_e32 v3, v6
	s_add_i32 s10, s10, s1
	s_waitcnt_vscnt null, 0x0
	s_barrier
	buffer_gl0_inv
	s_or_b32 s0, vcc_lo, s0
	s_delay_alu instid0(SALU_CYCLE_1)
	s_and_not1_b32 exec_lo, exec_lo, s0
	s_cbranch_execz .LBB56_22
.LBB56_8:                               ; =>This Inner Loop Header: Depth=1
	v_add_co_u32 v16, vcc_lo, v16, 1
	s_delay_alu instid0(VALU_DEP_1) | instskip(SKIP_1) | instid1(VALU_DEP_3)
	v_cndmask_b32_e64 v0, 0, 1, vcc_lo
	v_add_co_ci_u32_e32 v17, vcc_lo, 0, v17, vcc_lo
	v_mad_u64_u32 v[4:5], null, 0xd2511f53, v16, 0
	s_mov_b32 s11, exec_lo
	s_delay_alu instid0(VALU_DEP_2) | instskip(SKIP_1) | instid1(VALU_DEP_1)
	v_cmp_eq_u32_e32 vcc_lo, 0, v17
	v_cndmask_b32_e32 v0, 0, v0, vcc_lo
	v_add_nc_u32_e32 v39, v0, v39
	s_delay_alu instid0(VALU_DEP_1) | instskip(SKIP_2) | instid1(VALU_DEP_2)
	v_cmp_eq_u32_e32 vcc_lo, 0, v39
	v_cndmask_b32_e32 v0, 0, v0, vcc_lo
	v_mad_u64_u32 v[6:7], null, 0xcd9e8d57, v39, 0
	v_add_nc_u32_e32 v40, v0, v40
	v_xor_b32_e32 v0, v5, v11
	s_delay_alu instid0(VALU_DEP_3) | instskip(NEXT) | instid1(VALU_DEP_2)
	v_xor3_b32 v5, v7, v10, v17
	v_xor_b32_e32 v0, v40, v0
	s_delay_alu instid0(VALU_DEP_2) | instskip(NEXT) | instid1(VALU_DEP_2)
	v_mad_u64_u32 v[7:8], null, 0xd2511f53, v5, 0
	v_mad_u64_u32 v[14:15], null, 0xcd9e8d57, v0, 0
	s_delay_alu instid0(VALU_DEP_2) | instskip(NEXT) | instid1(VALU_DEP_2)
	v_xor3_b32 v0, v18, v8, v4
	v_xor3_b32 v6, v19, v15, v6
	s_delay_alu instid0(VALU_DEP_2) | instskip(NEXT) | instid1(VALU_DEP_2)
	v_mad_u64_u32 v[4:5], null, 0xcd9e8d57, v0, 0
	v_mad_u64_u32 v[8:9], null, 0xd2511f53, v6, 0
	s_delay_alu instid0(VALU_DEP_2) | instskip(NEXT) | instid1(VALU_DEP_2)
	v_xor3_b32 v0, v20, v5, v14
	v_xor3_b32 v7, v21, v9, v7
	;; [unrolled: 6-line block ×9, first 2 shown]
	s_delay_alu instid0(VALU_DEP_2)
	v_mov_b32_e32 v5, v8
	v_cmpx_lt_i32_e32 1, v34
	s_xor_b32 s11, exec_lo, s11
	s_cbranch_execnz .LBB56_14
; %bb.9:                                ;   in Loop: Header=BB56_8 Depth=1
	s_and_not1_saveexec_b32 s11, s11
	s_cbranch_execnz .LBB56_19
.LBB56_10:                              ;   in Loop: Header=BB56_8 Depth=1
	s_or_b32 exec_lo, exec_lo, s11
	s_delay_alu instid0(SALU_CYCLE_1)
	s_mov_b32 s11, exec_lo
	v_cmpx_gt_i64_e64 s[4:5], v[12:13]
	s_cbranch_execz .LBB56_12
.LBB56_11:                              ;   in Loop: Header=BB56_8 Depth=1
	v_add_nc_u32_e32 v0, s10, v37
	s_delay_alu instid0(VALU_DEP_1) | instskip(SKIP_1) | instid1(VALU_DEP_2)
	v_ashrrev_i32_e32 v2, 31, v0
	v_add_co_u32 v6, vcc_lo, s6, v0
	v_add_co_ci_u32_e32 v7, vcc_lo, s7, v2, vcc_lo
	global_store_b32 v[6:7], v1, off
.LBB56_12:                              ;   in Loop: Header=BB56_8 Depth=1
	s_or_b32 exec_lo, exec_lo, s11
	v_add_co_u32 v0, vcc_lo, s8, v12
	v_add_co_ci_u32_e32 v1, vcc_lo, 0, v13, vcc_lo
	s_mov_b32 s11, exec_lo
	s_delay_alu instid0(VALU_DEP_1)
	v_cmpx_gt_i64_e64 s[4:5], v[0:1]
	s_cbranch_execz .LBB56_7
; %bb.13:                               ;   in Loop: Header=BB56_8 Depth=1
	v_add_nc_u32_e32 v0, s10, v38
	s_delay_alu instid0(VALU_DEP_1) | instskip(SKIP_1) | instid1(VALU_DEP_2)
	v_ashrrev_i32_e32 v1, 31, v0
	v_add_co_u32 v0, vcc_lo, s6, v0
	v_add_co_ci_u32_e32 v1, vcc_lo, s7, v1, vcc_lo
	global_store_b32 v[0:1], v3, off
	s_branch .LBB56_7
.LBB56_14:                              ;   in Loop: Header=BB56_8 Depth=1
	s_mov_b32 s12, exec_lo
	v_cmpx_lt_i32_e32 2, v34
	s_xor_b32 s12, exec_lo, s12
; %bb.15:                               ;   in Loop: Header=BB56_8 Depth=1
	v_dual_mov_b32 v0, v5 :: v_dual_mov_b32 v1, v6
	v_dual_mov_b32 v2, v7 :: v_dual_mov_b32 v3, v8
; %bb.16:                               ;   in Loop: Header=BB56_8 Depth=1
	s_and_not1_saveexec_b32 s12, s12
; %bb.17:                               ;   in Loop: Header=BB56_8 Depth=1
	s_delay_alu instid0(VALU_DEP_1)
	v_mov_b32_e32 v1, v3
	v_mov_b32_e32 v3, v4
; %bb.18:                               ;   in Loop: Header=BB56_8 Depth=1
	s_or_b32 exec_lo, exec_lo, s12
                                        ; implicit-def: $vgpr6_vgpr7_vgpr8_vgpr9
	s_and_not1_saveexec_b32 s11, s11
	s_cbranch_execz .LBB56_10
.LBB56_19:                              ;   in Loop: Header=BB56_8 Depth=1
	s_mov_b32 s12, exec_lo
	v_cmpx_eq_u32_e32 1, v34
; %bb.20:                               ;   in Loop: Header=BB56_8 Depth=1
	v_mov_b32_e32 v1, v2
	v_mov_b32_e32 v3, v6
; %bb.21:                               ;   in Loop: Header=BB56_8 Depth=1
	s_or_b32 exec_lo, exec_lo, s12
	s_delay_alu instid0(SALU_CYCLE_1) | instskip(NEXT) | instid1(SALU_CYCLE_1)
	s_or_b32 exec_lo, exec_lo, s11
	s_mov_b32 s11, exec_lo
	v_cmpx_gt_i64_e64 s[4:5], v[12:13]
	s_cbranch_execnz .LBB56_11
	s_branch .LBB56_12
.LBB56_22:
	s_endpgm
.LBB56_23:
                                        ; implicit-def: $sgpr2_sgpr3
	s_branch .LBB56_4
	.section	.rodata,"a",@progbits
	.p2align	6, 0x0
	.amdhsa_kernel _ZN2at6native12_GLOBAL__N_143distribution_elementwise_grid_stride_kernelImLi2EZZZNS0_9templates4cuda32random_full_64_bits_range_kernelIPNS_17CUDAGeneratorImplEEEvRNS_18TensorIteratorBaseET_ENKUlvE_clEvENKUlvE1_clEvEUlP25hiprandStatePhilox4_32_10E_ZNS1_27distribution_nullary_kernelIim15HIP_vector_typeIyLj2EES7_SF_ZZZNS5_IS7_EEvS9_SA_ENKSB_clEvENKSC_clEvEUlmE_EEvS9_T2_RKT3_T4_EUlimE_EEvlNS_15PhiloxCudaStateET1_SK_
		.amdhsa_group_segment_fixed_size 0
		.amdhsa_private_segment_fixed_size 0
		.amdhsa_kernarg_size 320
		.amdhsa_user_sgpr_count 15
		.amdhsa_user_sgpr_dispatch_ptr 0
		.amdhsa_user_sgpr_queue_ptr 0
		.amdhsa_user_sgpr_kernarg_segment_ptr 1
		.amdhsa_user_sgpr_dispatch_id 0
		.amdhsa_user_sgpr_private_segment_size 0
		.amdhsa_wavefront_size32 1
		.amdhsa_uses_dynamic_stack 0
		.amdhsa_enable_private_segment 0
		.amdhsa_system_sgpr_workgroup_id_x 1
		.amdhsa_system_sgpr_workgroup_id_y 0
		.amdhsa_system_sgpr_workgroup_id_z 0
		.amdhsa_system_sgpr_workgroup_info 0
		.amdhsa_system_vgpr_workitem_id 0
		.amdhsa_next_free_vgpr 43
		.amdhsa_next_free_sgpr 23
		.amdhsa_reserve_vcc 1
		.amdhsa_float_round_mode_32 0
		.amdhsa_float_round_mode_16_64 0
		.amdhsa_float_denorm_mode_32 3
		.amdhsa_float_denorm_mode_16_64 3
		.amdhsa_dx10_clamp 1
		.amdhsa_ieee_mode 1
		.amdhsa_fp16_overflow 0
		.amdhsa_workgroup_processor_mode 1
		.amdhsa_memory_ordered 1
		.amdhsa_forward_progress 0
		.amdhsa_shared_vgpr_count 0
		.amdhsa_exception_fp_ieee_invalid_op 0
		.amdhsa_exception_fp_denorm_src 0
		.amdhsa_exception_fp_ieee_div_zero 0
		.amdhsa_exception_fp_ieee_overflow 0
		.amdhsa_exception_fp_ieee_underflow 0
		.amdhsa_exception_fp_ieee_inexact 0
		.amdhsa_exception_int_div_zero 0
	.end_amdhsa_kernel
	.section	.text._ZN2at6native12_GLOBAL__N_143distribution_elementwise_grid_stride_kernelImLi2EZZZNS0_9templates4cuda32random_full_64_bits_range_kernelIPNS_17CUDAGeneratorImplEEEvRNS_18TensorIteratorBaseET_ENKUlvE_clEvENKUlvE1_clEvEUlP25hiprandStatePhilox4_32_10E_ZNS1_27distribution_nullary_kernelIim15HIP_vector_typeIyLj2EES7_SF_ZZZNS5_IS7_EEvS9_SA_ENKSB_clEvENKSC_clEvEUlmE_EEvS9_T2_RKT3_T4_EUlimE_EEvlNS_15PhiloxCudaStateET1_SK_,"axG",@progbits,_ZN2at6native12_GLOBAL__N_143distribution_elementwise_grid_stride_kernelImLi2EZZZNS0_9templates4cuda32random_full_64_bits_range_kernelIPNS_17CUDAGeneratorImplEEEvRNS_18TensorIteratorBaseET_ENKUlvE_clEvENKUlvE1_clEvEUlP25hiprandStatePhilox4_32_10E_ZNS1_27distribution_nullary_kernelIim15HIP_vector_typeIyLj2EES7_SF_ZZZNS5_IS7_EEvS9_SA_ENKSB_clEvENKSC_clEvEUlmE_EEvS9_T2_RKT3_T4_EUlimE_EEvlNS_15PhiloxCudaStateET1_SK_,comdat
.Lfunc_end56:
	.size	_ZN2at6native12_GLOBAL__N_143distribution_elementwise_grid_stride_kernelImLi2EZZZNS0_9templates4cuda32random_full_64_bits_range_kernelIPNS_17CUDAGeneratorImplEEEvRNS_18TensorIteratorBaseET_ENKUlvE_clEvENKUlvE1_clEvEUlP25hiprandStatePhilox4_32_10E_ZNS1_27distribution_nullary_kernelIim15HIP_vector_typeIyLj2EES7_SF_ZZZNS5_IS7_EEvS9_SA_ENKSB_clEvENKSC_clEvEUlmE_EEvS9_T2_RKT3_T4_EUlimE_EEvlNS_15PhiloxCudaStateET1_SK_, .Lfunc_end56-_ZN2at6native12_GLOBAL__N_143distribution_elementwise_grid_stride_kernelImLi2EZZZNS0_9templates4cuda32random_full_64_bits_range_kernelIPNS_17CUDAGeneratorImplEEEvRNS_18TensorIteratorBaseET_ENKUlvE_clEvENKUlvE1_clEvEUlP25hiprandStatePhilox4_32_10E_ZNS1_27distribution_nullary_kernelIim15HIP_vector_typeIyLj2EES7_SF_ZZZNS5_IS7_EEvS9_SA_ENKSB_clEvENKSC_clEvEUlmE_EEvS9_T2_RKT3_T4_EUlimE_EEvlNS_15PhiloxCudaStateET1_SK_
                                        ; -- End function
	.section	.AMDGPU.csdata,"",@progbits
; Kernel info:
; codeLenInByte = 2572
; NumSgprs: 25
; NumVgprs: 43
; ScratchSize: 0
; MemoryBound: 0
; FloatMode: 240
; IeeeMode: 1
; LDSByteSize: 0 bytes/workgroup (compile time only)
; SGPRBlocks: 3
; VGPRBlocks: 5
; NumSGPRsForWavesPerEU: 25
; NumVGPRsForWavesPerEU: 43
; Occupancy: 16
; WaveLimiterHint : 0
; COMPUTE_PGM_RSRC2:SCRATCH_EN: 0
; COMPUTE_PGM_RSRC2:USER_SGPR: 15
; COMPUTE_PGM_RSRC2:TRAP_HANDLER: 0
; COMPUTE_PGM_RSRC2:TGID_X_EN: 1
; COMPUTE_PGM_RSRC2:TGID_Y_EN: 0
; COMPUTE_PGM_RSRC2:TGID_Z_EN: 0
; COMPUTE_PGM_RSRC2:TIDIG_COMP_CNT: 0
	.section	.text._ZN2at6native12_GLOBAL__N_143distribution_elementwise_grid_stride_kernelImLi2EZZZNS0_9templates4cuda32random_full_64_bits_range_kernelIPNS_17CUDAGeneratorImplEEEvRNS_18TensorIteratorBaseET_ENKUlvE_clEvENKUlvE1_clEvEUlP25hiprandStatePhilox4_32_10E_ZNS1_27distribution_nullary_kernelIim15HIP_vector_typeIyLj2EES7_SF_ZZZNS5_IS7_EEvS9_SA_ENKSB_clEvENKSC_clEvEUlmE_EEvS9_T2_RKT3_T4_EUlimE0_EEvlNS_15PhiloxCudaStateET1_SK_,"axG",@progbits,_ZN2at6native12_GLOBAL__N_143distribution_elementwise_grid_stride_kernelImLi2EZZZNS0_9templates4cuda32random_full_64_bits_range_kernelIPNS_17CUDAGeneratorImplEEEvRNS_18TensorIteratorBaseET_ENKUlvE_clEvENKUlvE1_clEvEUlP25hiprandStatePhilox4_32_10E_ZNS1_27distribution_nullary_kernelIim15HIP_vector_typeIyLj2EES7_SF_ZZZNS5_IS7_EEvS9_SA_ENKSB_clEvENKSC_clEvEUlmE_EEvS9_T2_RKT3_T4_EUlimE0_EEvlNS_15PhiloxCudaStateET1_SK_,comdat
	.globl	_ZN2at6native12_GLOBAL__N_143distribution_elementwise_grid_stride_kernelImLi2EZZZNS0_9templates4cuda32random_full_64_bits_range_kernelIPNS_17CUDAGeneratorImplEEEvRNS_18TensorIteratorBaseET_ENKUlvE_clEvENKUlvE1_clEvEUlP25hiprandStatePhilox4_32_10E_ZNS1_27distribution_nullary_kernelIim15HIP_vector_typeIyLj2EES7_SF_ZZZNS5_IS7_EEvS9_SA_ENKSB_clEvENKSC_clEvEUlmE_EEvS9_T2_RKT3_T4_EUlimE0_EEvlNS_15PhiloxCudaStateET1_SK_ ; -- Begin function _ZN2at6native12_GLOBAL__N_143distribution_elementwise_grid_stride_kernelImLi2EZZZNS0_9templates4cuda32random_full_64_bits_range_kernelIPNS_17CUDAGeneratorImplEEEvRNS_18TensorIteratorBaseET_ENKUlvE_clEvENKUlvE1_clEvEUlP25hiprandStatePhilox4_32_10E_ZNS1_27distribution_nullary_kernelIim15HIP_vector_typeIyLj2EES7_SF_ZZZNS5_IS7_EEvS9_SA_ENKSB_clEvENKSC_clEvEUlmE_EEvS9_T2_RKT3_T4_EUlimE0_EEvlNS_15PhiloxCudaStateET1_SK_
	.p2align	8
	.type	_ZN2at6native12_GLOBAL__N_143distribution_elementwise_grid_stride_kernelImLi2EZZZNS0_9templates4cuda32random_full_64_bits_range_kernelIPNS_17CUDAGeneratorImplEEEvRNS_18TensorIteratorBaseET_ENKUlvE_clEvENKUlvE1_clEvEUlP25hiprandStatePhilox4_32_10E_ZNS1_27distribution_nullary_kernelIim15HIP_vector_typeIyLj2EES7_SF_ZZZNS5_IS7_EEvS9_SA_ENKSB_clEvENKSC_clEvEUlmE_EEvS9_T2_RKT3_T4_EUlimE0_EEvlNS_15PhiloxCudaStateET1_SK_,@function
_ZN2at6native12_GLOBAL__N_143distribution_elementwise_grid_stride_kernelImLi2EZZZNS0_9templates4cuda32random_full_64_bits_range_kernelIPNS_17CUDAGeneratorImplEEEvRNS_18TensorIteratorBaseET_ENKUlvE_clEvENKUlvE1_clEvEUlP25hiprandStatePhilox4_32_10E_ZNS1_27distribution_nullary_kernelIim15HIP_vector_typeIyLj2EES7_SF_ZZZNS5_IS7_EEvS9_SA_ENKSB_clEvENKSC_clEvEUlmE_EEvS9_T2_RKT3_T4_EUlimE0_EEvlNS_15PhiloxCudaStateET1_SK_: ; @_ZN2at6native12_GLOBAL__N_143distribution_elementwise_grid_stride_kernelImLi2EZZZNS0_9templates4cuda32random_full_64_bits_range_kernelIPNS_17CUDAGeneratorImplEEEvRNS_18TensorIteratorBaseET_ENKUlvE_clEvENKUlvE1_clEvEUlP25hiprandStatePhilox4_32_10E_ZNS1_27distribution_nullary_kernelIim15HIP_vector_typeIyLj2EES7_SF_ZZZNS5_IS7_EEvS9_SA_ENKSB_clEvENKSC_clEvEUlmE_EEvS9_T2_RKT3_T4_EUlimE0_EEvlNS_15PhiloxCudaStateET1_SK_
; %bb.0:
	s_clause 0x2
	s_load_b64 s[4:5], s[0:1], 0x10
	s_load_b128 s[16:19], s[0:1], 0x0
	s_load_b32 s2, s[0:1], 0x20
	s_waitcnt lgkmcnt(0)
	v_dual_mov_b32 v2, s4 :: v_dual_mov_b32 v3, s5
	v_dual_mov_b32 v10, s18 :: v_dual_mov_b32 v11, s19
	s_bitcmp0_b32 s2, 0
	s_mov_b32 s2, 0
	s_cbranch_scc1 .LBB57_2
; %bb.1:
	v_dual_mov_b32 v1, s4 :: v_dual_mov_b32 v2, s5
	v_dual_mov_b32 v4, s18 :: v_dual_mov_b32 v5, s19
	s_load_b64 s[4:5], s[0:1], 0x18
	flat_load_b64 v[2:3], v[1:2]
	flat_load_b64 v[10:11], v[4:5]
	s_waitcnt vmcnt(1) lgkmcnt(0)
	v_add_co_u32 v2, vcc_lo, v2, s4
	v_add_co_ci_u32_e32 v3, vcc_lo, s5, v3, vcc_lo
.LBB57_2:
	s_clause 0x1
	s_load_b32 s3, s[0:1], 0x154
	s_load_b32 s4, s[0:1], 0x148
	s_waitcnt lgkmcnt(0)
	s_and_b32 s5, s3, 0xffff
	s_add_u32 s6, s16, -1
	s_mul_i32 s24, s4, s5
	s_addc_u32 s3, s17, -1
	s_lshl_b32 s25, s24, 1
	s_cmp_lg_u64 s[2:3], 0
	s_cbranch_scc0 .LBB57_49
; %bb.3:
	v_cvt_f32_ubyte0_e32 v1, 0
	v_cvt_f32_u32_e32 v4, s25
	s_sub_u32 s8, 0, s25
	s_subb_u32 s9, 0, 0
	s_delay_alu instid0(VALU_DEP_1) | instskip(NEXT) | instid1(VALU_DEP_1)
	v_fmamk_f32 v1, v1, 0x4f800000, v4
	v_rcp_f32_e32 v1, v1
	s_waitcnt_depctr 0xfff
	v_mul_f32_e32 v1, 0x5f7ffffc, v1
	s_delay_alu instid0(VALU_DEP_1) | instskip(NEXT) | instid1(VALU_DEP_1)
	v_mul_f32_e32 v4, 0x2f800000, v1
	v_trunc_f32_e32 v4, v4
	s_delay_alu instid0(VALU_DEP_1) | instskip(SKIP_1) | instid1(VALU_DEP_2)
	v_fmamk_f32 v1, v4, 0xcf800000, v1
	v_cvt_u32_f32_e32 v4, v4
	v_cvt_u32_f32_e32 v1, v1
	s_delay_alu instid0(VALU_DEP_2) | instskip(NEXT) | instid1(VALU_DEP_2)
	v_readfirstlane_b32 s2, v4
	v_readfirstlane_b32 s7, v1
	s_delay_alu instid0(VALU_DEP_2) | instskip(NEXT) | instid1(VALU_DEP_1)
	s_mul_i32 s10, s8, s2
	s_mul_hi_u32 s12, s8, s7
	s_mul_i32 s11, s9, s7
	s_add_i32 s10, s12, s10
	s_mul_i32 s13, s8, s7
	s_add_i32 s10, s10, s11
	s_mul_hi_u32 s12, s7, s13
	s_mul_hi_u32 s14, s2, s13
	s_mul_i32 s11, s2, s13
	s_mul_hi_u32 s13, s7, s10
	s_mul_i32 s7, s7, s10
	s_mul_hi_u32 s18, s2, s10
	s_add_u32 s7, s12, s7
	s_addc_u32 s12, 0, s13
	s_add_u32 s7, s7, s11
	s_mul_i32 s10, s2, s10
	s_addc_u32 s7, s12, s14
	s_addc_u32 s11, s18, 0
	s_add_u32 s7, s7, s10
	s_addc_u32 s10, 0, s11
	v_add_co_u32 v1, s7, v1, s7
	s_delay_alu instid0(VALU_DEP_1) | instskip(SKIP_1) | instid1(VALU_DEP_1)
	s_cmp_lg_u32 s7, 0
	s_addc_u32 s2, s2, s10
	v_readfirstlane_b32 s7, v1
	s_mul_i32 s10, s8, s2
	s_delay_alu instid0(VALU_DEP_1)
	s_mul_hi_u32 s11, s8, s7
	s_mul_i32 s9, s9, s7
	s_add_i32 s10, s11, s10
	s_mul_i32 s8, s8, s7
	s_add_i32 s10, s10, s9
	s_mul_hi_u32 s11, s2, s8
	s_mul_i32 s12, s2, s8
	s_mul_hi_u32 s8, s7, s8
	s_mul_hi_u32 s13, s7, s10
	s_mul_i32 s7, s7, s10
	s_mul_hi_u32 s9, s2, s10
	s_add_u32 s7, s8, s7
	s_addc_u32 s8, 0, s13
	s_add_u32 s7, s7, s12
	s_mul_i32 s10, s2, s10
	s_addc_u32 s7, s8, s11
	s_addc_u32 s8, s9, 0
	s_add_u32 s7, s7, s10
	s_addc_u32 s8, 0, s8
	v_add_co_u32 v1, s7, v1, s7
	s_delay_alu instid0(VALU_DEP_1) | instskip(SKIP_2) | instid1(VALU_DEP_1)
	s_cmp_lg_u32 s7, 0
	s_addc_u32 s7, s2, s8
	s_ashr_i32 s8, s3, 31
	v_readfirstlane_b32 s10, v1
	s_add_u32 s2, s6, s8
	s_mov_b32 s9, s8
	s_addc_u32 s3, s3, s8
	s_delay_alu instid0(SALU_CYCLE_1) | instskip(NEXT) | instid1(SALU_CYCLE_1)
	s_xor_b64 s[2:3], s[2:3], s[8:9]
	s_mul_i32 s12, s2, s7
	s_mul_hi_u32 s13, s2, s10
	s_mul_hi_u32 s11, s2, s7
	;; [unrolled: 1-line block ×3, first 2 shown]
	s_mul_i32 s10, s3, s10
	s_add_u32 s12, s13, s12
	s_addc_u32 s11, 0, s11
	s_mul_hi_u32 s14, s3, s7
	s_add_u32 s10, s12, s10
	s_mul_i32 s7, s3, s7
	s_addc_u32 s10, s11, s18
	s_addc_u32 s11, s14, 0
	s_add_u32 s7, s10, s7
	s_addc_u32 s10, 0, s11
	s_mul_i32 s12, s25, s7
	s_add_u32 s11, s7, 1
	v_sub_co_u32 v1, s2, s2, s12
	s_mul_hi_u32 s12, s25, s7
	s_addc_u32 s13, s10, 0
	s_mul_i32 s14, s25, s10
	s_delay_alu instid0(VALU_DEP_1)
	v_sub_co_u32 v4, s18, v1, s25
	s_add_u32 s19, s7, 2
	s_addc_u32 s20, s10, 0
	s_add_i32 s12, s12, s14
	s_cmp_lg_u32 s2, 0
	v_readfirstlane_b32 s2, v4
	s_subb_u32 s3, s3, s12
	s_cmp_lg_u32 s18, 0
	s_subb_u32 s12, s3, 0
	s_delay_alu instid0(VALU_DEP_1) | instskip(SKIP_4) | instid1(SALU_CYCLE_1)
	s_cmp_ge_u32 s2, s25
	s_cselect_b32 s2, -1, 0
	s_cmp_eq_u32 s12, 0
	v_readfirstlane_b32 s12, v1
	s_cselect_b32 s2, s2, -1
	s_cmp_lg_u32 s2, 0
	s_cselect_b32 s2, s19, s11
	s_cselect_b32 s11, s20, s13
	s_cmp_ge_u32 s12, s25
	s_cselect_b32 s12, -1, 0
	s_cmp_eq_u32 s3, 0
	s_cselect_b32 s3, s12, -1
	s_delay_alu instid0(SALU_CYCLE_1) | instskip(SKIP_2) | instid1(SALU_CYCLE_1)
	s_cmp_lg_u32 s3, 0
	s_cselect_b32 s3, s11, s10
	s_cselect_b32 s2, s2, s7
	s_xor_b64 s[2:3], s[2:3], s[8:9]
	s_delay_alu instid0(SALU_CYCLE_1)
	s_sub_u32 s2, s2, s8
	s_subb_u32 s3, s3, s8
	s_cbranch_execnz .LBB57_5
.LBB57_4:
	v_cvt_f32_u32_e32 v1, s25
	s_sub_i32 s3, 0, s25
	s_delay_alu instid0(VALU_DEP_1) | instskip(SKIP_2) | instid1(VALU_DEP_1)
	v_rcp_iflag_f32_e32 v1, v1
	s_waitcnt_depctr 0xfff
	v_mul_f32_e32 v1, 0x4f7ffffe, v1
	v_cvt_u32_f32_e32 v1, v1
	s_delay_alu instid0(VALU_DEP_1) | instskip(NEXT) | instid1(VALU_DEP_1)
	v_readfirstlane_b32 s2, v1
	s_mul_i32 s3, s3, s2
	s_delay_alu instid0(SALU_CYCLE_1) | instskip(NEXT) | instid1(SALU_CYCLE_1)
	s_mul_hi_u32 s3, s2, s3
	s_add_i32 s2, s2, s3
	s_delay_alu instid0(SALU_CYCLE_1) | instskip(NEXT) | instid1(SALU_CYCLE_1)
	s_mul_hi_u32 s2, s6, s2
	s_mul_i32 s3, s2, s25
	s_delay_alu instid0(SALU_CYCLE_1)
	s_sub_i32 s3, s6, s3
	s_add_i32 s6, s2, 1
	s_sub_i32 s7, s3, s25
	s_cmp_ge_u32 s3, s25
	s_cselect_b32 s2, s6, s2
	s_cselect_b32 s3, s7, s3
	s_add_i32 s6, s2, 1
	s_cmp_ge_u32 s3, s25
	s_mov_b32 s3, 0
	s_cselect_b32 s2, s6, s2
.LBB57_5:
	v_mov_b32_e32 v1, 0
	s_add_u32 s2, s2, 1
	s_addc_u32 s3, s3, 0
	s_mul_hi_u32 s6, s24, s2
	s_mul_i32 s3, s24, s3
	v_mad_u64_u32 v[12:13], null, s5, s15, v[0:1]
	s_mul_hi_u32 s4, s4, s5
	s_add_i32 s3, s6, s3
	s_mul_i32 s4, s4, s2
	s_mul_i32 s2, s24, s2
	s_add_i32 s3, s3, s4
	s_mov_b32 s4, exec_lo
	s_lshl_b64 s[2:3], s[2:3], 1
	s_delay_alu instid0(SALU_CYCLE_1)
	v_cmpx_gt_i64_e64 s[2:3], v[12:13]
	s_cbranch_execz .LBB57_48
; %bb.6:
	v_alignbit_b32 v16, v3, v2, 2
	v_mad_u64_u32 v[0:1], null, 0xcd9e8d57, v12, 0
	v_lshrrev_b32_e32 v17, 2, v3
	s_waitcnt vmcnt(0)
	v_dual_mov_b32 v9, v11 :: v_dual_and_b32 v26, 3, v2
	v_mad_u64_u32 v[3:4], null, 0xd2511f53, v16, 0
	v_add_co_u32 v19, null, 0x9e3779b9, v10
	v_xor3_b32 v1, v10, v1, v17
	s_delay_alu instid0(VALU_DEP_4) | instskip(SKIP_2) | instid1(VALU_DEP_4)
	v_add_co_u32 v18, null, 0xbb67ae85, v9
	v_add_co_u32 v20, null, 0x3c6ef372, v10
	v_xor_b32_e32 v6, v4, v11
	v_mad_u64_u32 v[4:5], null, 0xd2511f53, v1, 0
	v_add_co_u32 v21, null, 0x76cf5d0a, v9
	s_delay_alu instid0(VALU_DEP_3) | instskip(SKIP_3) | instid1(VALU_DEP_4)
	v_xor_b32_e32 v1, v6, v13
	v_add_co_u32 v22, null, 0x32370b8f, v9
	v_add_co_u32 v23, null, 0xdaa66d2b, v10
	v_xor3_b32 v3, v18, v5, v3
	v_mad_u64_u32 v[5:6], null, 0xcd9e8d57, v1, 0
	v_add_co_u32 v24, null, 0x78dde6e4, v10
	s_delay_alu instid0(VALU_DEP_3) | instskip(SKIP_1) | instid1(VALU_DEP_4)
	v_mad_u64_u32 v[7:8], null, 0xcd9e8d57, v3, 0
	v_add_co_u32 v25, null, 0xed9eba14, v9
	v_xor3_b32 v3, v19, v6, v0
	v_add_co_u32 v27, null, 0xa9066899, v9
	v_add_co_u32 v29, null, 0x1715609d, v10
	v_xor3_b32 v8, v20, v8, v5
	s_delay_alu instid0(VALU_DEP_4) | instskip(SKIP_1) | instid1(VALU_DEP_3)
	v_mad_u64_u32 v[0:1], null, 0xd2511f53, v3, 0
	v_add_co_u32 v30, null, 0xb54cda56, v10
	v_mad_u64_u32 v[5:6], null, 0xd2511f53, v8, 0
	v_add_co_u32 v32, null, 0x646e171e, v9
	s_delay_alu instid0(VALU_DEP_4) | instskip(SKIP_2) | instid1(VALU_DEP_4)
	v_xor3_b32 v3, v21, v1, v4
	s_load_b256 s[4:11], s[0:1], 0x30
	v_add_co_u32 v33, null, 0x1fd5c5a3, v9
	v_xor3_b32 v6, v22, v6, v0
	s_delay_alu instid0(VALU_DEP_3) | instskip(SKIP_1) | instid1(VALU_DEP_3)
	v_mad_u64_u32 v[0:1], null, 0xcd9e8d57, v3, 0
	v_add_co_u32 v28, null, 0x5384540f, v10
	v_mad_u64_u32 v[3:4], null, 0xcd9e8d57, v6, 0
	v_add_co_u32 v31, null, 0xf1bbcdc8, v10
	s_delay_alu instid0(VALU_DEP_4)
	v_xor3_b32 v6, v23, v1, v7
	s_add_u32 s12, s0, 48
	s_addc_u32 s13, s1, 0
	s_clause 0x1
	s_load_b64 s[14:15], s[0:1], 0xf4
	s_load_b64 s[18:19], s[0:1], 0x138
	v_xor3_b32 v4, v24, v4, v0
	v_mad_u64_u32 v[0:1], null, 0xd2511f53, v6, 0
	v_add_co_u32 v34, null, 0xdb3d7428, v9
	s_delay_alu instid0(VALU_DEP_3) | instskip(SKIP_3) | instid1(VALU_DEP_4)
	v_mad_u64_u32 v[6:7], null, 0xd2511f53, v4, 0
	s_waitcnt lgkmcnt(0)
	s_add_i32 s20, s4, -1
	v_dual_mov_b32 v37, v12 :: v_dual_add_nc_u32 v36, 0x96a522ad, v11
	v_xor3_b32 v2, v25, v1, v5
	s_cmp_gt_u32 s20, 1
	v_dual_mov_b32 v38, v13 :: v_dual_add_nc_u32 v35, 0x8ff34781, v10
	s_delay_alu instid0(VALU_DEP_4) | instskip(NEXT) | instid1(VALU_DEP_3)
	v_xor3_b32 v7, v27, v7, v0
	v_mad_u64_u32 v[0:1], null, 0xcd9e8d57, v2, 0
	s_cselect_b32 s11, -1, 0
	s_cmp_lg_u32 s4, 0
	s_delay_alu instid0(VALU_DEP_2) | instskip(SKIP_2) | instid1(VALU_DEP_2)
	v_mad_u64_u32 v[4:5], null, 0xcd9e8d57, v7, 0
	s_cselect_b32 s27, -1, 0
	s_add_u32 s0, s0, 0xf4
	v_xor3_b32 v2, v29, v1, v3
	s_addc_u32 s1, s1, 0
	s_min_u32 s21, s20, 15
	s_cmp_gt_u32 s4, 1
	s_delay_alu instid0(VALU_DEP_2) | instskip(SKIP_3) | instid1(VALU_DEP_2)
	v_xor3_b32 v5, v30, v5, v0
	v_mad_u64_u32 v[0:1], null, 0xd2511f53, v2, 0
	s_cselect_b32 s4, -1, 0
	s_add_i32 s21, s21, 1
	v_mad_u64_u32 v[2:3], null, 0xd2511f53, v5, 0
	s_and_b32 s28, s21, 3
	s_cmp_lg_u32 s20, 2
	s_delay_alu instid0(VALU_DEP_2) | instskip(SKIP_3) | instid1(VALU_DEP_2)
	v_xor3_b32 v5, v32, v1, v6
	s_cselect_b32 s29, -1, 0
	s_and_b32 s30, s21, 28
	s_cmp_lg_u32 s28, 0
	v_xor3_b32 v3, v33, v3, v0
	v_mad_u64_u32 v[0:1], null, 0xcd9e8d57, v5, 0
	s_mov_b32 s26, 0
	s_cselect_b32 s31, -1, 0
	s_delay_alu instid0(VALU_DEP_2) | instskip(NEXT) | instid1(VALU_DEP_2)
	v_mad_u64_u32 v[5:6], null, 0xcd9e8d57, v3, 0
	v_xor3_b32 v3, v28, v1, v4
	s_delay_alu instid0(VALU_DEP_2) | instskip(NEXT) | instid1(VALU_DEP_2)
	v_xor3_b32 v5, v31, v6, v0
	v_mad_u64_u32 v[0:1], null, 0xd2511f53, v3, 0
	s_delay_alu instid0(VALU_DEP_2) | instskip(NEXT) | instid1(VALU_DEP_2)
	v_mad_u64_u32 v[3:4], null, 0xd2511f53, v5, 0
	v_xor3_b32 v5, v34, v1, v2
	s_delay_alu instid0(VALU_DEP_1) | instskip(NEXT) | instid1(VALU_DEP_3)
	v_mad_u64_u32 v[1:2], null, 0xcd9e8d57, v5, 0
	v_xor3_b32 v2, v4, v0, v36
	s_branch .LBB57_9
.LBB57_7:                               ;   in Loop: Header=BB57_9 Depth=1
	global_store_b32 v1, v3, s[18:19]
.LBB57_8:                               ;   in Loop: Header=BB57_9 Depth=1
	s_or_b32 exec_lo, exec_lo, s33
	v_add_co_u32 v12, vcc_lo, v12, s25
	v_add_co_ci_u32_e32 v13, vcc_lo, 0, v13, vcc_lo
	v_mov_b32_e32 v6, v14
	v_mov_b32_e32 v0, v3
	v_dual_mov_b32 v1, v4 :: v_dual_mov_b32 v2, v5
	s_delay_alu instid0(VALU_DEP_4) | instskip(NEXT) | instid1(VALU_DEP_4)
	v_cmp_le_i64_e32 vcc_lo, s[2:3], v[12:13]
	v_mov_b32_e32 v3, v6
	s_waitcnt_vscnt null, 0x0
	s_barrier
	buffer_gl0_inv
	s_or_b32 s26, vcc_lo, s26
	s_delay_alu instid0(SALU_CYCLE_1)
	s_and_not1_b32 exec_lo, exec_lo, s26
	s_cbranch_execz .LBB57_48
.LBB57_9:                               ; =>This Loop Header: Depth=1
                                        ;     Child Loop BB57_24 Depth 2
                                        ;     Child Loop BB57_29 Depth 2
	;; [unrolled: 1-line block ×4, first 2 shown]
	v_add_co_u32 v16, vcc_lo, v16, 1
	s_delay_alu instid0(VALU_DEP_1) | instskip(SKIP_1) | instid1(VALU_DEP_3)
	v_cndmask_b32_e64 v0, 0, 1, vcc_lo
	v_add_co_ci_u32_e32 v17, vcc_lo, 0, v17, vcc_lo
	v_mad_u64_u32 v[4:5], null, 0xd2511f53, v16, 0
	s_mov_b32 s20, exec_lo
	s_delay_alu instid0(VALU_DEP_2) | instskip(SKIP_1) | instid1(VALU_DEP_1)
	v_cmp_eq_u32_e32 vcc_lo, 0, v17
	v_cndmask_b32_e32 v0, 0, v0, vcc_lo
	v_add_nc_u32_e32 v37, v0, v37
	s_delay_alu instid0(VALU_DEP_1) | instskip(SKIP_2) | instid1(VALU_DEP_2)
	v_cmp_eq_u32_e32 vcc_lo, 0, v37
	v_cndmask_b32_e32 v0, 0, v0, vcc_lo
	v_mad_u64_u32 v[6:7], null, 0xcd9e8d57, v37, 0
	v_add_nc_u32_e32 v38, v0, v38
	v_xor_b32_e32 v0, v5, v11
	s_delay_alu instid0(VALU_DEP_3) | instskip(NEXT) | instid1(VALU_DEP_2)
	v_xor3_b32 v5, v7, v10, v17
	v_xor_b32_e32 v0, v38, v0
	s_delay_alu instid0(VALU_DEP_2) | instskip(NEXT) | instid1(VALU_DEP_2)
	v_mad_u64_u32 v[7:8], null, 0xd2511f53, v5, 0
	v_mad_u64_u32 v[14:15], null, 0xcd9e8d57, v0, 0
	s_delay_alu instid0(VALU_DEP_2) | instskip(NEXT) | instid1(VALU_DEP_2)
	v_xor3_b32 v0, v18, v8, v4
	v_xor3_b32 v6, v19, v15, v6
	s_delay_alu instid0(VALU_DEP_2) | instskip(NEXT) | instid1(VALU_DEP_2)
	v_mad_u64_u32 v[4:5], null, 0xcd9e8d57, v0, 0
	v_mad_u64_u32 v[8:9], null, 0xd2511f53, v6, 0
	s_delay_alu instid0(VALU_DEP_2) | instskip(NEXT) | instid1(VALU_DEP_2)
	v_xor3_b32 v0, v20, v5, v14
	v_xor3_b32 v7, v21, v9, v7
	;; [unrolled: 6-line block ×9, first 2 shown]
	s_delay_alu instid0(VALU_DEP_2)
	v_mov_b32_e32 v5, v8
	v_cmpx_lt_i32_e32 1, v26
	s_xor_b32 s20, exec_lo, s20
	s_cbranch_execnz .LBB57_12
; %bb.10:                               ;   in Loop: Header=BB57_9 Depth=1
	s_and_not1_saveexec_b32 s20, s20
	s_cbranch_execnz .LBB57_17
.LBB57_11:                              ;   in Loop: Header=BB57_9 Depth=1
	s_or_b32 exec_lo, exec_lo, s20
	s_delay_alu instid0(SALU_CYCLE_1)
	s_mov_b32 s33, exec_lo
	v_cmpx_gt_i64_e64 s[16:17], v[12:13]
	s_cbranch_execnz .LBB57_20
	s_branch .LBB57_34
.LBB57_12:                              ;   in Loop: Header=BB57_9 Depth=1
	s_mov_b32 s21, exec_lo
	v_cmpx_lt_i32_e32 2, v26
	s_xor_b32 s21, exec_lo, s21
; %bb.13:                               ;   in Loop: Header=BB57_9 Depth=1
	v_dual_mov_b32 v0, v5 :: v_dual_mov_b32 v1, v6
	v_dual_mov_b32 v2, v7 :: v_dual_mov_b32 v3, v8
; %bb.14:                               ;   in Loop: Header=BB57_9 Depth=1
	s_and_not1_saveexec_b32 s21, s21
; %bb.15:                               ;   in Loop: Header=BB57_9 Depth=1
	s_delay_alu instid0(VALU_DEP_1)
	v_mov_b32_e32 v1, v3
	v_mov_b32_e32 v3, v4
; %bb.16:                               ;   in Loop: Header=BB57_9 Depth=1
	s_or_b32 exec_lo, exec_lo, s21
                                        ; implicit-def: $vgpr6_vgpr7_vgpr8_vgpr9
	s_and_not1_saveexec_b32 s20, s20
	s_cbranch_execz .LBB57_11
.LBB57_17:                              ;   in Loop: Header=BB57_9 Depth=1
	s_mov_b32 s21, exec_lo
	v_cmpx_eq_u32_e32 1, v26
; %bb.18:                               ;   in Loop: Header=BB57_9 Depth=1
	v_mov_b32_e32 v1, v2
	v_mov_b32_e32 v3, v6
; %bb.19:                               ;   in Loop: Header=BB57_9 Depth=1
	s_or_b32 exec_lo, exec_lo, s21
	s_delay_alu instid0(SALU_CYCLE_1) | instskip(NEXT) | instid1(SALU_CYCLE_1)
	s_or_b32 exec_lo, exec_lo, s20
	s_mov_b32 s33, exec_lo
	v_cmpx_gt_i64_e64 s[16:17], v[12:13]
	s_cbranch_execz .LBB57_34
.LBB57_20:                              ;   in Loop: Header=BB57_9 Depth=1
	s_and_not1_b32 vcc_lo, exec_lo, s11
	s_cbranch_vccnz .LBB57_26
; %bb.21:                               ;   in Loop: Header=BB57_9 Depth=1
	v_mov_b32_e32 v0, 0
	s_and_not1_b32 vcc_lo, exec_lo, s27
	s_cbranch_vccnz .LBB57_30
; %bb.22:                               ;   in Loop: Header=BB57_9 Depth=1
	s_and_not1_b32 vcc_lo, exec_lo, s29
	s_mov_b32 s20, 0
	s_cbranch_vccnz .LBB57_27
; %bb.23:                               ;   in Loop: Header=BB57_9 Depth=1
	v_mov_b32_e32 v0, 0
	v_mov_b32_e32 v2, v12
	s_mov_b32 s34, 0
	s_mov_b64 s[20:21], s[12:13]
	s_mov_b64 s[22:23], s[0:1]
.LBB57_24:                              ;   Parent Loop BB57_9 Depth=1
                                        ; =>  This Inner Loop Header: Depth=2
	s_clause 0x1
	s_load_b256 s[36:43], s[20:21], 0x4
	s_load_b128 s[44:47], s[20:21], 0x24
	s_load_b128 s[48:51], s[22:23], 0x0
	s_add_u32 s20, s20, 48
	s_addc_u32 s21, s21, 0
	s_add_i32 s34, s34, 4
	s_add_u32 s22, s22, 16
	s_addc_u32 s23, s23, 0
	s_cmp_lg_u32 s30, s34
	s_waitcnt lgkmcnt(0)
	v_mul_hi_u32 v6, s37, v2
	s_delay_alu instid0(VALU_DEP_1) | instskip(NEXT) | instid1(VALU_DEP_1)
	v_add_nc_u32_e32 v6, v2, v6
	v_lshrrev_b32_e32 v6, s38, v6
	s_delay_alu instid0(VALU_DEP_1) | instskip(SKIP_1) | instid1(VALU_DEP_2)
	v_mul_hi_u32 v7, s40, v6
	v_mul_lo_u32 v15, v6, s36
	v_add_nc_u32_e32 v7, v6, v7
	s_delay_alu instid0(VALU_DEP_2) | instskip(NEXT) | instid1(VALU_DEP_2)
	v_sub_nc_u32_e32 v15, v2, v15
	v_lshrrev_b32_e32 v7, s41, v7
	s_delay_alu instid0(VALU_DEP_2) | instskip(NEXT) | instid1(VALU_DEP_2)
	v_mul_lo_u32 v15, v15, s48
	v_mul_hi_u32 v8, s43, v7
	v_mul_lo_u32 v39, v7, s39
	s_delay_alu instid0(VALU_DEP_2) | instskip(NEXT) | instid1(VALU_DEP_2)
	v_add_nc_u32_e32 v8, v7, v8
	v_sub_nc_u32_e32 v6, v6, v39
	s_delay_alu instid0(VALU_DEP_2) | instskip(NEXT) | instid1(VALU_DEP_2)
	v_lshrrev_b32_e32 v8, s44, v8
	v_mul_lo_u32 v6, v6, s49
	s_delay_alu instid0(VALU_DEP_2) | instskip(NEXT) | instid1(VALU_DEP_2)
	v_mul_hi_u32 v9, s46, v8
	v_add3_u32 v0, v15, v0, v6
	s_delay_alu instid0(VALU_DEP_2) | instskip(NEXT) | instid1(VALU_DEP_1)
	v_add_nc_u32_e32 v9, v8, v9
	v_lshrrev_b32_e32 v2, s47, v9
	v_mul_lo_u32 v9, v8, s42
	s_delay_alu instid0(VALU_DEP_2) | instskip(NEXT) | instid1(VALU_DEP_2)
	v_mul_lo_u32 v40, v2, s45
	v_sub_nc_u32_e32 v7, v7, v9
	s_delay_alu instid0(VALU_DEP_2) | instskip(NEXT) | instid1(VALU_DEP_2)
	v_sub_nc_u32_e32 v8, v8, v40
	v_mul_lo_u32 v7, v7, s50
	s_delay_alu instid0(VALU_DEP_2) | instskip(NEXT) | instid1(VALU_DEP_1)
	v_mul_lo_u32 v8, v8, s51
	v_add3_u32 v0, v7, v0, v8
	s_cbranch_scc1 .LBB57_24
; %bb.25:                               ;   in Loop: Header=BB57_9 Depth=1
	s_mov_b32 s20, s30
	s_and_not1_b32 vcc_lo, exec_lo, s31
	s_cbranch_vccz .LBB57_28
	s_branch .LBB57_30
.LBB57_26:                              ;   in Loop: Header=BB57_9 Depth=1
                                        ; implicit-def: $vgpr0
	s_branch .LBB57_31
.LBB57_27:                              ;   in Loop: Header=BB57_9 Depth=1
	v_mov_b32_e32 v2, v12
	s_and_not1_b32 vcc_lo, exec_lo, s31
	s_cbranch_vccnz .LBB57_30
.LBB57_28:                              ;   in Loop: Header=BB57_9 Depth=1
	s_lshl_b32 s21, s20, 2
	s_mul_i32 s22, s20, 12
	s_add_u32 s20, s0, s21
	s_addc_u32 s21, s1, 0
	s_add_u32 s22, s12, s22
	s_addc_u32 s23, s13, 0
	s_mov_b32 s34, s28
	.p2align	6
.LBB57_29:                              ;   Parent Loop BB57_9 Depth=1
                                        ; =>  This Inner Loop Header: Depth=2
	s_clause 0x1
	s_load_b64 s[36:37], s[22:23], 0x4
	s_load_b32 s35, s[22:23], 0xc
	s_add_u32 s22, s22, 12
	s_addc_u32 s23, s23, 0
	s_waitcnt lgkmcnt(0)
	v_mul_hi_u32 v6, s37, v2
	s_load_b32 s37, s[20:21], 0x0
	s_add_u32 s20, s20, 4
	s_addc_u32 s21, s21, 0
	s_add_i32 s34, s34, -1
	s_delay_alu instid0(SALU_CYCLE_1) | instskip(NEXT) | instid1(VALU_DEP_1)
	s_cmp_lg_u32 s34, 0
	v_add_nc_u32_e32 v6, v2, v6
	s_delay_alu instid0(VALU_DEP_1) | instskip(NEXT) | instid1(VALU_DEP_1)
	v_lshrrev_b32_e32 v8, s35, v6
	v_mul_lo_u32 v6, v8, s36
	s_delay_alu instid0(VALU_DEP_1) | instskip(SKIP_1) | instid1(VALU_DEP_1)
	v_sub_nc_u32_e32 v2, v2, v6
	s_waitcnt lgkmcnt(0)
	v_mad_u64_u32 v[6:7], null, v2, s37, v[0:1]
	v_mov_b32_e32 v2, v8
	s_delay_alu instid0(VALU_DEP_2)
	v_mov_b32_e32 v0, v6
	s_cbranch_scc1 .LBB57_29
.LBB57_30:                              ;   in Loop: Header=BB57_9 Depth=1
	s_cbranch_execnz .LBB57_33
.LBB57_31:                              ;   in Loop: Header=BB57_9 Depth=1
	v_mul_hi_u32 v0, v12, s6
	s_and_not1_b32 vcc_lo, exec_lo, s4
	s_delay_alu instid0(VALU_DEP_1) | instskip(NEXT) | instid1(VALU_DEP_1)
	v_add_nc_u32_e32 v0, v0, v12
	v_lshrrev_b32_e32 v2, s7, v0
	s_delay_alu instid0(VALU_DEP_1) | instskip(NEXT) | instid1(VALU_DEP_1)
	v_mul_lo_u32 v0, v2, s5
	v_sub_nc_u32_e32 v0, v12, v0
	s_delay_alu instid0(VALU_DEP_1)
	v_mul_lo_u32 v0, v0, s14
	s_cbranch_vccnz .LBB57_33
; %bb.32:                               ;   in Loop: Header=BB57_9 Depth=1
	v_mul_hi_u32 v6, s9, v2
	s_delay_alu instid0(VALU_DEP_1) | instskip(NEXT) | instid1(VALU_DEP_1)
	v_add_nc_u32_e32 v6, v2, v6
	v_lshrrev_b32_e32 v6, s10, v6
	s_delay_alu instid0(VALU_DEP_1) | instskip(NEXT) | instid1(VALU_DEP_1)
	v_mul_lo_u32 v6, v6, s8
	v_sub_nc_u32_e32 v2, v2, v6
	s_delay_alu instid0(VALU_DEP_1) | instskip(NEXT) | instid1(VALU_DEP_1)
	v_mad_u64_u32 v[6:7], null, v2, s15, v[0:1]
	v_mov_b32_e32 v0, v6
.LBB57_33:                              ;   in Loop: Header=BB57_9 Depth=1
	global_store_b32 v0, v1, s[18:19]
.LBB57_34:                              ;   in Loop: Header=BB57_9 Depth=1
	s_or_b32 exec_lo, exec_lo, s33
	v_add_co_u32 v0, vcc_lo, v12, s24
	v_add_co_ci_u32_e32 v1, vcc_lo, 0, v13, vcc_lo
	s_mov_b32 s33, exec_lo
	s_delay_alu instid0(VALU_DEP_1)
	v_cmpx_gt_i64_e64 s[16:17], v[0:1]
	s_cbranch_execz .LBB57_8
; %bb.35:                               ;   in Loop: Header=BB57_9 Depth=1
	s_and_not1_b32 vcc_lo, exec_lo, s11
	s_cbranch_vccnz .LBB57_41
; %bb.36:                               ;   in Loop: Header=BB57_9 Depth=1
	v_mov_b32_e32 v1, 0
	s_and_not1_b32 vcc_lo, exec_lo, s27
	s_cbranch_vccnz .LBB57_45
; %bb.37:                               ;   in Loop: Header=BB57_9 Depth=1
	s_and_not1_b32 vcc_lo, exec_lo, s29
	s_mov_b32 s20, 0
	s_cbranch_vccnz .LBB57_42
; %bb.38:                               ;   in Loop: Header=BB57_9 Depth=1
	v_dual_mov_b32 v1, 0 :: v_dual_mov_b32 v2, v0
	s_mov_b32 s34, 0
	s_mov_b64 s[20:21], s[12:13]
	s_mov_b64 s[22:23], s[0:1]
.LBB57_39:                              ;   Parent Loop BB57_9 Depth=1
                                        ; =>  This Inner Loop Header: Depth=2
	s_clause 0x1
	s_load_b256 s[36:43], s[20:21], 0x4
	s_load_b128 s[44:47], s[20:21], 0x24
	s_load_b128 s[48:51], s[22:23], 0x0
	s_add_u32 s20, s20, 48
	s_addc_u32 s21, s21, 0
	s_add_i32 s34, s34, 4
	s_add_u32 s22, s22, 16
	s_addc_u32 s23, s23, 0
	s_cmp_eq_u32 s30, s34
	s_waitcnt lgkmcnt(0)
	v_mul_hi_u32 v6, s37, v2
	s_delay_alu instid0(VALU_DEP_1) | instskip(NEXT) | instid1(VALU_DEP_1)
	v_add_nc_u32_e32 v6, v2, v6
	v_lshrrev_b32_e32 v6, s38, v6
	s_delay_alu instid0(VALU_DEP_1) | instskip(SKIP_1) | instid1(VALU_DEP_2)
	v_mul_hi_u32 v7, s40, v6
	v_mul_lo_u32 v15, v6, s36
	v_add_nc_u32_e32 v7, v6, v7
	s_delay_alu instid0(VALU_DEP_2) | instskip(NEXT) | instid1(VALU_DEP_2)
	v_sub_nc_u32_e32 v15, v2, v15
	v_lshrrev_b32_e32 v7, s41, v7
	s_delay_alu instid0(VALU_DEP_2) | instskip(NEXT) | instid1(VALU_DEP_2)
	v_mul_lo_u32 v15, v15, s48
	v_mul_hi_u32 v8, s43, v7
	v_mul_lo_u32 v39, v7, s39
	s_delay_alu instid0(VALU_DEP_2) | instskip(NEXT) | instid1(VALU_DEP_2)
	v_add_nc_u32_e32 v8, v7, v8
	v_sub_nc_u32_e32 v6, v6, v39
	s_delay_alu instid0(VALU_DEP_2) | instskip(NEXT) | instid1(VALU_DEP_2)
	v_lshrrev_b32_e32 v8, s44, v8
	v_mul_lo_u32 v6, v6, s49
	s_delay_alu instid0(VALU_DEP_2) | instskip(NEXT) | instid1(VALU_DEP_2)
	v_mul_hi_u32 v9, s46, v8
	v_add3_u32 v1, v15, v1, v6
	s_delay_alu instid0(VALU_DEP_2) | instskip(NEXT) | instid1(VALU_DEP_1)
	v_add_nc_u32_e32 v9, v8, v9
	v_lshrrev_b32_e32 v2, s47, v9
	v_mul_lo_u32 v9, v8, s42
	s_delay_alu instid0(VALU_DEP_2) | instskip(NEXT) | instid1(VALU_DEP_2)
	v_mul_lo_u32 v40, v2, s45
	v_sub_nc_u32_e32 v7, v7, v9
	s_delay_alu instid0(VALU_DEP_2) | instskip(NEXT) | instid1(VALU_DEP_2)
	v_sub_nc_u32_e32 v8, v8, v40
	v_mul_lo_u32 v7, v7, s50
	s_delay_alu instid0(VALU_DEP_2) | instskip(NEXT) | instid1(VALU_DEP_1)
	v_mul_lo_u32 v8, v8, s51
	v_add3_u32 v1, v7, v1, v8
	s_cbranch_scc0 .LBB57_39
; %bb.40:                               ;   in Loop: Header=BB57_9 Depth=1
	s_mov_b32 s20, s30
	s_and_not1_b32 vcc_lo, exec_lo, s31
	s_cbranch_vccz .LBB57_43
	s_branch .LBB57_45
.LBB57_41:                              ;   in Loop: Header=BB57_9 Depth=1
                                        ; implicit-def: $vgpr1
	s_branch .LBB57_46
.LBB57_42:                              ;   in Loop: Header=BB57_9 Depth=1
	v_mov_b32_e32 v2, v0
	s_and_not1_b32 vcc_lo, exec_lo, s31
	s_cbranch_vccnz .LBB57_45
.LBB57_43:                              ;   in Loop: Header=BB57_9 Depth=1
	s_lshl_b32 s21, s20, 2
	s_mul_i32 s22, s20, 12
	s_add_u32 s20, s0, s21
	s_addc_u32 s21, s1, 0
	s_add_u32 s22, s12, s22
	s_addc_u32 s23, s13, 0
	s_mov_b32 s34, s28
	.p2align	6
.LBB57_44:                              ;   Parent Loop BB57_9 Depth=1
                                        ; =>  This Inner Loop Header: Depth=2
	s_clause 0x1
	s_load_b64 s[36:37], s[22:23], 0x4
	s_load_b32 s35, s[22:23], 0xc
	s_add_u32 s22, s22, 12
	s_addc_u32 s23, s23, 0
	s_waitcnt lgkmcnt(0)
	v_mul_hi_u32 v6, s37, v2
	s_load_b32 s37, s[20:21], 0x0
	s_add_u32 s20, s20, 4
	s_addc_u32 s21, s21, 0
	s_add_i32 s34, s34, -1
	s_delay_alu instid0(SALU_CYCLE_1) | instskip(NEXT) | instid1(VALU_DEP_1)
	s_cmp_lg_u32 s34, 0
	v_add_nc_u32_e32 v6, v2, v6
	s_delay_alu instid0(VALU_DEP_1) | instskip(NEXT) | instid1(VALU_DEP_1)
	v_lshrrev_b32_e32 v8, s35, v6
	v_mul_lo_u32 v6, v8, s36
	s_delay_alu instid0(VALU_DEP_1) | instskip(SKIP_1) | instid1(VALU_DEP_1)
	v_sub_nc_u32_e32 v2, v2, v6
	s_waitcnt lgkmcnt(0)
	v_mad_u64_u32 v[6:7], null, v2, s37, v[1:2]
	s_delay_alu instid0(VALU_DEP_1)
	v_dual_mov_b32 v2, v8 :: v_dual_mov_b32 v1, v6
	s_cbranch_scc1 .LBB57_44
.LBB57_45:                              ;   in Loop: Header=BB57_9 Depth=1
	s_cbranch_execnz .LBB57_7
.LBB57_46:                              ;   in Loop: Header=BB57_9 Depth=1
	v_mul_hi_u32 v1, v0, s6
	s_and_not1_b32 vcc_lo, exec_lo, s4
	s_delay_alu instid0(VALU_DEP_1) | instskip(NEXT) | instid1(VALU_DEP_1)
	v_add_nc_u32_e32 v1, v1, v0
	v_lshrrev_b32_e32 v2, s7, v1
	s_delay_alu instid0(VALU_DEP_1) | instskip(NEXT) | instid1(VALU_DEP_1)
	v_mul_lo_u32 v1, v2, s5
	v_sub_nc_u32_e32 v0, v0, v1
	s_delay_alu instid0(VALU_DEP_1)
	v_mul_lo_u32 v1, v0, s14
	s_cbranch_vccnz .LBB57_7
; %bb.47:                               ;   in Loop: Header=BB57_9 Depth=1
	v_mul_hi_u32 v0, s9, v2
	s_delay_alu instid0(VALU_DEP_1) | instskip(NEXT) | instid1(VALU_DEP_1)
	v_add_nc_u32_e32 v0, v2, v0
	v_lshrrev_b32_e32 v0, s10, v0
	s_delay_alu instid0(VALU_DEP_1) | instskip(NEXT) | instid1(VALU_DEP_1)
	v_mul_lo_u32 v0, v0, s8
	v_sub_nc_u32_e32 v0, v2, v0
	s_delay_alu instid0(VALU_DEP_1) | instskip(NEXT) | instid1(VALU_DEP_1)
	v_mad_u64_u32 v[6:7], null, v0, s15, v[1:2]
	v_mov_b32_e32 v1, v6
	s_branch .LBB57_7
.LBB57_48:
	s_endpgm
.LBB57_49:
                                        ; implicit-def: $sgpr2_sgpr3
	s_branch .LBB57_4
	.section	.rodata,"a",@progbits
	.p2align	6, 0x0
	.amdhsa_kernel _ZN2at6native12_GLOBAL__N_143distribution_elementwise_grid_stride_kernelImLi2EZZZNS0_9templates4cuda32random_full_64_bits_range_kernelIPNS_17CUDAGeneratorImplEEEvRNS_18TensorIteratorBaseET_ENKUlvE_clEvENKUlvE1_clEvEUlP25hiprandStatePhilox4_32_10E_ZNS1_27distribution_nullary_kernelIim15HIP_vector_typeIyLj2EES7_SF_ZZZNS5_IS7_EEvS9_SA_ENKSB_clEvENKSC_clEvEUlmE_EEvS9_T2_RKT3_T4_EUlimE0_EEvlNS_15PhiloxCudaStateET1_SK_
		.amdhsa_group_segment_fixed_size 0
		.amdhsa_private_segment_fixed_size 0
		.amdhsa_kernarg_size 584
		.amdhsa_user_sgpr_count 15
		.amdhsa_user_sgpr_dispatch_ptr 0
		.amdhsa_user_sgpr_queue_ptr 0
		.amdhsa_user_sgpr_kernarg_segment_ptr 1
		.amdhsa_user_sgpr_dispatch_id 0
		.amdhsa_user_sgpr_private_segment_size 0
		.amdhsa_wavefront_size32 1
		.amdhsa_uses_dynamic_stack 0
		.amdhsa_enable_private_segment 0
		.amdhsa_system_sgpr_workgroup_id_x 1
		.amdhsa_system_sgpr_workgroup_id_y 0
		.amdhsa_system_sgpr_workgroup_id_z 0
		.amdhsa_system_sgpr_workgroup_info 0
		.amdhsa_system_vgpr_workitem_id 0
		.amdhsa_next_free_vgpr 41
		.amdhsa_next_free_sgpr 52
		.amdhsa_reserve_vcc 1
		.amdhsa_float_round_mode_32 0
		.amdhsa_float_round_mode_16_64 0
		.amdhsa_float_denorm_mode_32 3
		.amdhsa_float_denorm_mode_16_64 3
		.amdhsa_dx10_clamp 1
		.amdhsa_ieee_mode 1
		.amdhsa_fp16_overflow 0
		.amdhsa_workgroup_processor_mode 1
		.amdhsa_memory_ordered 1
		.amdhsa_forward_progress 0
		.amdhsa_shared_vgpr_count 0
		.amdhsa_exception_fp_ieee_invalid_op 0
		.amdhsa_exception_fp_denorm_src 0
		.amdhsa_exception_fp_ieee_div_zero 0
		.amdhsa_exception_fp_ieee_overflow 0
		.amdhsa_exception_fp_ieee_underflow 0
		.amdhsa_exception_fp_ieee_inexact 0
		.amdhsa_exception_int_div_zero 0
	.end_amdhsa_kernel
	.section	.text._ZN2at6native12_GLOBAL__N_143distribution_elementwise_grid_stride_kernelImLi2EZZZNS0_9templates4cuda32random_full_64_bits_range_kernelIPNS_17CUDAGeneratorImplEEEvRNS_18TensorIteratorBaseET_ENKUlvE_clEvENKUlvE1_clEvEUlP25hiprandStatePhilox4_32_10E_ZNS1_27distribution_nullary_kernelIim15HIP_vector_typeIyLj2EES7_SF_ZZZNS5_IS7_EEvS9_SA_ENKSB_clEvENKSC_clEvEUlmE_EEvS9_T2_RKT3_T4_EUlimE0_EEvlNS_15PhiloxCudaStateET1_SK_,"axG",@progbits,_ZN2at6native12_GLOBAL__N_143distribution_elementwise_grid_stride_kernelImLi2EZZZNS0_9templates4cuda32random_full_64_bits_range_kernelIPNS_17CUDAGeneratorImplEEEvRNS_18TensorIteratorBaseET_ENKUlvE_clEvENKUlvE1_clEvEUlP25hiprandStatePhilox4_32_10E_ZNS1_27distribution_nullary_kernelIim15HIP_vector_typeIyLj2EES7_SF_ZZZNS5_IS7_EEvS9_SA_ENKSB_clEvENKSC_clEvEUlmE_EEvS9_T2_RKT3_T4_EUlimE0_EEvlNS_15PhiloxCudaStateET1_SK_,comdat
.Lfunc_end57:
	.size	_ZN2at6native12_GLOBAL__N_143distribution_elementwise_grid_stride_kernelImLi2EZZZNS0_9templates4cuda32random_full_64_bits_range_kernelIPNS_17CUDAGeneratorImplEEEvRNS_18TensorIteratorBaseET_ENKUlvE_clEvENKUlvE1_clEvEUlP25hiprandStatePhilox4_32_10E_ZNS1_27distribution_nullary_kernelIim15HIP_vector_typeIyLj2EES7_SF_ZZZNS5_IS7_EEvS9_SA_ENKSB_clEvENKSC_clEvEUlmE_EEvS9_T2_RKT3_T4_EUlimE0_EEvlNS_15PhiloxCudaStateET1_SK_, .Lfunc_end57-_ZN2at6native12_GLOBAL__N_143distribution_elementwise_grid_stride_kernelImLi2EZZZNS0_9templates4cuda32random_full_64_bits_range_kernelIPNS_17CUDAGeneratorImplEEEvRNS_18TensorIteratorBaseET_ENKUlvE_clEvENKUlvE1_clEvEUlP25hiprandStatePhilox4_32_10E_ZNS1_27distribution_nullary_kernelIim15HIP_vector_typeIyLj2EES7_SF_ZZZNS5_IS7_EEvS9_SA_ENKSB_clEvENKSC_clEvEUlmE_EEvS9_T2_RKT3_T4_EUlimE0_EEvlNS_15PhiloxCudaStateET1_SK_
                                        ; -- End function
	.section	.AMDGPU.csdata,"",@progbits
; Kernel info:
; codeLenInByte = 3776
; NumSgprs: 54
; NumVgprs: 41
; ScratchSize: 0
; MemoryBound: 0
; FloatMode: 240
; IeeeMode: 1
; LDSByteSize: 0 bytes/workgroup (compile time only)
; SGPRBlocks: 6
; VGPRBlocks: 5
; NumSGPRsForWavesPerEU: 54
; NumVGPRsForWavesPerEU: 41
; Occupancy: 16
; WaveLimiterHint : 1
; COMPUTE_PGM_RSRC2:SCRATCH_EN: 0
; COMPUTE_PGM_RSRC2:USER_SGPR: 15
; COMPUTE_PGM_RSRC2:TRAP_HANDLER: 0
; COMPUTE_PGM_RSRC2:TGID_X_EN: 1
; COMPUTE_PGM_RSRC2:TGID_Y_EN: 0
; COMPUTE_PGM_RSRC2:TGID_Z_EN: 0
; COMPUTE_PGM_RSRC2:TIDIG_COMP_CNT: 0
	.section	.text._ZN2at6native12_GLOBAL__N_143distribution_elementwise_grid_stride_kernelImLi2EZZZNS0_9templates4cuda32random_full_64_bits_range_kernelIPNS_17CUDAGeneratorImplEEEvRNS_18TensorIteratorBaseET_ENKUlvE_clEvENKUlvE2_clEvEUlP25hiprandStatePhilox4_32_10E_ZNS1_27distribution_nullary_kernelIlm15HIP_vector_typeIyLj2EES7_SF_ZZZNS5_IS7_EEvS9_SA_ENKSB_clEvENKSC_clEvEUlmE_EEvS9_T2_RKT3_T4_EUlimE_EEvlNS_15PhiloxCudaStateET1_SK_,"axG",@progbits,_ZN2at6native12_GLOBAL__N_143distribution_elementwise_grid_stride_kernelImLi2EZZZNS0_9templates4cuda32random_full_64_bits_range_kernelIPNS_17CUDAGeneratorImplEEEvRNS_18TensorIteratorBaseET_ENKUlvE_clEvENKUlvE2_clEvEUlP25hiprandStatePhilox4_32_10E_ZNS1_27distribution_nullary_kernelIlm15HIP_vector_typeIyLj2EES7_SF_ZZZNS5_IS7_EEvS9_SA_ENKSB_clEvENKSC_clEvEUlmE_EEvS9_T2_RKT3_T4_EUlimE_EEvlNS_15PhiloxCudaStateET1_SK_,comdat
	.globl	_ZN2at6native12_GLOBAL__N_143distribution_elementwise_grid_stride_kernelImLi2EZZZNS0_9templates4cuda32random_full_64_bits_range_kernelIPNS_17CUDAGeneratorImplEEEvRNS_18TensorIteratorBaseET_ENKUlvE_clEvENKUlvE2_clEvEUlP25hiprandStatePhilox4_32_10E_ZNS1_27distribution_nullary_kernelIlm15HIP_vector_typeIyLj2EES7_SF_ZZZNS5_IS7_EEvS9_SA_ENKSB_clEvENKSC_clEvEUlmE_EEvS9_T2_RKT3_T4_EUlimE_EEvlNS_15PhiloxCudaStateET1_SK_ ; -- Begin function _ZN2at6native12_GLOBAL__N_143distribution_elementwise_grid_stride_kernelImLi2EZZZNS0_9templates4cuda32random_full_64_bits_range_kernelIPNS_17CUDAGeneratorImplEEEvRNS_18TensorIteratorBaseET_ENKUlvE_clEvENKUlvE2_clEvEUlP25hiprandStatePhilox4_32_10E_ZNS1_27distribution_nullary_kernelIlm15HIP_vector_typeIyLj2EES7_SF_ZZZNS5_IS7_EEvS9_SA_ENKSB_clEvENKSC_clEvEUlmE_EEvS9_T2_RKT3_T4_EUlimE_EEvlNS_15PhiloxCudaStateET1_SK_
	.p2align	8
	.type	_ZN2at6native12_GLOBAL__N_143distribution_elementwise_grid_stride_kernelImLi2EZZZNS0_9templates4cuda32random_full_64_bits_range_kernelIPNS_17CUDAGeneratorImplEEEvRNS_18TensorIteratorBaseET_ENKUlvE_clEvENKUlvE2_clEvEUlP25hiprandStatePhilox4_32_10E_ZNS1_27distribution_nullary_kernelIlm15HIP_vector_typeIyLj2EES7_SF_ZZZNS5_IS7_EEvS9_SA_ENKSB_clEvENKSC_clEvEUlmE_EEvS9_T2_RKT3_T4_EUlimE_EEvlNS_15PhiloxCudaStateET1_SK_,@function
_ZN2at6native12_GLOBAL__N_143distribution_elementwise_grid_stride_kernelImLi2EZZZNS0_9templates4cuda32random_full_64_bits_range_kernelIPNS_17CUDAGeneratorImplEEEvRNS_18TensorIteratorBaseET_ENKUlvE_clEvENKUlvE2_clEvEUlP25hiprandStatePhilox4_32_10E_ZNS1_27distribution_nullary_kernelIlm15HIP_vector_typeIyLj2EES7_SF_ZZZNS5_IS7_EEvS9_SA_ENKSB_clEvENKSC_clEvEUlmE_EEvS9_T2_RKT3_T4_EUlimE_EEvlNS_15PhiloxCudaStateET1_SK_: ; @_ZN2at6native12_GLOBAL__N_143distribution_elementwise_grid_stride_kernelImLi2EZZZNS0_9templates4cuda32random_full_64_bits_range_kernelIPNS_17CUDAGeneratorImplEEEvRNS_18TensorIteratorBaseET_ENKUlvE_clEvENKUlvE2_clEvEUlP25hiprandStatePhilox4_32_10E_ZNS1_27distribution_nullary_kernelIlm15HIP_vector_typeIyLj2EES7_SF_ZZZNS5_IS7_EEvS9_SA_ENKSB_clEvENKSC_clEvEUlmE_EEvS9_T2_RKT3_T4_EUlimE_EEvlNS_15PhiloxCudaStateET1_SK_
; %bb.0:
	s_clause 0x2
	s_load_b64 s[8:9], s[0:1], 0x10
	s_load_b128 s[4:7], s[0:1], 0x0
	s_load_b32 s2, s[0:1], 0x20
	s_waitcnt lgkmcnt(0)
	v_dual_mov_b32 v2, s8 :: v_dual_mov_b32 v3, s9
	v_dual_mov_b32 v12, s7 :: v_dual_mov_b32 v11, s6
	s_bitcmp0_b32 s2, 0
	s_mov_b32 s2, 0
	s_cbranch_scc1 .LBB58_2
; %bb.1:
	v_dual_mov_b32 v1, s8 :: v_dual_mov_b32 v2, s9
	v_dual_mov_b32 v4, s6 :: v_dual_mov_b32 v5, s7
	s_load_b64 s[6:7], s[0:1], 0x18
	flat_load_b64 v[2:3], v[1:2]
	flat_load_b64 v[11:12], v[4:5]
	s_waitcnt vmcnt(1) lgkmcnt(0)
	v_add_co_u32 v2, vcc_lo, v2, s6
	v_add_co_ci_u32_e32 v3, vcc_lo, s7, v3, vcc_lo
.LBB58_2:
	s_clause 0x1
	s_load_b32 s3, s[0:1], 0x4c
	s_load_b32 s11, s[0:1], 0x40
	s_waitcnt lgkmcnt(0)
	s_and_b32 s10, s3, 0xffff
	s_add_u32 s6, s4, -1
	s_mul_i32 s8, s11, s10
	s_addc_u32 s3, s5, -1
	s_lshl_b32 s9, s8, 1
	s_cmp_lg_u64 s[2:3], 0
	s_cbranch_scc0 .LBB58_23
; %bb.3:
	v_cvt_f32_ubyte0_e32 v1, 0
	v_cvt_f32_u32_e32 v4, s9
	s_sub_u32 s12, 0, s9
	s_subb_u32 s13, 0, 0
	s_delay_alu instid0(VALU_DEP_1) | instskip(NEXT) | instid1(VALU_DEP_1)
	v_fmamk_f32 v1, v1, 0x4f800000, v4
	v_rcp_f32_e32 v1, v1
	s_waitcnt_depctr 0xfff
	v_mul_f32_e32 v1, 0x5f7ffffc, v1
	s_delay_alu instid0(VALU_DEP_1) | instskip(NEXT) | instid1(VALU_DEP_1)
	v_mul_f32_e32 v4, 0x2f800000, v1
	v_trunc_f32_e32 v4, v4
	s_delay_alu instid0(VALU_DEP_1) | instskip(SKIP_1) | instid1(VALU_DEP_2)
	v_fmamk_f32 v1, v4, 0xcf800000, v1
	v_cvt_u32_f32_e32 v4, v4
	v_cvt_u32_f32_e32 v1, v1
	s_delay_alu instid0(VALU_DEP_2) | instskip(NEXT) | instid1(VALU_DEP_2)
	v_readfirstlane_b32 s2, v4
	v_readfirstlane_b32 s7, v1
	s_delay_alu instid0(VALU_DEP_2) | instskip(NEXT) | instid1(VALU_DEP_1)
	s_mul_i32 s14, s12, s2
	s_mul_hi_u32 s17, s12, s7
	s_mul_i32 s16, s13, s7
	s_add_i32 s14, s17, s14
	s_mul_i32 s18, s12, s7
	s_add_i32 s14, s14, s16
	s_mul_hi_u32 s17, s7, s18
	s_mul_hi_u32 s19, s2, s18
	s_mul_i32 s16, s2, s18
	s_mul_hi_u32 s18, s7, s14
	s_mul_i32 s7, s7, s14
	s_mul_hi_u32 s20, s2, s14
	s_add_u32 s7, s17, s7
	s_addc_u32 s17, 0, s18
	s_add_u32 s7, s7, s16
	s_mul_i32 s14, s2, s14
	s_addc_u32 s7, s17, s19
	s_addc_u32 s16, s20, 0
	s_add_u32 s7, s7, s14
	s_addc_u32 s14, 0, s16
	v_add_co_u32 v1, s7, v1, s7
	s_delay_alu instid0(VALU_DEP_1) | instskip(SKIP_1) | instid1(VALU_DEP_1)
	s_cmp_lg_u32 s7, 0
	s_addc_u32 s2, s2, s14
	v_readfirstlane_b32 s7, v1
	s_mul_i32 s14, s12, s2
	s_delay_alu instid0(VALU_DEP_1)
	s_mul_hi_u32 s16, s12, s7
	s_mul_i32 s13, s13, s7
	s_add_i32 s14, s16, s14
	s_mul_i32 s12, s12, s7
	s_add_i32 s14, s14, s13
	s_mul_hi_u32 s16, s2, s12
	s_mul_i32 s17, s2, s12
	s_mul_hi_u32 s12, s7, s12
	s_mul_hi_u32 s18, s7, s14
	s_mul_i32 s7, s7, s14
	s_mul_hi_u32 s13, s2, s14
	s_add_u32 s7, s12, s7
	s_addc_u32 s12, 0, s18
	s_add_u32 s7, s7, s17
	s_mul_i32 s14, s2, s14
	s_addc_u32 s7, s12, s16
	s_addc_u32 s12, s13, 0
	s_add_u32 s7, s7, s14
	s_addc_u32 s12, 0, s12
	v_add_co_u32 v1, s7, v1, s7
	s_delay_alu instid0(VALU_DEP_1) | instskip(SKIP_2) | instid1(VALU_DEP_1)
	s_cmp_lg_u32 s7, 0
	s_addc_u32 s7, s2, s12
	s_ashr_i32 s12, s3, 31
	v_readfirstlane_b32 s14, v1
	s_add_u32 s2, s6, s12
	s_mov_b32 s13, s12
	s_addc_u32 s3, s3, s12
	s_delay_alu instid0(SALU_CYCLE_1) | instskip(NEXT) | instid1(SALU_CYCLE_1)
	s_xor_b64 s[2:3], s[2:3], s[12:13]
	s_mul_i32 s17, s2, s7
	s_mul_hi_u32 s18, s2, s14
	s_mul_hi_u32 s16, s2, s7
	;; [unrolled: 1-line block ×3, first 2 shown]
	s_mul_i32 s14, s3, s14
	s_add_u32 s17, s18, s17
	s_addc_u32 s16, 0, s16
	s_mul_hi_u32 s19, s3, s7
	s_add_u32 s14, s17, s14
	s_mul_i32 s7, s3, s7
	s_addc_u32 s14, s16, s20
	s_addc_u32 s16, s19, 0
	s_add_u32 s7, s14, s7
	s_addc_u32 s14, 0, s16
	s_mul_i32 s17, s9, s7
	s_add_u32 s16, s7, 1
	v_sub_co_u32 v1, s2, s2, s17
	s_mul_hi_u32 s17, s9, s7
	s_addc_u32 s18, s14, 0
	s_mul_i32 s19, s9, s14
	s_delay_alu instid0(VALU_DEP_1)
	v_sub_co_u32 v4, s20, v1, s9
	s_add_u32 s21, s7, 2
	s_addc_u32 s22, s14, 0
	s_add_i32 s17, s17, s19
	s_cmp_lg_u32 s2, 0
	v_readfirstlane_b32 s2, v4
	s_subb_u32 s3, s3, s17
	s_cmp_lg_u32 s20, 0
	s_subb_u32 s17, s3, 0
	s_delay_alu instid0(VALU_DEP_1) | instskip(SKIP_4) | instid1(SALU_CYCLE_1)
	s_cmp_ge_u32 s2, s9
	s_cselect_b32 s2, -1, 0
	s_cmp_eq_u32 s17, 0
	v_readfirstlane_b32 s17, v1
	s_cselect_b32 s2, s2, -1
	s_cmp_lg_u32 s2, 0
	s_cselect_b32 s2, s21, s16
	s_cselect_b32 s16, s22, s18
	s_cmp_ge_u32 s17, s9
	s_cselect_b32 s17, -1, 0
	s_cmp_eq_u32 s3, 0
	s_cselect_b32 s3, s17, -1
	s_delay_alu instid0(SALU_CYCLE_1) | instskip(SKIP_2) | instid1(SALU_CYCLE_1)
	s_cmp_lg_u32 s3, 0
	s_cselect_b32 s3, s16, s14
	s_cselect_b32 s2, s2, s7
	s_xor_b64 s[2:3], s[2:3], s[12:13]
	s_delay_alu instid0(SALU_CYCLE_1)
	s_sub_u32 s2, s2, s12
	s_subb_u32 s3, s3, s12
	s_cbranch_execnz .LBB58_5
.LBB58_4:
	v_cvt_f32_u32_e32 v1, s9
	s_sub_i32 s3, 0, s9
	s_delay_alu instid0(VALU_DEP_1) | instskip(SKIP_2) | instid1(VALU_DEP_1)
	v_rcp_iflag_f32_e32 v1, v1
	s_waitcnt_depctr 0xfff
	v_mul_f32_e32 v1, 0x4f7ffffe, v1
	v_cvt_u32_f32_e32 v1, v1
	s_delay_alu instid0(VALU_DEP_1) | instskip(NEXT) | instid1(VALU_DEP_1)
	v_readfirstlane_b32 s2, v1
	s_mul_i32 s3, s3, s2
	s_delay_alu instid0(SALU_CYCLE_1) | instskip(NEXT) | instid1(SALU_CYCLE_1)
	s_mul_hi_u32 s3, s2, s3
	s_add_i32 s2, s2, s3
	s_delay_alu instid0(SALU_CYCLE_1) | instskip(NEXT) | instid1(SALU_CYCLE_1)
	s_mul_hi_u32 s2, s6, s2
	s_mul_i32 s3, s2, s9
	s_delay_alu instid0(SALU_CYCLE_1)
	s_sub_i32 s3, s6, s3
	s_add_i32 s6, s2, 1
	s_sub_i32 s7, s3, s9
	s_cmp_ge_u32 s3, s9
	s_cselect_b32 s2, s6, s2
	s_cselect_b32 s3, s7, s3
	s_add_i32 s6, s2, 1
	s_cmp_ge_u32 s3, s9
	s_mov_b32 s3, 0
	s_cselect_b32 s2, s6, s2
.LBB58_5:
	v_mov_b32_e32 v1, 0
	s_add_u32 s2, s2, 1
	s_addc_u32 s3, s3, 0
	s_mul_hi_u32 s6, s8, s2
	s_mul_i32 s3, s8, s3
	v_mad_u64_u32 v[13:14], null, s10, s15, v[0:1]
	s_mul_hi_u32 s7, s11, s10
	s_add_i32 s3, s6, s3
	s_mul_i32 s7, s7, s2
	s_mul_i32 s2, s8, s2
	s_add_i32 s3, s3, s7
	s_mov_b32 s6, exec_lo
	s_lshl_b64 s[2:3], s[2:3], 1
	s_delay_alu instid0(SALU_CYCLE_1)
	v_cmpx_gt_i64_e64 s[2:3], v[13:14]
	s_cbranch_execz .LBB58_22
; %bb.6:
	v_alignbit_b32 v17, v3, v2, 2
	v_mad_u64_u32 v[6:7], null, 0xcd9e8d57, v13, 0
	v_lshrrev_b32_e32 v18, 2, v3
	s_waitcnt vmcnt(0)
	v_dual_mov_b32 v15, v12 :: v_dual_add_nc_u32 v34, 0x8ff34781, v11
	v_mad_u64_u32 v[4:5], null, 0xd2511f53, v17, 0
	v_add_co_u32 v20, null, 0x9e3779b9, v11
	v_xor3_b32 v3, v11, v7, v18
	s_delay_alu instid0(VALU_DEP_4) | instskip(SKIP_2) | instid1(VALU_DEP_4)
	v_add_co_u32 v19, null, 0xbb67ae85, v15
	v_add_co_u32 v21, null, 0x3c6ef372, v11
	v_xor_b32_e32 v1, v5, v12
	v_mad_u64_u32 v[7:8], null, 0xd2511f53, v3, 0
	v_add_co_u32 v22, null, 0x76cf5d0a, v15
	s_delay_alu instid0(VALU_DEP_3) | instskip(SKIP_2) | instid1(VALU_DEP_3)
	v_xor_b32_e32 v1, v1, v14
	v_add_co_u32 v23, null, 0x32370b8f, v15
	v_add_co_u32 v24, null, 0xdaa66d2b, v11
	v_mad_u64_u32 v[9:10], null, 0xcd9e8d57, v1, 0
	v_xor3_b32 v1, v19, v8, v4
	v_add_co_u32 v25, null, 0x78dde6e4, v11
	v_add_co_u32 v26, null, 0xed9eba14, v15
	s_delay_alu instid0(VALU_DEP_3) | instskip(SKIP_3) | instid1(VALU_DEP_3)
	v_mad_u64_u32 v[3:4], null, 0xcd9e8d57, v1, 0
	v_xor3_b32 v8, v20, v10, v6
	v_add_co_u32 v27, null, 0xa9066899, v15
	v_add_co_u32 v28, null, 0x1715609d, v11
	v_mad_u64_u32 v[5:6], null, 0xd2511f53, v8, 0
	v_xor3_b32 v1, v21, v4, v9
	v_add_co_u32 v29, null, 0xb54cda56, v11
	v_add_co_u32 v30, null, 0x646e171e, v15
	;; [unrolled: 1-line block ×3, first 2 shown]
	v_xor3_b32 v4, v22, v6, v7
	v_mad_u64_u32 v[6:7], null, 0xd2511f53, v1, 0
	v_add_co_u32 v32, null, 0x5384540f, v11
	s_delay_alu instid0(VALU_DEP_3) | instskip(SKIP_1) | instid1(VALU_DEP_4)
	v_mad_u64_u32 v[8:9], null, 0xcd9e8d57, v4, 0
	v_dual_mov_b32 v38, v13 :: v_dual_and_b32 v33, 3, v2
	v_xor3_b32 v1, v23, v7, v5
	s_clause 0x1
	s_load_b64 s[6:7], s[0:1], 0x30
	s_load_b32 s0, s[0:1], 0x38
	v_add_co_u32 v35, null, 0xf1bbcdc8, v11
	s_delay_alu instid0(VALU_DEP_4) | instskip(SKIP_2) | instid1(VALU_DEP_3)
	v_xor3_b32 v5, v24, v9, v3
	v_mad_u64_u32 v[3:4], null, 0xcd9e8d57, v1, 0
	v_add_co_u32 v36, null, 0xdb3d7428, v15
	v_mad_u64_u32 v[9:10], null, 0xd2511f53, v5, 0
	v_add_nc_u32_e32 v37, 0x96a522ad, v12
	v_mov_b32_e32 v41, v14
	v_xor3_b32 v1, v25, v4, v8
	s_delay_alu instid0(VALU_DEP_4) | instskip(NEXT) | instid1(VALU_DEP_2)
	v_xor3_b32 v8, v26, v10, v6
	v_mad_u64_u32 v[4:5], null, 0xd2511f53, v1, 0
	s_waitcnt lgkmcnt(0)
	s_mul_i32 s1, s11, s0
	s_delay_alu instid0(VALU_DEP_2) | instskip(SKIP_1) | instid1(VALU_DEP_2)
	v_mad_u64_u32 v[6:7], null, 0xcd9e8d57, v8, 0
	s_mul_i32 s1, s1, s10
	v_xor3_b32 v1, v27, v5, v9
	s_lshl_b32 s1, s1, 1
	s_delay_alu instid0(VALU_DEP_2) | instskip(NEXT) | instid1(VALU_DEP_2)
	v_xor3_b32 v3, v28, v7, v3
	v_mad_u64_u32 v[7:8], null, 0xcd9e8d57, v1, 0
	s_delay_alu instid0(VALU_DEP_2) | instskip(NEXT) | instid1(VALU_DEP_2)
	v_mad_u64_u32 v[9:10], null, 0xd2511f53, v3, 0
	v_xor3_b32 v1, v29, v8, v6
	s_delay_alu instid0(VALU_DEP_2) | instskip(NEXT) | instid1(VALU_DEP_2)
	v_xor3_b32 v8, v30, v10, v4
	v_mad_u64_u32 v[3:4], null, 0xd2511f53, v1, 0
	s_delay_alu instid0(VALU_DEP_2) | instskip(NEXT) | instid1(VALU_DEP_2)
	v_mad_u64_u32 v[5:6], null, 0xcd9e8d57, v8, 0
	v_xor3_b32 v1, v31, v4, v9
	s_delay_alu instid0(VALU_DEP_2) | instskip(NEXT) | instid1(VALU_DEP_2)
	v_xor3_b32 v2, v32, v6, v7
	v_mad_u64_u32 v[6:7], null, 0xcd9e8d57, v1, 0
	v_mad_u64_u32 v[15:16], null, s15, s10, v[0:1]
	s_delay_alu instid0(VALU_DEP_3) | instskip(SKIP_1) | instid1(VALU_DEP_3)
	v_mad_u64_u32 v[8:9], null, 0xd2511f53, v2, 0
	s_add_i32 s15, s15, s11
	v_xor3_b32 v1, v35, v7, v5
	s_delay_alu instid0(VALU_DEP_3) | instskip(NEXT) | instid1(VALU_DEP_3)
	v_mul_lo_u32 v39, s0, v15
	v_xor3_b32 v7, v36, v9, v3
	s_delay_alu instid0(VALU_DEP_3) | instskip(SKIP_1) | instid1(VALU_DEP_3)
	v_mad_u64_u32 v[3:4], null, s15, s10, v[0:1]
	v_mad_u64_u32 v[4:5], null, 0xd2511f53, v1, 0
	v_mad_u64_u32 v[1:2], null, 0xcd9e8d57, v7, 0
	s_mov_b32 s10, 0
	s_delay_alu instid0(VALU_DEP_3) | instskip(SKIP_1) | instid1(VALU_DEP_3)
	v_mul_lo_u32 v40, s0, v3
	s_mov_b32 s0, 0
	v_mov_b32_e32 v3, v4
	s_delay_alu instid0(VALU_DEP_3)
	v_xor3_b32 v0, v2, v6, v34
	v_xor3_b32 v2, v5, v8, v37
	s_branch .LBB58_8
.LBB58_7:                               ;   in Loop: Header=BB58_8 Depth=1
	s_or_b32 exec_lo, exec_lo, s11
	v_add_co_u32 v13, vcc_lo, v13, s9
	v_add_co_ci_u32_e32 v14, vcc_lo, 0, v14, vcc_lo
	v_mov_b32_e32 v7, v15
	v_dual_mov_b32 v0, v4 :: v_dual_mov_b32 v1, v5
	s_delay_alu instid0(VALU_DEP_3) | instskip(NEXT) | instid1(VALU_DEP_3)
	v_cmp_le_i64_e32 vcc_lo, s[2:3], v[13:14]
	v_dual_mov_b32 v2, v6 :: v_dual_mov_b32 v3, v7
	s_add_i32 s10, s10, s1
	s_waitcnt_vscnt null, 0x0
	s_barrier
	s_or_b32 s0, vcc_lo, s0
	buffer_gl0_inv
	s_and_not1_b32 exec_lo, exec_lo, s0
	s_cbranch_execz .LBB58_22
.LBB58_8:                               ; =>This Inner Loop Header: Depth=1
	v_add_co_u32 v17, vcc_lo, v17, 1
	s_delay_alu instid0(VALU_DEP_1) | instskip(SKIP_2) | instid1(VALU_DEP_1)
	v_cndmask_b32_e64 v4, 0, 1, vcc_lo
	v_add_co_ci_u32_e32 v18, vcc_lo, 0, v18, vcc_lo
	s_mov_b32 s11, exec_lo
	v_cmp_eq_u32_e32 vcc_lo, 0, v18
	s_delay_alu instid0(VALU_DEP_3) | instskip(NEXT) | instid1(VALU_DEP_1)
	v_cndmask_b32_e32 v4, 0, v4, vcc_lo
	v_add_nc_u32_e32 v38, v4, v38
	s_delay_alu instid0(VALU_DEP_1) | instskip(SKIP_2) | instid1(VALU_DEP_2)
	v_cmp_eq_u32_e32 vcc_lo, 0, v38
	v_mad_u64_u32 v[6:7], null, 0xcd9e8d57, v38, 0
	v_cndmask_b32_e32 v4, 0, v4, vcc_lo
	v_xor3_b32 v9, v7, v11, v18
	s_delay_alu instid0(VALU_DEP_2) | instskip(SKIP_1) | instid1(VALU_DEP_3)
	v_add_nc_u32_e32 v41, v4, v41
	v_mad_u64_u32 v[4:5], null, 0xd2511f53, v17, 0
	v_mad_u64_u32 v[7:8], null, 0xd2511f53, v9, 0
	s_delay_alu instid0(VALU_DEP_2) | instskip(NEXT) | instid1(VALU_DEP_2)
	v_xor_b32_e32 v5, v5, v12
	v_xor3_b32 v8, v19, v8, v4
	s_delay_alu instid0(VALU_DEP_2) | instskip(NEXT) | instid1(VALU_DEP_1)
	v_xor_b32_e32 v5, v41, v5
	v_mad_u64_u32 v[9:10], null, 0xcd9e8d57, v5, 0
	s_delay_alu instid0(VALU_DEP_3) | instskip(NEXT) | instid1(VALU_DEP_2)
	v_mad_u64_u32 v[4:5], null, 0xcd9e8d57, v8, 0
	v_xor3_b32 v6, v20, v10, v6
	s_delay_alu instid0(VALU_DEP_2) | instskip(NEXT) | instid1(VALU_DEP_2)
	v_xor3_b32 v8, v21, v5, v9
	v_mad_u64_u32 v[15:16], null, 0xd2511f53, v6, 0
	s_delay_alu instid0(VALU_DEP_2) | instskip(NEXT) | instid1(VALU_DEP_2)
	v_mad_u64_u32 v[5:6], null, 0xd2511f53, v8, 0
	v_xor3_b32 v9, v22, v16, v7
	s_delay_alu instid0(VALU_DEP_2) | instskip(NEXT) | instid1(VALU_DEP_2)
	v_xor3_b32 v6, v23, v6, v15
	v_mad_u64_u32 v[7:8], null, 0xcd9e8d57, v9, 0
	s_delay_alu instid0(VALU_DEP_1) | instskip(NEXT) | instid1(VALU_DEP_3)
	v_xor3_b32 v4, v24, v8, v4
	v_mad_u64_u32 v[8:9], null, 0xcd9e8d57, v6, 0
	s_delay_alu instid0(VALU_DEP_2) | instskip(NEXT) | instid1(VALU_DEP_2)
	v_mad_u64_u32 v[15:16], null, 0xd2511f53, v4, 0
	v_xor3_b32 v6, v25, v9, v7
	s_delay_alu instid0(VALU_DEP_2) | instskip(NEXT) | instid1(VALU_DEP_2)
	v_xor3_b32 v9, v26, v16, v5
	v_mad_u64_u32 v[4:5], null, 0xd2511f53, v6, 0
	s_delay_alu instid0(VALU_DEP_2) | instskip(NEXT) | instid1(VALU_DEP_2)
	v_mad_u64_u32 v[6:7], null, 0xcd9e8d57, v9, 0
	v_xor3_b32 v5, v27, v5, v15
	s_delay_alu instid0(VALU_DEP_2) | instskip(NEXT) | instid1(VALU_DEP_2)
	;; [unrolled: 6-line block ×6, first 2 shown]
	v_xor3_b32 v4, v6, v7, v34
	v_mov_b32_e32 v6, v10
	v_cmpx_lt_i32_e32 1, v33
	s_xor_b32 s11, exec_lo, s11
	s_cbranch_execnz .LBB58_14
; %bb.9:                                ;   in Loop: Header=BB58_8 Depth=1
	s_and_not1_saveexec_b32 s11, s11
	s_cbranch_execnz .LBB58_19
.LBB58_10:                              ;   in Loop: Header=BB58_8 Depth=1
	s_or_b32 exec_lo, exec_lo, s11
	s_delay_alu instid0(SALU_CYCLE_1)
	s_mov_b32 s11, exec_lo
	v_cmpx_gt_i64_e64 s[4:5], v[13:14]
	s_cbranch_execz .LBB58_12
.LBB58_11:                              ;   in Loop: Header=BB58_8 Depth=1
	v_dual_mov_b32 v8, v0 :: v_dual_add_nc_u32 v9, s10, v39
	v_mov_b32_e32 v7, v1
	s_delay_alu instid0(VALU_DEP_2) | instskip(SKIP_1) | instid1(VALU_DEP_2)
	v_ashrrev_i32_e32 v1, 31, v9
	v_add_co_u32 v0, vcc_lo, s6, v9
	v_add_co_ci_u32_e32 v1, vcc_lo, s7, v1, vcc_lo
	global_store_b64 v[0:1], v[7:8], off
.LBB58_12:                              ;   in Loop: Header=BB58_8 Depth=1
	s_or_b32 exec_lo, exec_lo, s11
	v_add_co_u32 v0, vcc_lo, s8, v13
	v_add_co_ci_u32_e32 v1, vcc_lo, 0, v14, vcc_lo
	s_mov_b32 s11, exec_lo
	s_delay_alu instid0(VALU_DEP_1)
	v_cmpx_gt_i64_e64 s[4:5], v[0:1]
	s_cbranch_execz .LBB58_7
; %bb.13:                               ;   in Loop: Header=BB58_8 Depth=1
	v_dual_mov_b32 v1, v3 :: v_dual_add_nc_u32 v0, s10, v40
	s_delay_alu instid0(VALU_DEP_1) | instskip(SKIP_1) | instid1(VALU_DEP_2)
	v_ashrrev_i32_e32 v8, 31, v0
	v_add_co_u32 v7, vcc_lo, s6, v0
	v_add_co_ci_u32_e32 v8, vcc_lo, s7, v8, vcc_lo
	global_store_b64 v[7:8], v[1:2], off
	s_branch .LBB58_7
.LBB58_14:                              ;   in Loop: Header=BB58_8 Depth=1
	s_mov_b32 s12, exec_lo
	v_cmpx_lt_i32_e32 2, v33
	s_xor_b32 s12, exec_lo, s12
; %bb.15:                               ;   in Loop: Header=BB58_8 Depth=1
	v_dual_mov_b32 v7, v3 :: v_dual_mov_b32 v8, v4
	v_mov_b32_e32 v9, v5
	s_delay_alu instid0(VALU_DEP_2) | instskip(NEXT) | instid1(VALU_DEP_2)
	v_dual_mov_b32 v0, v7 :: v_dual_mov_b32 v1, v8
	v_dual_mov_b32 v2, v9 :: v_dual_mov_b32 v3, v10
; %bb.16:                               ;   in Loop: Header=BB58_8 Depth=1
	s_and_not1_saveexec_b32 s12, s12
; %bb.17:                               ;   in Loop: Header=BB58_8 Depth=1
	s_delay_alu instid0(VALU_DEP_1)
	v_dual_mov_b32 v0, v2 :: v_dual_mov_b32 v1, v3
	v_dual_mov_b32 v2, v4 :: v_dual_mov_b32 v3, v5
; %bb.18:                               ;   in Loop: Header=BB58_8 Depth=1
	s_or_b32 exec_lo, exec_lo, s12
	s_and_not1_saveexec_b32 s11, s11
	s_cbranch_execz .LBB58_10
.LBB58_19:                              ;   in Loop: Header=BB58_8 Depth=1
	s_mov_b32 s12, exec_lo
	v_cmpx_eq_u32_e32 1, v33
; %bb.20:                               ;   in Loop: Header=BB58_8 Depth=1
	v_dual_mov_b32 v0, v1 :: v_dual_mov_b32 v1, v2
	v_dual_mov_b32 v2, v3 :: v_dual_mov_b32 v3, v4
; %bb.21:                               ;   in Loop: Header=BB58_8 Depth=1
	s_or_b32 exec_lo, exec_lo, s12
	s_delay_alu instid0(SALU_CYCLE_1) | instskip(NEXT) | instid1(SALU_CYCLE_1)
	s_or_b32 exec_lo, exec_lo, s11
	s_mov_b32 s11, exec_lo
	v_cmpx_gt_i64_e64 s[4:5], v[13:14]
	s_cbranch_execnz .LBB58_11
	s_branch .LBB58_12
.LBB58_22:
	s_endpgm
.LBB58_23:
                                        ; implicit-def: $sgpr2_sgpr3
	s_branch .LBB58_4
	.section	.rodata,"a",@progbits
	.p2align	6, 0x0
	.amdhsa_kernel _ZN2at6native12_GLOBAL__N_143distribution_elementwise_grid_stride_kernelImLi2EZZZNS0_9templates4cuda32random_full_64_bits_range_kernelIPNS_17CUDAGeneratorImplEEEvRNS_18TensorIteratorBaseET_ENKUlvE_clEvENKUlvE2_clEvEUlP25hiprandStatePhilox4_32_10E_ZNS1_27distribution_nullary_kernelIlm15HIP_vector_typeIyLj2EES7_SF_ZZZNS5_IS7_EEvS9_SA_ENKSB_clEvENKSC_clEvEUlmE_EEvS9_T2_RKT3_T4_EUlimE_EEvlNS_15PhiloxCudaStateET1_SK_
		.amdhsa_group_segment_fixed_size 0
		.amdhsa_private_segment_fixed_size 0
		.amdhsa_kernarg_size 320
		.amdhsa_user_sgpr_count 15
		.amdhsa_user_sgpr_dispatch_ptr 0
		.amdhsa_user_sgpr_queue_ptr 0
		.amdhsa_user_sgpr_kernarg_segment_ptr 1
		.amdhsa_user_sgpr_dispatch_id 0
		.amdhsa_user_sgpr_private_segment_size 0
		.amdhsa_wavefront_size32 1
		.amdhsa_uses_dynamic_stack 0
		.amdhsa_enable_private_segment 0
		.amdhsa_system_sgpr_workgroup_id_x 1
		.amdhsa_system_sgpr_workgroup_id_y 0
		.amdhsa_system_sgpr_workgroup_id_z 0
		.amdhsa_system_sgpr_workgroup_info 0
		.amdhsa_system_vgpr_workitem_id 0
		.amdhsa_next_free_vgpr 42
		.amdhsa_next_free_sgpr 23
		.amdhsa_reserve_vcc 1
		.amdhsa_float_round_mode_32 0
		.amdhsa_float_round_mode_16_64 0
		.amdhsa_float_denorm_mode_32 3
		.amdhsa_float_denorm_mode_16_64 3
		.amdhsa_dx10_clamp 1
		.amdhsa_ieee_mode 1
		.amdhsa_fp16_overflow 0
		.amdhsa_workgroup_processor_mode 1
		.amdhsa_memory_ordered 1
		.amdhsa_forward_progress 0
		.amdhsa_shared_vgpr_count 0
		.amdhsa_exception_fp_ieee_invalid_op 0
		.amdhsa_exception_fp_denorm_src 0
		.amdhsa_exception_fp_ieee_div_zero 0
		.amdhsa_exception_fp_ieee_overflow 0
		.amdhsa_exception_fp_ieee_underflow 0
		.amdhsa_exception_fp_ieee_inexact 0
		.amdhsa_exception_int_div_zero 0
	.end_amdhsa_kernel
	.section	.text._ZN2at6native12_GLOBAL__N_143distribution_elementwise_grid_stride_kernelImLi2EZZZNS0_9templates4cuda32random_full_64_bits_range_kernelIPNS_17CUDAGeneratorImplEEEvRNS_18TensorIteratorBaseET_ENKUlvE_clEvENKUlvE2_clEvEUlP25hiprandStatePhilox4_32_10E_ZNS1_27distribution_nullary_kernelIlm15HIP_vector_typeIyLj2EES7_SF_ZZZNS5_IS7_EEvS9_SA_ENKSB_clEvENKSC_clEvEUlmE_EEvS9_T2_RKT3_T4_EUlimE_EEvlNS_15PhiloxCudaStateET1_SK_,"axG",@progbits,_ZN2at6native12_GLOBAL__N_143distribution_elementwise_grid_stride_kernelImLi2EZZZNS0_9templates4cuda32random_full_64_bits_range_kernelIPNS_17CUDAGeneratorImplEEEvRNS_18TensorIteratorBaseET_ENKUlvE_clEvENKUlvE2_clEvEUlP25hiprandStatePhilox4_32_10E_ZNS1_27distribution_nullary_kernelIlm15HIP_vector_typeIyLj2EES7_SF_ZZZNS5_IS7_EEvS9_SA_ENKSB_clEvENKSC_clEvEUlmE_EEvS9_T2_RKT3_T4_EUlimE_EEvlNS_15PhiloxCudaStateET1_SK_,comdat
.Lfunc_end58:
	.size	_ZN2at6native12_GLOBAL__N_143distribution_elementwise_grid_stride_kernelImLi2EZZZNS0_9templates4cuda32random_full_64_bits_range_kernelIPNS_17CUDAGeneratorImplEEEvRNS_18TensorIteratorBaseET_ENKUlvE_clEvENKUlvE2_clEvEUlP25hiprandStatePhilox4_32_10E_ZNS1_27distribution_nullary_kernelIlm15HIP_vector_typeIyLj2EES7_SF_ZZZNS5_IS7_EEvS9_SA_ENKSB_clEvENKSC_clEvEUlmE_EEvS9_T2_RKT3_T4_EUlimE_EEvlNS_15PhiloxCudaStateET1_SK_, .Lfunc_end58-_ZN2at6native12_GLOBAL__N_143distribution_elementwise_grid_stride_kernelImLi2EZZZNS0_9templates4cuda32random_full_64_bits_range_kernelIPNS_17CUDAGeneratorImplEEEvRNS_18TensorIteratorBaseET_ENKUlvE_clEvENKUlvE2_clEvEUlP25hiprandStatePhilox4_32_10E_ZNS1_27distribution_nullary_kernelIlm15HIP_vector_typeIyLj2EES7_SF_ZZZNS5_IS7_EEvS9_SA_ENKSB_clEvENKSC_clEvEUlmE_EEvS9_T2_RKT3_T4_EUlimE_EEvlNS_15PhiloxCudaStateET1_SK_
                                        ; -- End function
	.section	.AMDGPU.csdata,"",@progbits
; Kernel info:
; codeLenInByte = 2624
; NumSgprs: 25
; NumVgprs: 42
; ScratchSize: 0
; MemoryBound: 0
; FloatMode: 240
; IeeeMode: 1
; LDSByteSize: 0 bytes/workgroup (compile time only)
; SGPRBlocks: 3
; VGPRBlocks: 5
; NumSGPRsForWavesPerEU: 25
; NumVGPRsForWavesPerEU: 42
; Occupancy: 16
; WaveLimiterHint : 0
; COMPUTE_PGM_RSRC2:SCRATCH_EN: 0
; COMPUTE_PGM_RSRC2:USER_SGPR: 15
; COMPUTE_PGM_RSRC2:TRAP_HANDLER: 0
; COMPUTE_PGM_RSRC2:TGID_X_EN: 1
; COMPUTE_PGM_RSRC2:TGID_Y_EN: 0
; COMPUTE_PGM_RSRC2:TGID_Z_EN: 0
; COMPUTE_PGM_RSRC2:TIDIG_COMP_CNT: 0
	.section	.text._ZN2at6native12_GLOBAL__N_143distribution_elementwise_grid_stride_kernelImLi2EZZZNS0_9templates4cuda32random_full_64_bits_range_kernelIPNS_17CUDAGeneratorImplEEEvRNS_18TensorIteratorBaseET_ENKUlvE_clEvENKUlvE2_clEvEUlP25hiprandStatePhilox4_32_10E_ZNS1_27distribution_nullary_kernelIlm15HIP_vector_typeIyLj2EES7_SF_ZZZNS5_IS7_EEvS9_SA_ENKSB_clEvENKSC_clEvEUlmE_EEvS9_T2_RKT3_T4_EUlimE0_EEvlNS_15PhiloxCudaStateET1_SK_,"axG",@progbits,_ZN2at6native12_GLOBAL__N_143distribution_elementwise_grid_stride_kernelImLi2EZZZNS0_9templates4cuda32random_full_64_bits_range_kernelIPNS_17CUDAGeneratorImplEEEvRNS_18TensorIteratorBaseET_ENKUlvE_clEvENKUlvE2_clEvEUlP25hiprandStatePhilox4_32_10E_ZNS1_27distribution_nullary_kernelIlm15HIP_vector_typeIyLj2EES7_SF_ZZZNS5_IS7_EEvS9_SA_ENKSB_clEvENKSC_clEvEUlmE_EEvS9_T2_RKT3_T4_EUlimE0_EEvlNS_15PhiloxCudaStateET1_SK_,comdat
	.globl	_ZN2at6native12_GLOBAL__N_143distribution_elementwise_grid_stride_kernelImLi2EZZZNS0_9templates4cuda32random_full_64_bits_range_kernelIPNS_17CUDAGeneratorImplEEEvRNS_18TensorIteratorBaseET_ENKUlvE_clEvENKUlvE2_clEvEUlP25hiprandStatePhilox4_32_10E_ZNS1_27distribution_nullary_kernelIlm15HIP_vector_typeIyLj2EES7_SF_ZZZNS5_IS7_EEvS9_SA_ENKSB_clEvENKSC_clEvEUlmE_EEvS9_T2_RKT3_T4_EUlimE0_EEvlNS_15PhiloxCudaStateET1_SK_ ; -- Begin function _ZN2at6native12_GLOBAL__N_143distribution_elementwise_grid_stride_kernelImLi2EZZZNS0_9templates4cuda32random_full_64_bits_range_kernelIPNS_17CUDAGeneratorImplEEEvRNS_18TensorIteratorBaseET_ENKUlvE_clEvENKUlvE2_clEvEUlP25hiprandStatePhilox4_32_10E_ZNS1_27distribution_nullary_kernelIlm15HIP_vector_typeIyLj2EES7_SF_ZZZNS5_IS7_EEvS9_SA_ENKSB_clEvENKSC_clEvEUlmE_EEvS9_T2_RKT3_T4_EUlimE0_EEvlNS_15PhiloxCudaStateET1_SK_
	.p2align	8
	.type	_ZN2at6native12_GLOBAL__N_143distribution_elementwise_grid_stride_kernelImLi2EZZZNS0_9templates4cuda32random_full_64_bits_range_kernelIPNS_17CUDAGeneratorImplEEEvRNS_18TensorIteratorBaseET_ENKUlvE_clEvENKUlvE2_clEvEUlP25hiprandStatePhilox4_32_10E_ZNS1_27distribution_nullary_kernelIlm15HIP_vector_typeIyLj2EES7_SF_ZZZNS5_IS7_EEvS9_SA_ENKSB_clEvENKSC_clEvEUlmE_EEvS9_T2_RKT3_T4_EUlimE0_EEvlNS_15PhiloxCudaStateET1_SK_,@function
_ZN2at6native12_GLOBAL__N_143distribution_elementwise_grid_stride_kernelImLi2EZZZNS0_9templates4cuda32random_full_64_bits_range_kernelIPNS_17CUDAGeneratorImplEEEvRNS_18TensorIteratorBaseET_ENKUlvE_clEvENKUlvE2_clEvEUlP25hiprandStatePhilox4_32_10E_ZNS1_27distribution_nullary_kernelIlm15HIP_vector_typeIyLj2EES7_SF_ZZZNS5_IS7_EEvS9_SA_ENKSB_clEvENKSC_clEvEUlmE_EEvS9_T2_RKT3_T4_EUlimE0_EEvlNS_15PhiloxCudaStateET1_SK_: ; @_ZN2at6native12_GLOBAL__N_143distribution_elementwise_grid_stride_kernelImLi2EZZZNS0_9templates4cuda32random_full_64_bits_range_kernelIPNS_17CUDAGeneratorImplEEEvRNS_18TensorIteratorBaseET_ENKUlvE_clEvENKUlvE2_clEvEUlP25hiprandStatePhilox4_32_10E_ZNS1_27distribution_nullary_kernelIlm15HIP_vector_typeIyLj2EES7_SF_ZZZNS5_IS7_EEvS9_SA_ENKSB_clEvENKSC_clEvEUlmE_EEvS9_T2_RKT3_T4_EUlimE0_EEvlNS_15PhiloxCudaStateET1_SK_
; %bb.0:
	s_clause 0x2
	s_load_b64 s[4:5], s[0:1], 0x10
	s_load_b128 s[16:19], s[0:1], 0x0
	s_load_b32 s2, s[0:1], 0x20
	s_waitcnt lgkmcnt(0)
	v_dual_mov_b32 v2, s4 :: v_dual_mov_b32 v3, s5
	v_dual_mov_b32 v11, s18 :: v_dual_mov_b32 v12, s19
	s_bitcmp0_b32 s2, 0
	s_mov_b32 s2, 0
	s_cbranch_scc1 .LBB59_2
; %bb.1:
	v_dual_mov_b32 v1, s4 :: v_dual_mov_b32 v2, s5
	v_dual_mov_b32 v4, s18 :: v_dual_mov_b32 v5, s19
	s_load_b64 s[4:5], s[0:1], 0x18
	flat_load_b64 v[2:3], v[1:2]
	flat_load_b64 v[11:12], v[4:5]
	s_waitcnt vmcnt(1) lgkmcnt(0)
	v_add_co_u32 v2, vcc_lo, v2, s4
	v_add_co_ci_u32_e32 v3, vcc_lo, s5, v3, vcc_lo
.LBB59_2:
	s_clause 0x1
	s_load_b32 s3, s[0:1], 0x154
	s_load_b32 s4, s[0:1], 0x148
	s_waitcnt lgkmcnt(0)
	s_and_b32 s5, s3, 0xffff
	s_add_u32 s6, s16, -1
	s_mul_i32 s24, s4, s5
	s_addc_u32 s3, s17, -1
	s_lshl_b32 s25, s24, 1
	s_cmp_lg_u64 s[2:3], 0
	s_cbranch_scc0 .LBB59_49
; %bb.3:
	v_cvt_f32_ubyte0_e32 v1, 0
	v_cvt_f32_u32_e32 v4, s25
	s_sub_u32 s8, 0, s25
	s_subb_u32 s9, 0, 0
	s_delay_alu instid0(VALU_DEP_1) | instskip(NEXT) | instid1(VALU_DEP_1)
	v_fmamk_f32 v1, v1, 0x4f800000, v4
	v_rcp_f32_e32 v1, v1
	s_waitcnt_depctr 0xfff
	v_mul_f32_e32 v1, 0x5f7ffffc, v1
	s_delay_alu instid0(VALU_DEP_1) | instskip(NEXT) | instid1(VALU_DEP_1)
	v_mul_f32_e32 v4, 0x2f800000, v1
	v_trunc_f32_e32 v4, v4
	s_delay_alu instid0(VALU_DEP_1) | instskip(SKIP_1) | instid1(VALU_DEP_2)
	v_fmamk_f32 v1, v4, 0xcf800000, v1
	v_cvt_u32_f32_e32 v4, v4
	v_cvt_u32_f32_e32 v1, v1
	s_delay_alu instid0(VALU_DEP_2) | instskip(NEXT) | instid1(VALU_DEP_2)
	v_readfirstlane_b32 s2, v4
	v_readfirstlane_b32 s7, v1
	s_delay_alu instid0(VALU_DEP_2) | instskip(NEXT) | instid1(VALU_DEP_1)
	s_mul_i32 s10, s8, s2
	s_mul_hi_u32 s12, s8, s7
	s_mul_i32 s11, s9, s7
	s_add_i32 s10, s12, s10
	s_mul_i32 s13, s8, s7
	s_add_i32 s10, s10, s11
	s_mul_hi_u32 s12, s7, s13
	s_mul_hi_u32 s14, s2, s13
	s_mul_i32 s11, s2, s13
	s_mul_hi_u32 s13, s7, s10
	s_mul_i32 s7, s7, s10
	s_mul_hi_u32 s18, s2, s10
	s_add_u32 s7, s12, s7
	s_addc_u32 s12, 0, s13
	s_add_u32 s7, s7, s11
	s_mul_i32 s10, s2, s10
	s_addc_u32 s7, s12, s14
	s_addc_u32 s11, s18, 0
	s_add_u32 s7, s7, s10
	s_addc_u32 s10, 0, s11
	v_add_co_u32 v1, s7, v1, s7
	s_delay_alu instid0(VALU_DEP_1) | instskip(SKIP_1) | instid1(VALU_DEP_1)
	s_cmp_lg_u32 s7, 0
	s_addc_u32 s2, s2, s10
	v_readfirstlane_b32 s7, v1
	s_mul_i32 s10, s8, s2
	s_delay_alu instid0(VALU_DEP_1)
	s_mul_hi_u32 s11, s8, s7
	s_mul_i32 s9, s9, s7
	s_add_i32 s10, s11, s10
	s_mul_i32 s8, s8, s7
	s_add_i32 s10, s10, s9
	s_mul_hi_u32 s11, s2, s8
	s_mul_i32 s12, s2, s8
	s_mul_hi_u32 s8, s7, s8
	s_mul_hi_u32 s13, s7, s10
	s_mul_i32 s7, s7, s10
	s_mul_hi_u32 s9, s2, s10
	s_add_u32 s7, s8, s7
	s_addc_u32 s8, 0, s13
	s_add_u32 s7, s7, s12
	s_mul_i32 s10, s2, s10
	s_addc_u32 s7, s8, s11
	s_addc_u32 s8, s9, 0
	s_add_u32 s7, s7, s10
	s_addc_u32 s8, 0, s8
	v_add_co_u32 v1, s7, v1, s7
	s_delay_alu instid0(VALU_DEP_1) | instskip(SKIP_2) | instid1(VALU_DEP_1)
	s_cmp_lg_u32 s7, 0
	s_addc_u32 s7, s2, s8
	s_ashr_i32 s8, s3, 31
	v_readfirstlane_b32 s10, v1
	s_add_u32 s2, s6, s8
	s_mov_b32 s9, s8
	s_addc_u32 s3, s3, s8
	s_delay_alu instid0(SALU_CYCLE_1) | instskip(NEXT) | instid1(SALU_CYCLE_1)
	s_xor_b64 s[2:3], s[2:3], s[8:9]
	s_mul_i32 s12, s2, s7
	s_mul_hi_u32 s13, s2, s10
	s_mul_hi_u32 s11, s2, s7
	;; [unrolled: 1-line block ×3, first 2 shown]
	s_mul_i32 s10, s3, s10
	s_add_u32 s12, s13, s12
	s_addc_u32 s11, 0, s11
	s_mul_hi_u32 s14, s3, s7
	s_add_u32 s10, s12, s10
	s_mul_i32 s7, s3, s7
	s_addc_u32 s10, s11, s18
	s_addc_u32 s11, s14, 0
	s_add_u32 s7, s10, s7
	s_addc_u32 s10, 0, s11
	s_mul_i32 s12, s25, s7
	s_add_u32 s11, s7, 1
	v_sub_co_u32 v1, s2, s2, s12
	s_mul_hi_u32 s12, s25, s7
	s_addc_u32 s13, s10, 0
	s_mul_i32 s14, s25, s10
	s_delay_alu instid0(VALU_DEP_1)
	v_sub_co_u32 v4, s18, v1, s25
	s_add_u32 s19, s7, 2
	s_addc_u32 s20, s10, 0
	s_add_i32 s12, s12, s14
	s_cmp_lg_u32 s2, 0
	v_readfirstlane_b32 s2, v4
	s_subb_u32 s3, s3, s12
	s_cmp_lg_u32 s18, 0
	s_subb_u32 s12, s3, 0
	s_delay_alu instid0(VALU_DEP_1) | instskip(SKIP_4) | instid1(SALU_CYCLE_1)
	s_cmp_ge_u32 s2, s25
	s_cselect_b32 s2, -1, 0
	s_cmp_eq_u32 s12, 0
	v_readfirstlane_b32 s12, v1
	s_cselect_b32 s2, s2, -1
	s_cmp_lg_u32 s2, 0
	s_cselect_b32 s2, s19, s11
	s_cselect_b32 s11, s20, s13
	s_cmp_ge_u32 s12, s25
	s_cselect_b32 s12, -1, 0
	s_cmp_eq_u32 s3, 0
	s_cselect_b32 s3, s12, -1
	s_delay_alu instid0(SALU_CYCLE_1) | instskip(SKIP_2) | instid1(SALU_CYCLE_1)
	s_cmp_lg_u32 s3, 0
	s_cselect_b32 s3, s11, s10
	s_cselect_b32 s2, s2, s7
	s_xor_b64 s[2:3], s[2:3], s[8:9]
	s_delay_alu instid0(SALU_CYCLE_1)
	s_sub_u32 s2, s2, s8
	s_subb_u32 s3, s3, s8
	s_cbranch_execnz .LBB59_5
.LBB59_4:
	v_cvt_f32_u32_e32 v1, s25
	s_sub_i32 s3, 0, s25
	s_delay_alu instid0(VALU_DEP_1) | instskip(SKIP_2) | instid1(VALU_DEP_1)
	v_rcp_iflag_f32_e32 v1, v1
	s_waitcnt_depctr 0xfff
	v_mul_f32_e32 v1, 0x4f7ffffe, v1
	v_cvt_u32_f32_e32 v1, v1
	s_delay_alu instid0(VALU_DEP_1) | instskip(NEXT) | instid1(VALU_DEP_1)
	v_readfirstlane_b32 s2, v1
	s_mul_i32 s3, s3, s2
	s_delay_alu instid0(SALU_CYCLE_1) | instskip(NEXT) | instid1(SALU_CYCLE_1)
	s_mul_hi_u32 s3, s2, s3
	s_add_i32 s2, s2, s3
	s_delay_alu instid0(SALU_CYCLE_1) | instskip(NEXT) | instid1(SALU_CYCLE_1)
	s_mul_hi_u32 s2, s6, s2
	s_mul_i32 s3, s2, s25
	s_delay_alu instid0(SALU_CYCLE_1)
	s_sub_i32 s3, s6, s3
	s_add_i32 s6, s2, 1
	s_sub_i32 s7, s3, s25
	s_cmp_ge_u32 s3, s25
	s_cselect_b32 s2, s6, s2
	s_cselect_b32 s3, s7, s3
	s_add_i32 s6, s2, 1
	s_cmp_ge_u32 s3, s25
	s_mov_b32 s3, 0
	s_cselect_b32 s2, s6, s2
.LBB59_5:
	v_mov_b32_e32 v1, 0
	s_add_u32 s2, s2, 1
	s_addc_u32 s3, s3, 0
	s_mul_hi_u32 s6, s24, s2
	s_mul_i32 s3, s24, s3
	v_mad_u64_u32 v[13:14], null, s5, s15, v[0:1]
	s_mul_hi_u32 s4, s4, s5
	s_add_i32 s3, s6, s3
	s_mul_i32 s4, s4, s2
	s_mul_i32 s2, s24, s2
	s_add_i32 s3, s3, s4
	s_mov_b32 s4, exec_lo
	s_lshl_b64 s[2:3], s[2:3], 1
	s_delay_alu instid0(SALU_CYCLE_1)
	v_cmpx_gt_i64_e64 s[2:3], v[13:14]
	s_cbranch_execz .LBB59_48
; %bb.6:
	v_alignbit_b32 v17, v3, v2, 2
	v_mad_u64_u32 v[4:5], null, 0xcd9e8d57, v13, 0
	v_lshrrev_b32_e32 v18, 2, v3
	s_waitcnt vmcnt(0)
	v_dual_mov_b32 v9, v12 :: v_dual_add_nc_u32 v28, 0x8ff34781, v11
	v_mad_u64_u32 v[0:1], null, 0xd2511f53, v17, 0
	v_add_co_u32 v20, null, 0x9e3779b9, v11
	v_xor3_b32 v3, v11, v5, v18
	s_delay_alu instid0(VALU_DEP_4) | instskip(SKIP_2) | instid1(VALU_DEP_4)
	v_add_co_u32 v19, null, 0xbb67ae85, v9
	v_add_co_u32 v21, null, 0x3c6ef372, v11
	v_xor_b32_e32 v1, v1, v12
	v_mad_u64_u32 v[5:6], null, 0xd2511f53, v3, 0
	v_add_co_u32 v22, null, 0x76cf5d0a, v9
	s_delay_alu instid0(VALU_DEP_3) | instskip(SKIP_2) | instid1(VALU_DEP_3)
	v_xor_b32_e32 v1, v1, v14
	v_add_co_u32 v23, null, 0x32370b8f, v9
	v_add_co_u32 v24, null, 0xdaa66d2b, v11
	v_mad_u64_u32 v[7:8], null, 0xcd9e8d57, v1, 0
	v_xor3_b32 v3, v19, v6, v0
	v_add_co_u32 v25, null, 0x78dde6e4, v11
	v_add_co_u32 v26, null, 0xed9eba14, v9
	s_delay_alu instid0(VALU_DEP_3) | instskip(SKIP_3) | instid1(VALU_DEP_3)
	v_mad_u64_u32 v[0:1], null, 0xcd9e8d57, v3, 0
	v_xor3_b32 v6, v20, v8, v4
	v_dual_mov_b32 v38, v13 :: v_dual_and_b32 v27, 3, v2
	v_add_co_u32 v29, null, 0xa9066899, v9
	v_mad_u64_u32 v[3:4], null, 0xd2511f53, v6, 0
	v_xor3_b32 v1, v21, v1, v7
	v_add_co_u32 v30, null, 0x1715609d, v11
	v_add_co_u32 v32, null, 0xb54cda56, v11
	;; [unrolled: 1-line block ×3, first 2 shown]
	v_xor3_b32 v8, v22, v4, v5
	v_mad_u64_u32 v[4:5], null, 0xd2511f53, v1, 0
	s_load_b256 s[4:11], s[0:1], 0x30
	v_add_co_u32 v31, null, 0x5384540f, v11
	s_delay_alu instid0(VALU_DEP_3) | instskip(SKIP_1) | instid1(VALU_DEP_4)
	v_mad_u64_u32 v[6:7], null, 0xcd9e8d57, v8, 0
	v_add_co_u32 v35, null, 0x1fd5c5a3, v9
	v_xor3_b32 v3, v23, v5, v3
	v_add_co_u32 v34, null, 0xf1bbcdc8, v11
	v_add_co_u32 v36, null, 0xdb3d7428, v9
	v_xor3_b32 v5, v24, v7, v0
	s_delay_alu instid0(VALU_DEP_4)
	v_mad_u64_u32 v[0:1], null, 0xcd9e8d57, v3, 0
	s_add_u32 s12, s0, 48
	s_clause 0x1
	s_load_b64 s[14:15], s[0:1], 0xf4
	s_load_b64 s[18:19], s[0:1], 0x138
	v_mad_u64_u32 v[7:8], null, 0xd2511f53, v5, 0
	s_addc_u32 s13, s1, 0
	s_waitcnt lgkmcnt(0)
	s_add_i32 s20, s4, -1
	v_xor3_b32 v3, v25, v1, v6
	s_cmp_gt_u32 s20, 1
	v_add_nc_u32_e32 v37, 0x96a522ad, v12
	s_cselect_b32 s11, -1, 0
	v_xor3_b32 v5, v26, v8, v4
	v_mad_u64_u32 v[1:2], null, 0xd2511f53, v3, 0
	s_cmp_lg_u32 s4, 0
	v_mov_b32_e32 v39, v14
	s_delay_alu instid0(VALU_DEP_3) | instskip(SKIP_2) | instid1(VALU_DEP_3)
	v_mad_u64_u32 v[3:4], null, 0xcd9e8d57, v5, 0
	s_cselect_b32 s27, -1, 0
	s_add_u32 s0, s0, 0xf4
	v_xor3_b32 v2, v29, v2, v7
	s_addc_u32 s1, s1, 0
	s_min_u32 s21, s20, 15
	s_cmp_gt_u32 s4, 1
	s_delay_alu instid0(VALU_DEP_2) | instskip(SKIP_3) | instid1(VALU_DEP_2)
	v_xor3_b32 v0, v30, v4, v0
	v_mad_u64_u32 v[4:5], null, 0xcd9e8d57, v2, 0
	s_cselect_b32 s4, -1, 0
	s_add_i32 s21, s21, 1
	v_mad_u64_u32 v[6:7], null, 0xd2511f53, v0, 0
	s_and_b32 s28, s21, 3
	s_cmp_lg_u32 s20, 2
	s_delay_alu instid0(VALU_DEP_2) | instskip(SKIP_3) | instid1(VALU_DEP_2)
	v_xor3_b32 v2, v32, v5, v3
	s_cselect_b32 s29, -1, 0
	s_and_b32 s30, s21, 28
	s_cmp_lg_u32 s28, 0
	v_xor3_b32 v5, v33, v7, v1
	v_mad_u64_u32 v[0:1], null, 0xd2511f53, v2, 0
	s_mov_b32 s26, 0
	s_cselect_b32 s31, -1, 0
	s_delay_alu instid0(VALU_DEP_2) | instskip(NEXT) | instid1(VALU_DEP_2)
	v_mad_u64_u32 v[2:3], null, 0xcd9e8d57, v5, 0
	v_xor3_b32 v1, v35, v1, v6
	s_delay_alu instid0(VALU_DEP_2) | instskip(NEXT) | instid1(VALU_DEP_2)
	v_xor3_b32 v3, v31, v3, v4
	v_mad_u64_u32 v[4:5], null, 0xcd9e8d57, v1, 0
	s_delay_alu instid0(VALU_DEP_2) | instskip(NEXT) | instid1(VALU_DEP_2)
	v_mad_u64_u32 v[6:7], null, 0xd2511f53, v3, 0
	v_xor3_b32 v1, v34, v5, v2
	s_delay_alu instid0(VALU_DEP_2) | instskip(NEXT) | instid1(VALU_DEP_2)
	v_xor3_b32 v0, v36, v7, v0
	v_mad_u64_u32 v[7:8], null, 0xd2511f53, v1, 0
	s_delay_alu instid0(VALU_DEP_2) | instskip(NEXT) | instid1(VALU_DEP_2)
	v_mad_u64_u32 v[1:2], null, 0xcd9e8d57, v0, 0
	v_mov_b32_e32 v3, v7
	s_delay_alu instid0(VALU_DEP_2) | instskip(NEXT) | instid1(VALU_DEP_4)
	v_xor3_b32 v0, v2, v4, v28
	v_xor3_b32 v2, v8, v6, v37
	s_branch .LBB59_9
.LBB59_7:                               ;   in Loop: Header=BB59_9 Depth=1
	v_mov_b32_e32 v1, v3
	global_store_b64 v7, v[1:2], s[18:19]
.LBB59_8:                               ;   in Loop: Header=BB59_9 Depth=1
	s_or_b32 exec_lo, exec_lo, s33
	v_add_co_u32 v13, vcc_lo, v13, s25
	v_add_co_ci_u32_e32 v14, vcc_lo, 0, v14, vcc_lo
	v_mov_b32_e32 v7, v15
	v_dual_mov_b32 v0, v4 :: v_dual_mov_b32 v1, v5
	s_delay_alu instid0(VALU_DEP_3) | instskip(NEXT) | instid1(VALU_DEP_3)
	v_cmp_le_i64_e32 vcc_lo, s[2:3], v[13:14]
	v_dual_mov_b32 v2, v6 :: v_dual_mov_b32 v3, v7
	s_waitcnt_vscnt null, 0x0
	s_barrier
	buffer_gl0_inv
	s_or_b32 s26, vcc_lo, s26
	s_delay_alu instid0(SALU_CYCLE_1)
	s_and_not1_b32 exec_lo, exec_lo, s26
	s_cbranch_execz .LBB59_48
.LBB59_9:                               ; =>This Loop Header: Depth=1
                                        ;     Child Loop BB59_24 Depth 2
                                        ;     Child Loop BB59_29 Depth 2
	;; [unrolled: 1-line block ×4, first 2 shown]
	v_add_co_u32 v17, vcc_lo, v17, 1
	s_delay_alu instid0(VALU_DEP_1) | instskip(SKIP_2) | instid1(VALU_DEP_1)
	v_cndmask_b32_e64 v4, 0, 1, vcc_lo
	v_add_co_ci_u32_e32 v18, vcc_lo, 0, v18, vcc_lo
	s_mov_b32 s20, exec_lo
	v_cmp_eq_u32_e32 vcc_lo, 0, v18
	s_delay_alu instid0(VALU_DEP_3) | instskip(NEXT) | instid1(VALU_DEP_1)
	v_cndmask_b32_e32 v4, 0, v4, vcc_lo
	v_add_nc_u32_e32 v38, v4, v38
	s_delay_alu instid0(VALU_DEP_1) | instskip(SKIP_2) | instid1(VALU_DEP_2)
	v_cmp_eq_u32_e32 vcc_lo, 0, v38
	v_mad_u64_u32 v[6:7], null, 0xcd9e8d57, v38, 0
	v_cndmask_b32_e32 v4, 0, v4, vcc_lo
	v_xor3_b32 v9, v7, v11, v18
	s_delay_alu instid0(VALU_DEP_2) | instskip(SKIP_1) | instid1(VALU_DEP_3)
	v_add_nc_u32_e32 v39, v4, v39
	v_mad_u64_u32 v[4:5], null, 0xd2511f53, v17, 0
	v_mad_u64_u32 v[7:8], null, 0xd2511f53, v9, 0
	s_delay_alu instid0(VALU_DEP_2) | instskip(NEXT) | instid1(VALU_DEP_2)
	v_xor_b32_e32 v5, v5, v12
	v_xor3_b32 v8, v19, v8, v4
	s_delay_alu instid0(VALU_DEP_2) | instskip(NEXT) | instid1(VALU_DEP_1)
	v_xor_b32_e32 v5, v39, v5
	v_mad_u64_u32 v[9:10], null, 0xcd9e8d57, v5, 0
	s_delay_alu instid0(VALU_DEP_3) | instskip(NEXT) | instid1(VALU_DEP_2)
	v_mad_u64_u32 v[4:5], null, 0xcd9e8d57, v8, 0
	v_xor3_b32 v6, v20, v10, v6
	s_delay_alu instid0(VALU_DEP_2) | instskip(NEXT) | instid1(VALU_DEP_2)
	v_xor3_b32 v8, v21, v5, v9
	v_mad_u64_u32 v[15:16], null, 0xd2511f53, v6, 0
	s_delay_alu instid0(VALU_DEP_2) | instskip(NEXT) | instid1(VALU_DEP_2)
	v_mad_u64_u32 v[5:6], null, 0xd2511f53, v8, 0
	v_xor3_b32 v9, v22, v16, v7
	s_delay_alu instid0(VALU_DEP_2) | instskip(NEXT) | instid1(VALU_DEP_2)
	v_xor3_b32 v6, v23, v6, v15
	v_mad_u64_u32 v[7:8], null, 0xcd9e8d57, v9, 0
	s_delay_alu instid0(VALU_DEP_1) | instskip(NEXT) | instid1(VALU_DEP_3)
	v_xor3_b32 v4, v24, v8, v4
	v_mad_u64_u32 v[8:9], null, 0xcd9e8d57, v6, 0
	s_delay_alu instid0(VALU_DEP_2) | instskip(NEXT) | instid1(VALU_DEP_2)
	v_mad_u64_u32 v[15:16], null, 0xd2511f53, v4, 0
	v_xor3_b32 v6, v25, v9, v7
	s_delay_alu instid0(VALU_DEP_2) | instskip(NEXT) | instid1(VALU_DEP_2)
	v_xor3_b32 v9, v26, v16, v5
	v_mad_u64_u32 v[4:5], null, 0xd2511f53, v6, 0
	s_delay_alu instid0(VALU_DEP_2) | instskip(NEXT) | instid1(VALU_DEP_2)
	v_mad_u64_u32 v[6:7], null, 0xcd9e8d57, v9, 0
	v_xor3_b32 v5, v29, v5, v15
	s_delay_alu instid0(VALU_DEP_2) | instskip(NEXT) | instid1(VALU_DEP_2)
	;; [unrolled: 6-line block ×6, first 2 shown]
	v_xor3_b32 v4, v6, v7, v28
	v_mov_b32_e32 v6, v10
	v_cmpx_lt_i32_e32 1, v27
	s_xor_b32 s20, exec_lo, s20
	s_cbranch_execnz .LBB59_12
; %bb.10:                               ;   in Loop: Header=BB59_9 Depth=1
	s_and_not1_saveexec_b32 s20, s20
	s_cbranch_execnz .LBB59_17
.LBB59_11:                              ;   in Loop: Header=BB59_9 Depth=1
	s_or_b32 exec_lo, exec_lo, s20
	s_delay_alu instid0(SALU_CYCLE_1)
	s_mov_b32 s33, exec_lo
	v_cmpx_gt_i64_e64 s[16:17], v[13:14]
	s_cbranch_execnz .LBB59_20
	s_branch .LBB59_34
.LBB59_12:                              ;   in Loop: Header=BB59_9 Depth=1
	s_mov_b32 s21, exec_lo
	v_cmpx_lt_i32_e32 2, v27
	s_xor_b32 s21, exec_lo, s21
; %bb.13:                               ;   in Loop: Header=BB59_9 Depth=1
	v_dual_mov_b32 v7, v3 :: v_dual_mov_b32 v8, v4
	v_mov_b32_e32 v9, v5
	s_delay_alu instid0(VALU_DEP_2) | instskip(NEXT) | instid1(VALU_DEP_2)
	v_dual_mov_b32 v0, v7 :: v_dual_mov_b32 v1, v8
	v_dual_mov_b32 v2, v9 :: v_dual_mov_b32 v3, v10
; %bb.14:                               ;   in Loop: Header=BB59_9 Depth=1
	s_and_not1_saveexec_b32 s21, s21
; %bb.15:                               ;   in Loop: Header=BB59_9 Depth=1
	s_delay_alu instid0(VALU_DEP_1)
	v_dual_mov_b32 v0, v2 :: v_dual_mov_b32 v1, v3
	v_dual_mov_b32 v2, v4 :: v_dual_mov_b32 v3, v5
; %bb.16:                               ;   in Loop: Header=BB59_9 Depth=1
	s_or_b32 exec_lo, exec_lo, s21
	s_and_not1_saveexec_b32 s20, s20
	s_cbranch_execz .LBB59_11
.LBB59_17:                              ;   in Loop: Header=BB59_9 Depth=1
	s_mov_b32 s21, exec_lo
	v_cmpx_eq_u32_e32 1, v27
; %bb.18:                               ;   in Loop: Header=BB59_9 Depth=1
	v_dual_mov_b32 v0, v1 :: v_dual_mov_b32 v1, v2
	v_dual_mov_b32 v2, v3 :: v_dual_mov_b32 v3, v4
; %bb.19:                               ;   in Loop: Header=BB59_9 Depth=1
	s_or_b32 exec_lo, exec_lo, s21
	s_delay_alu instid0(SALU_CYCLE_1) | instskip(NEXT) | instid1(SALU_CYCLE_1)
	s_or_b32 exec_lo, exec_lo, s20
	s_mov_b32 s33, exec_lo
	v_cmpx_gt_i64_e64 s[16:17], v[13:14]
	s_cbranch_execz .LBB59_34
.LBB59_20:                              ;   in Loop: Header=BB59_9 Depth=1
	s_and_not1_b32 vcc_lo, exec_lo, s11
	s_cbranch_vccnz .LBB59_26
; %bb.21:                               ;   in Loop: Header=BB59_9 Depth=1
	v_mov_b32_e32 v7, 0
	s_and_not1_b32 vcc_lo, exec_lo, s27
	s_cbranch_vccnz .LBB59_30
; %bb.22:                               ;   in Loop: Header=BB59_9 Depth=1
	s_and_not1_b32 vcc_lo, exec_lo, s29
	s_mov_b32 s20, 0
	s_cbranch_vccnz .LBB59_27
; %bb.23:                               ;   in Loop: Header=BB59_9 Depth=1
	v_dual_mov_b32 v7, 0 :: v_dual_mov_b32 v8, v13
	s_mov_b32 s34, 0
	s_mov_b64 s[20:21], s[12:13]
	s_mov_b64 s[22:23], s[0:1]
.LBB59_24:                              ;   Parent Loop BB59_9 Depth=1
                                        ; =>  This Inner Loop Header: Depth=2
	s_clause 0x1
	s_load_b256 s[36:43], s[20:21], 0x4
	s_load_b128 s[44:47], s[20:21], 0x24
	s_load_b128 s[48:51], s[22:23], 0x0
	s_add_u32 s20, s20, 48
	s_addc_u32 s21, s21, 0
	s_add_i32 s34, s34, 4
	s_add_u32 s22, s22, 16
	s_addc_u32 s23, s23, 0
	s_cmp_lg_u32 s30, s34
	s_waitcnt lgkmcnt(0)
	v_mul_hi_u32 v9, s37, v8
	s_delay_alu instid0(VALU_DEP_1) | instskip(NEXT) | instid1(VALU_DEP_1)
	v_add_nc_u32_e32 v9, v8, v9
	v_lshrrev_b32_e32 v9, s38, v9
	s_delay_alu instid0(VALU_DEP_1) | instskip(SKIP_1) | instid1(VALU_DEP_2)
	v_mul_hi_u32 v10, s40, v9
	v_mul_lo_u32 v41, v9, s36
	v_add_nc_u32_e32 v10, v9, v10
	s_delay_alu instid0(VALU_DEP_2) | instskip(NEXT) | instid1(VALU_DEP_2)
	v_sub_nc_u32_e32 v41, v8, v41
	v_lshrrev_b32_e32 v10, s41, v10
	s_delay_alu instid0(VALU_DEP_2) | instskip(NEXT) | instid1(VALU_DEP_2)
	v_mul_lo_u32 v41, v41, s48
	v_mul_hi_u32 v16, s43, v10
	v_mul_lo_u32 v42, v10, s39
	s_delay_alu instid0(VALU_DEP_2) | instskip(NEXT) | instid1(VALU_DEP_2)
	v_add_nc_u32_e32 v16, v10, v16
	v_sub_nc_u32_e32 v9, v9, v42
	s_delay_alu instid0(VALU_DEP_2) | instskip(NEXT) | instid1(VALU_DEP_2)
	v_lshrrev_b32_e32 v16, s44, v16
	v_mul_lo_u32 v9, v9, s49
	s_delay_alu instid0(VALU_DEP_2) | instskip(NEXT) | instid1(VALU_DEP_2)
	v_mul_hi_u32 v40, s46, v16
	v_add3_u32 v7, v41, v7, v9
	s_delay_alu instid0(VALU_DEP_2) | instskip(NEXT) | instid1(VALU_DEP_1)
	v_add_nc_u32_e32 v40, v16, v40
	v_lshrrev_b32_e32 v8, s47, v40
	v_mul_lo_u32 v40, v16, s42
	s_delay_alu instid0(VALU_DEP_2) | instskip(NEXT) | instid1(VALU_DEP_2)
	v_mul_lo_u32 v43, v8, s45
	v_sub_nc_u32_e32 v10, v10, v40
	s_delay_alu instid0(VALU_DEP_2) | instskip(NEXT) | instid1(VALU_DEP_2)
	v_sub_nc_u32_e32 v16, v16, v43
	v_mul_lo_u32 v10, v10, s50
	s_delay_alu instid0(VALU_DEP_2) | instskip(NEXT) | instid1(VALU_DEP_1)
	v_mul_lo_u32 v16, v16, s51
	v_add3_u32 v7, v10, v7, v16
	s_cbranch_scc1 .LBB59_24
; %bb.25:                               ;   in Loop: Header=BB59_9 Depth=1
	s_mov_b32 s20, s30
	s_and_not1_b32 vcc_lo, exec_lo, s31
	s_cbranch_vccz .LBB59_28
	s_branch .LBB59_30
.LBB59_26:                              ;   in Loop: Header=BB59_9 Depth=1
                                        ; implicit-def: $vgpr7
	s_branch .LBB59_31
.LBB59_27:                              ;   in Loop: Header=BB59_9 Depth=1
	v_mov_b32_e32 v8, v13
	s_and_not1_b32 vcc_lo, exec_lo, s31
	s_cbranch_vccnz .LBB59_30
.LBB59_28:                              ;   in Loop: Header=BB59_9 Depth=1
	s_lshl_b32 s21, s20, 2
	s_mul_i32 s22, s20, 12
	s_add_u32 s20, s0, s21
	s_addc_u32 s21, s1, 0
	s_add_u32 s22, s12, s22
	s_addc_u32 s23, s13, 0
	s_mov_b32 s34, s28
	.p2align	6
.LBB59_29:                              ;   Parent Loop BB59_9 Depth=1
                                        ; =>  This Inner Loop Header: Depth=2
	s_clause 0x1
	s_load_b64 s[36:37], s[22:23], 0x4
	s_load_b32 s35, s[22:23], 0xc
	s_add_u32 s22, s22, 12
	s_addc_u32 s23, s23, 0
	s_waitcnt lgkmcnt(0)
	v_mul_hi_u32 v9, s37, v8
	s_load_b32 s37, s[20:21], 0x0
	s_add_u32 s20, s20, 4
	s_addc_u32 s21, s21, 0
	s_add_i32 s34, s34, -1
	s_delay_alu instid0(SALU_CYCLE_1) | instskip(NEXT) | instid1(VALU_DEP_1)
	s_cmp_lg_u32 s34, 0
	v_add_nc_u32_e32 v9, v8, v9
	s_delay_alu instid0(VALU_DEP_1) | instskip(NEXT) | instid1(VALU_DEP_1)
	v_lshrrev_b32_e32 v16, s35, v9
	v_mul_lo_u32 v9, v16, s36
	s_delay_alu instid0(VALU_DEP_1) | instskip(SKIP_1) | instid1(VALU_DEP_1)
	v_sub_nc_u32_e32 v8, v8, v9
	s_waitcnt lgkmcnt(0)
	v_mad_u64_u32 v[9:10], null, v8, s37, v[7:8]
	s_delay_alu instid0(VALU_DEP_1)
	v_dual_mov_b32 v8, v16 :: v_dual_mov_b32 v7, v9
	s_cbranch_scc1 .LBB59_29
.LBB59_30:                              ;   in Loop: Header=BB59_9 Depth=1
	s_cbranch_execnz .LBB59_33
.LBB59_31:                              ;   in Loop: Header=BB59_9 Depth=1
	v_mul_hi_u32 v7, v13, s6
	s_and_not1_b32 vcc_lo, exec_lo, s4
	s_delay_alu instid0(VALU_DEP_1) | instskip(NEXT) | instid1(VALU_DEP_1)
	v_add_nc_u32_e32 v7, v7, v13
	v_lshrrev_b32_e32 v8, s7, v7
	s_delay_alu instid0(VALU_DEP_1) | instskip(NEXT) | instid1(VALU_DEP_1)
	v_mul_lo_u32 v7, v8, s5
	v_sub_nc_u32_e32 v7, v13, v7
	s_delay_alu instid0(VALU_DEP_1)
	v_mul_lo_u32 v7, v7, s14
	s_cbranch_vccnz .LBB59_33
; %bb.32:                               ;   in Loop: Header=BB59_9 Depth=1
	v_mul_hi_u32 v9, s9, v8
	s_delay_alu instid0(VALU_DEP_1) | instskip(NEXT) | instid1(VALU_DEP_1)
	v_add_nc_u32_e32 v9, v8, v9
	v_lshrrev_b32_e32 v9, s10, v9
	s_delay_alu instid0(VALU_DEP_1) | instskip(NEXT) | instid1(VALU_DEP_1)
	v_mul_lo_u32 v9, v9, s8
	v_sub_nc_u32_e32 v10, v8, v9
	s_delay_alu instid0(VALU_DEP_1) | instskip(NEXT) | instid1(VALU_DEP_1)
	v_mad_u64_u32 v[8:9], null, v10, s15, v[7:8]
	v_mov_b32_e32 v7, v8
.LBB59_33:                              ;   in Loop: Header=BB59_9 Depth=1
	v_dual_mov_b32 v8, v1 :: v_dual_mov_b32 v9, v0
	global_store_b64 v7, v[8:9], s[18:19]
.LBB59_34:                              ;   in Loop: Header=BB59_9 Depth=1
	s_or_b32 exec_lo, exec_lo, s33
	v_add_co_u32 v0, vcc_lo, v13, s24
	v_add_co_ci_u32_e32 v1, vcc_lo, 0, v14, vcc_lo
	s_mov_b32 s33, exec_lo
	s_delay_alu instid0(VALU_DEP_1)
	v_cmpx_gt_i64_e64 s[16:17], v[0:1]
	s_cbranch_execz .LBB59_8
; %bb.35:                               ;   in Loop: Header=BB59_9 Depth=1
	s_and_not1_b32 vcc_lo, exec_lo, s11
	s_cbranch_vccnz .LBB59_41
; %bb.36:                               ;   in Loop: Header=BB59_9 Depth=1
	v_mov_b32_e32 v7, 0
	s_and_not1_b32 vcc_lo, exec_lo, s27
	s_cbranch_vccnz .LBB59_45
; %bb.37:                               ;   in Loop: Header=BB59_9 Depth=1
	s_and_not1_b32 vcc_lo, exec_lo, s29
	s_mov_b32 s20, 0
	s_cbranch_vccnz .LBB59_42
; %bb.38:                               ;   in Loop: Header=BB59_9 Depth=1
	v_mov_b32_e32 v7, 0
	v_mov_b32_e32 v1, v0
	s_mov_b32 s34, 0
	s_mov_b64 s[20:21], s[12:13]
	s_mov_b64 s[22:23], s[0:1]
.LBB59_39:                              ;   Parent Loop BB59_9 Depth=1
                                        ; =>  This Inner Loop Header: Depth=2
	s_clause 0x1
	s_load_b256 s[36:43], s[20:21], 0x4
	s_load_b128 s[44:47], s[20:21], 0x24
	s_load_b128 s[48:51], s[22:23], 0x0
	s_add_u32 s20, s20, 48
	s_addc_u32 s21, s21, 0
	s_add_i32 s34, s34, 4
	s_add_u32 s22, s22, 16
	s_addc_u32 s23, s23, 0
	s_cmp_eq_u32 s30, s34
	s_waitcnt lgkmcnt(0)
	v_mul_hi_u32 v8, s37, v1
	s_delay_alu instid0(VALU_DEP_1) | instskip(NEXT) | instid1(VALU_DEP_1)
	v_add_nc_u32_e32 v8, v1, v8
	v_lshrrev_b32_e32 v8, s38, v8
	s_delay_alu instid0(VALU_DEP_1) | instskip(SKIP_1) | instid1(VALU_DEP_2)
	v_mul_hi_u32 v9, s40, v8
	v_mul_lo_u32 v40, v8, s36
	v_add_nc_u32_e32 v9, v8, v9
	s_delay_alu instid0(VALU_DEP_2) | instskip(NEXT) | instid1(VALU_DEP_2)
	v_sub_nc_u32_e32 v40, v1, v40
	v_lshrrev_b32_e32 v9, s41, v9
	s_delay_alu instid0(VALU_DEP_2) | instskip(NEXT) | instid1(VALU_DEP_2)
	v_mul_lo_u32 v40, v40, s48
	v_mul_hi_u32 v10, s43, v9
	v_mul_lo_u32 v41, v9, s39
	s_delay_alu instid0(VALU_DEP_2) | instskip(NEXT) | instid1(VALU_DEP_2)
	v_add_nc_u32_e32 v10, v9, v10
	v_sub_nc_u32_e32 v8, v8, v41
	s_delay_alu instid0(VALU_DEP_2) | instskip(NEXT) | instid1(VALU_DEP_2)
	v_lshrrev_b32_e32 v10, s44, v10
	v_mul_lo_u32 v8, v8, s49
	s_delay_alu instid0(VALU_DEP_2) | instskip(NEXT) | instid1(VALU_DEP_2)
	v_mul_hi_u32 v16, s46, v10
	v_add3_u32 v7, v40, v7, v8
	s_delay_alu instid0(VALU_DEP_2) | instskip(NEXT) | instid1(VALU_DEP_1)
	v_add_nc_u32_e32 v16, v10, v16
	v_lshrrev_b32_e32 v1, s47, v16
	v_mul_lo_u32 v16, v10, s42
	s_delay_alu instid0(VALU_DEP_2) | instskip(NEXT) | instid1(VALU_DEP_2)
	v_mul_lo_u32 v42, v1, s45
	v_sub_nc_u32_e32 v9, v9, v16
	s_delay_alu instid0(VALU_DEP_2) | instskip(NEXT) | instid1(VALU_DEP_2)
	v_sub_nc_u32_e32 v10, v10, v42
	v_mul_lo_u32 v9, v9, s50
	s_delay_alu instid0(VALU_DEP_2) | instskip(NEXT) | instid1(VALU_DEP_1)
	v_mul_lo_u32 v10, v10, s51
	v_add3_u32 v7, v9, v7, v10
	s_cbranch_scc0 .LBB59_39
; %bb.40:                               ;   in Loop: Header=BB59_9 Depth=1
	s_mov_b32 s20, s30
	s_and_not1_b32 vcc_lo, exec_lo, s31
	s_cbranch_vccz .LBB59_43
	s_branch .LBB59_45
.LBB59_41:                              ;   in Loop: Header=BB59_9 Depth=1
                                        ; implicit-def: $vgpr7
	s_branch .LBB59_46
.LBB59_42:                              ;   in Loop: Header=BB59_9 Depth=1
	v_mov_b32_e32 v1, v0
	s_and_not1_b32 vcc_lo, exec_lo, s31
	s_cbranch_vccnz .LBB59_45
.LBB59_43:                              ;   in Loop: Header=BB59_9 Depth=1
	s_lshl_b32 s21, s20, 2
	s_mul_i32 s22, s20, 12
	s_add_u32 s20, s0, s21
	s_addc_u32 s21, s1, 0
	s_add_u32 s22, s12, s22
	s_addc_u32 s23, s13, 0
	s_mov_b32 s34, s28
	.p2align	6
.LBB59_44:                              ;   Parent Loop BB59_9 Depth=1
                                        ; =>  This Inner Loop Header: Depth=2
	s_clause 0x1
	s_load_b64 s[36:37], s[22:23], 0x4
	s_load_b32 s35, s[22:23], 0xc
	s_add_u32 s22, s22, 12
	s_addc_u32 s23, s23, 0
	s_waitcnt lgkmcnt(0)
	v_mul_hi_u32 v8, s37, v1
	s_load_b32 s37, s[20:21], 0x0
	s_add_u32 s20, s20, 4
	s_addc_u32 s21, s21, 0
	s_add_i32 s34, s34, -1
	s_delay_alu instid0(SALU_CYCLE_1) | instskip(NEXT) | instid1(VALU_DEP_1)
	s_cmp_lg_u32 s34, 0
	v_add_nc_u32_e32 v8, v1, v8
	s_delay_alu instid0(VALU_DEP_1) | instskip(NEXT) | instid1(VALU_DEP_1)
	v_lshrrev_b32_e32 v10, s35, v8
	v_mul_lo_u32 v8, v10, s36
	s_delay_alu instid0(VALU_DEP_1) | instskip(SKIP_1) | instid1(VALU_DEP_1)
	v_sub_nc_u32_e32 v1, v1, v8
	s_waitcnt lgkmcnt(0)
	v_mad_u64_u32 v[8:9], null, v1, s37, v[7:8]
	v_mov_b32_e32 v1, v10
	s_delay_alu instid0(VALU_DEP_2)
	v_mov_b32_e32 v7, v8
	s_cbranch_scc1 .LBB59_44
.LBB59_45:                              ;   in Loop: Header=BB59_9 Depth=1
	s_cbranch_execnz .LBB59_7
.LBB59_46:                              ;   in Loop: Header=BB59_9 Depth=1
	v_mul_hi_u32 v1, v0, s6
	s_and_not1_b32 vcc_lo, exec_lo, s4
	s_delay_alu instid0(VALU_DEP_1) | instskip(NEXT) | instid1(VALU_DEP_1)
	v_add_nc_u32_e32 v1, v1, v0
	v_lshrrev_b32_e32 v1, s7, v1
	s_delay_alu instid0(VALU_DEP_1) | instskip(NEXT) | instid1(VALU_DEP_1)
	v_mul_lo_u32 v7, v1, s5
	v_sub_nc_u32_e32 v0, v0, v7
	s_delay_alu instid0(VALU_DEP_1)
	v_mul_lo_u32 v7, v0, s14
	s_cbranch_vccnz .LBB59_7
; %bb.47:                               ;   in Loop: Header=BB59_9 Depth=1
	v_mul_hi_u32 v0, s9, v1
	s_delay_alu instid0(VALU_DEP_1) | instskip(NEXT) | instid1(VALU_DEP_1)
	v_add_nc_u32_e32 v0, v1, v0
	v_lshrrev_b32_e32 v0, s10, v0
	s_delay_alu instid0(VALU_DEP_1) | instskip(NEXT) | instid1(VALU_DEP_1)
	v_mul_lo_u32 v0, v0, s8
	v_sub_nc_u32_e32 v8, v1, v0
	s_delay_alu instid0(VALU_DEP_1) | instskip(NEXT) | instid1(VALU_DEP_1)
	v_mad_u64_u32 v[0:1], null, v8, s15, v[7:8]
	v_mov_b32_e32 v7, v0
	s_branch .LBB59_7
.LBB59_48:
	s_endpgm
.LBB59_49:
                                        ; implicit-def: $sgpr2_sgpr3
	s_branch .LBB59_4
	.section	.rodata,"a",@progbits
	.p2align	6, 0x0
	.amdhsa_kernel _ZN2at6native12_GLOBAL__N_143distribution_elementwise_grid_stride_kernelImLi2EZZZNS0_9templates4cuda32random_full_64_bits_range_kernelIPNS_17CUDAGeneratorImplEEEvRNS_18TensorIteratorBaseET_ENKUlvE_clEvENKUlvE2_clEvEUlP25hiprandStatePhilox4_32_10E_ZNS1_27distribution_nullary_kernelIlm15HIP_vector_typeIyLj2EES7_SF_ZZZNS5_IS7_EEvS9_SA_ENKSB_clEvENKSC_clEvEUlmE_EEvS9_T2_RKT3_T4_EUlimE0_EEvlNS_15PhiloxCudaStateET1_SK_
		.amdhsa_group_segment_fixed_size 0
		.amdhsa_private_segment_fixed_size 0
		.amdhsa_kernarg_size 584
		.amdhsa_user_sgpr_count 15
		.amdhsa_user_sgpr_dispatch_ptr 0
		.amdhsa_user_sgpr_queue_ptr 0
		.amdhsa_user_sgpr_kernarg_segment_ptr 1
		.amdhsa_user_sgpr_dispatch_id 0
		.amdhsa_user_sgpr_private_segment_size 0
		.amdhsa_wavefront_size32 1
		.amdhsa_uses_dynamic_stack 0
		.amdhsa_enable_private_segment 0
		.amdhsa_system_sgpr_workgroup_id_x 1
		.amdhsa_system_sgpr_workgroup_id_y 0
		.amdhsa_system_sgpr_workgroup_id_z 0
		.amdhsa_system_sgpr_workgroup_info 0
		.amdhsa_system_vgpr_workitem_id 0
		.amdhsa_next_free_vgpr 44
		.amdhsa_next_free_sgpr 52
		.amdhsa_reserve_vcc 1
		.amdhsa_float_round_mode_32 0
		.amdhsa_float_round_mode_16_64 0
		.amdhsa_float_denorm_mode_32 3
		.amdhsa_float_denorm_mode_16_64 3
		.amdhsa_dx10_clamp 1
		.amdhsa_ieee_mode 1
		.amdhsa_fp16_overflow 0
		.amdhsa_workgroup_processor_mode 1
		.amdhsa_memory_ordered 1
		.amdhsa_forward_progress 0
		.amdhsa_shared_vgpr_count 0
		.amdhsa_exception_fp_ieee_invalid_op 0
		.amdhsa_exception_fp_denorm_src 0
		.amdhsa_exception_fp_ieee_div_zero 0
		.amdhsa_exception_fp_ieee_overflow 0
		.amdhsa_exception_fp_ieee_underflow 0
		.amdhsa_exception_fp_ieee_inexact 0
		.amdhsa_exception_int_div_zero 0
	.end_amdhsa_kernel
	.section	.text._ZN2at6native12_GLOBAL__N_143distribution_elementwise_grid_stride_kernelImLi2EZZZNS0_9templates4cuda32random_full_64_bits_range_kernelIPNS_17CUDAGeneratorImplEEEvRNS_18TensorIteratorBaseET_ENKUlvE_clEvENKUlvE2_clEvEUlP25hiprandStatePhilox4_32_10E_ZNS1_27distribution_nullary_kernelIlm15HIP_vector_typeIyLj2EES7_SF_ZZZNS5_IS7_EEvS9_SA_ENKSB_clEvENKSC_clEvEUlmE_EEvS9_T2_RKT3_T4_EUlimE0_EEvlNS_15PhiloxCudaStateET1_SK_,"axG",@progbits,_ZN2at6native12_GLOBAL__N_143distribution_elementwise_grid_stride_kernelImLi2EZZZNS0_9templates4cuda32random_full_64_bits_range_kernelIPNS_17CUDAGeneratorImplEEEvRNS_18TensorIteratorBaseET_ENKUlvE_clEvENKUlvE2_clEvEUlP25hiprandStatePhilox4_32_10E_ZNS1_27distribution_nullary_kernelIlm15HIP_vector_typeIyLj2EES7_SF_ZZZNS5_IS7_EEvS9_SA_ENKSB_clEvENKSC_clEvEUlmE_EEvS9_T2_RKT3_T4_EUlimE0_EEvlNS_15PhiloxCudaStateET1_SK_,comdat
.Lfunc_end59:
	.size	_ZN2at6native12_GLOBAL__N_143distribution_elementwise_grid_stride_kernelImLi2EZZZNS0_9templates4cuda32random_full_64_bits_range_kernelIPNS_17CUDAGeneratorImplEEEvRNS_18TensorIteratorBaseET_ENKUlvE_clEvENKUlvE2_clEvEUlP25hiprandStatePhilox4_32_10E_ZNS1_27distribution_nullary_kernelIlm15HIP_vector_typeIyLj2EES7_SF_ZZZNS5_IS7_EEvS9_SA_ENKSB_clEvENKSC_clEvEUlmE_EEvS9_T2_RKT3_T4_EUlimE0_EEvlNS_15PhiloxCudaStateET1_SK_, .Lfunc_end59-_ZN2at6native12_GLOBAL__N_143distribution_elementwise_grid_stride_kernelImLi2EZZZNS0_9templates4cuda32random_full_64_bits_range_kernelIPNS_17CUDAGeneratorImplEEEvRNS_18TensorIteratorBaseET_ENKUlvE_clEvENKUlvE2_clEvEUlP25hiprandStatePhilox4_32_10E_ZNS1_27distribution_nullary_kernelIlm15HIP_vector_typeIyLj2EES7_SF_ZZZNS5_IS7_EEvS9_SA_ENKSB_clEvENKSC_clEvEUlmE_EEvS9_T2_RKT3_T4_EUlimE0_EEvlNS_15PhiloxCudaStateET1_SK_
                                        ; -- End function
	.section	.AMDGPU.csdata,"",@progbits
; Kernel info:
; codeLenInByte = 3824
; NumSgprs: 54
; NumVgprs: 44
; ScratchSize: 0
; MemoryBound: 0
; FloatMode: 240
; IeeeMode: 1
; LDSByteSize: 0 bytes/workgroup (compile time only)
; SGPRBlocks: 6
; VGPRBlocks: 5
; NumSGPRsForWavesPerEU: 54
; NumVGPRsForWavesPerEU: 44
; Occupancy: 16
; WaveLimiterHint : 1
; COMPUTE_PGM_RSRC2:SCRATCH_EN: 0
; COMPUTE_PGM_RSRC2:USER_SGPR: 15
; COMPUTE_PGM_RSRC2:TRAP_HANDLER: 0
; COMPUTE_PGM_RSRC2:TGID_X_EN: 1
; COMPUTE_PGM_RSRC2:TGID_Y_EN: 0
; COMPUTE_PGM_RSRC2:TGID_Z_EN: 0
; COMPUTE_PGM_RSRC2:TIDIG_COMP_CNT: 0
	.section	.text._ZN2at6native12_GLOBAL__N_143distribution_elementwise_grid_stride_kernelImLi2EZZZNS0_9templates4cuda32random_full_64_bits_range_kernelIPNS_17CUDAGeneratorImplEEEvRNS_18TensorIteratorBaseET_ENKUlvE_clEvENKUlvE3_clEvEUlP25hiprandStatePhilox4_32_10E_ZNS1_27distribution_nullary_kernelIsm15HIP_vector_typeIyLj2EES7_SF_ZZZNS5_IS7_EEvS9_SA_ENKSB_clEvENKSC_clEvEUlmE_EEvS9_T2_RKT3_T4_EUlimE_EEvlNS_15PhiloxCudaStateET1_SK_,"axG",@progbits,_ZN2at6native12_GLOBAL__N_143distribution_elementwise_grid_stride_kernelImLi2EZZZNS0_9templates4cuda32random_full_64_bits_range_kernelIPNS_17CUDAGeneratorImplEEEvRNS_18TensorIteratorBaseET_ENKUlvE_clEvENKUlvE3_clEvEUlP25hiprandStatePhilox4_32_10E_ZNS1_27distribution_nullary_kernelIsm15HIP_vector_typeIyLj2EES7_SF_ZZZNS5_IS7_EEvS9_SA_ENKSB_clEvENKSC_clEvEUlmE_EEvS9_T2_RKT3_T4_EUlimE_EEvlNS_15PhiloxCudaStateET1_SK_,comdat
	.globl	_ZN2at6native12_GLOBAL__N_143distribution_elementwise_grid_stride_kernelImLi2EZZZNS0_9templates4cuda32random_full_64_bits_range_kernelIPNS_17CUDAGeneratorImplEEEvRNS_18TensorIteratorBaseET_ENKUlvE_clEvENKUlvE3_clEvEUlP25hiprandStatePhilox4_32_10E_ZNS1_27distribution_nullary_kernelIsm15HIP_vector_typeIyLj2EES7_SF_ZZZNS5_IS7_EEvS9_SA_ENKSB_clEvENKSC_clEvEUlmE_EEvS9_T2_RKT3_T4_EUlimE_EEvlNS_15PhiloxCudaStateET1_SK_ ; -- Begin function _ZN2at6native12_GLOBAL__N_143distribution_elementwise_grid_stride_kernelImLi2EZZZNS0_9templates4cuda32random_full_64_bits_range_kernelIPNS_17CUDAGeneratorImplEEEvRNS_18TensorIteratorBaseET_ENKUlvE_clEvENKUlvE3_clEvEUlP25hiprandStatePhilox4_32_10E_ZNS1_27distribution_nullary_kernelIsm15HIP_vector_typeIyLj2EES7_SF_ZZZNS5_IS7_EEvS9_SA_ENKSB_clEvENKSC_clEvEUlmE_EEvS9_T2_RKT3_T4_EUlimE_EEvlNS_15PhiloxCudaStateET1_SK_
	.p2align	8
	.type	_ZN2at6native12_GLOBAL__N_143distribution_elementwise_grid_stride_kernelImLi2EZZZNS0_9templates4cuda32random_full_64_bits_range_kernelIPNS_17CUDAGeneratorImplEEEvRNS_18TensorIteratorBaseET_ENKUlvE_clEvENKUlvE3_clEvEUlP25hiprandStatePhilox4_32_10E_ZNS1_27distribution_nullary_kernelIsm15HIP_vector_typeIyLj2EES7_SF_ZZZNS5_IS7_EEvS9_SA_ENKSB_clEvENKSC_clEvEUlmE_EEvS9_T2_RKT3_T4_EUlimE_EEvlNS_15PhiloxCudaStateET1_SK_,@function
_ZN2at6native12_GLOBAL__N_143distribution_elementwise_grid_stride_kernelImLi2EZZZNS0_9templates4cuda32random_full_64_bits_range_kernelIPNS_17CUDAGeneratorImplEEEvRNS_18TensorIteratorBaseET_ENKUlvE_clEvENKUlvE3_clEvEUlP25hiprandStatePhilox4_32_10E_ZNS1_27distribution_nullary_kernelIsm15HIP_vector_typeIyLj2EES7_SF_ZZZNS5_IS7_EEvS9_SA_ENKSB_clEvENKSC_clEvEUlmE_EEvS9_T2_RKT3_T4_EUlimE_EEvlNS_15PhiloxCudaStateET1_SK_: ; @_ZN2at6native12_GLOBAL__N_143distribution_elementwise_grid_stride_kernelImLi2EZZZNS0_9templates4cuda32random_full_64_bits_range_kernelIPNS_17CUDAGeneratorImplEEEvRNS_18TensorIteratorBaseET_ENKUlvE_clEvENKUlvE3_clEvEUlP25hiprandStatePhilox4_32_10E_ZNS1_27distribution_nullary_kernelIsm15HIP_vector_typeIyLj2EES7_SF_ZZZNS5_IS7_EEvS9_SA_ENKSB_clEvENKSC_clEvEUlmE_EEvS9_T2_RKT3_T4_EUlimE_EEvlNS_15PhiloxCudaStateET1_SK_
; %bb.0:
	s_clause 0x2
	s_load_b64 s[8:9], s[0:1], 0x10
	s_load_b128 s[4:7], s[0:1], 0x0
	s_load_b32 s2, s[0:1], 0x20
	s_waitcnt lgkmcnt(0)
	v_dual_mov_b32 v2, s8 :: v_dual_mov_b32 v3, s9
	v_dual_mov_b32 v11, s7 :: v_dual_mov_b32 v10, s6
	s_bitcmp0_b32 s2, 0
	s_mov_b32 s2, 0
	s_cbranch_scc1 .LBB60_2
; %bb.1:
	v_dual_mov_b32 v1, s8 :: v_dual_mov_b32 v2, s9
	v_dual_mov_b32 v4, s6 :: v_dual_mov_b32 v5, s7
	s_load_b64 s[6:7], s[0:1], 0x18
	flat_load_b64 v[2:3], v[1:2]
	flat_load_b64 v[10:11], v[4:5]
	s_waitcnt vmcnt(1) lgkmcnt(0)
	v_add_co_u32 v2, vcc_lo, v2, s6
	v_add_co_ci_u32_e32 v3, vcc_lo, s7, v3, vcc_lo
.LBB60_2:
	s_clause 0x1
	s_load_b32 s3, s[0:1], 0x4c
	s_load_b32 s11, s[0:1], 0x40
	s_waitcnt lgkmcnt(0)
	s_and_b32 s10, s3, 0xffff
	s_add_u32 s6, s4, -1
	s_mul_i32 s8, s11, s10
	s_addc_u32 s3, s5, -1
	s_lshl_b32 s9, s8, 1
	s_cmp_lg_u64 s[2:3], 0
	s_cbranch_scc0 .LBB60_23
; %bb.3:
	v_cvt_f32_ubyte0_e32 v1, 0
	v_cvt_f32_u32_e32 v4, s9
	s_sub_u32 s12, 0, s9
	s_subb_u32 s13, 0, 0
	s_delay_alu instid0(VALU_DEP_1) | instskip(NEXT) | instid1(VALU_DEP_1)
	v_fmamk_f32 v1, v1, 0x4f800000, v4
	v_rcp_f32_e32 v1, v1
	s_waitcnt_depctr 0xfff
	v_mul_f32_e32 v1, 0x5f7ffffc, v1
	s_delay_alu instid0(VALU_DEP_1) | instskip(NEXT) | instid1(VALU_DEP_1)
	v_mul_f32_e32 v4, 0x2f800000, v1
	v_trunc_f32_e32 v4, v4
	s_delay_alu instid0(VALU_DEP_1) | instskip(SKIP_1) | instid1(VALU_DEP_2)
	v_fmamk_f32 v1, v4, 0xcf800000, v1
	v_cvt_u32_f32_e32 v4, v4
	v_cvt_u32_f32_e32 v1, v1
	s_delay_alu instid0(VALU_DEP_2) | instskip(NEXT) | instid1(VALU_DEP_2)
	v_readfirstlane_b32 s2, v4
	v_readfirstlane_b32 s7, v1
	s_delay_alu instid0(VALU_DEP_2) | instskip(NEXT) | instid1(VALU_DEP_1)
	s_mul_i32 s14, s12, s2
	s_mul_hi_u32 s17, s12, s7
	s_mul_i32 s16, s13, s7
	s_add_i32 s14, s17, s14
	s_mul_i32 s18, s12, s7
	s_add_i32 s14, s14, s16
	s_mul_hi_u32 s17, s7, s18
	s_mul_hi_u32 s19, s2, s18
	s_mul_i32 s16, s2, s18
	s_mul_hi_u32 s18, s7, s14
	s_mul_i32 s7, s7, s14
	s_mul_hi_u32 s20, s2, s14
	s_add_u32 s7, s17, s7
	s_addc_u32 s17, 0, s18
	s_add_u32 s7, s7, s16
	s_mul_i32 s14, s2, s14
	s_addc_u32 s7, s17, s19
	s_addc_u32 s16, s20, 0
	s_add_u32 s7, s7, s14
	s_addc_u32 s14, 0, s16
	v_add_co_u32 v1, s7, v1, s7
	s_delay_alu instid0(VALU_DEP_1) | instskip(SKIP_1) | instid1(VALU_DEP_1)
	s_cmp_lg_u32 s7, 0
	s_addc_u32 s2, s2, s14
	v_readfirstlane_b32 s7, v1
	s_mul_i32 s14, s12, s2
	s_delay_alu instid0(VALU_DEP_1)
	s_mul_hi_u32 s16, s12, s7
	s_mul_i32 s13, s13, s7
	s_add_i32 s14, s16, s14
	s_mul_i32 s12, s12, s7
	s_add_i32 s14, s14, s13
	s_mul_hi_u32 s16, s2, s12
	s_mul_i32 s17, s2, s12
	s_mul_hi_u32 s12, s7, s12
	s_mul_hi_u32 s18, s7, s14
	s_mul_i32 s7, s7, s14
	s_mul_hi_u32 s13, s2, s14
	s_add_u32 s7, s12, s7
	s_addc_u32 s12, 0, s18
	s_add_u32 s7, s7, s17
	s_mul_i32 s14, s2, s14
	s_addc_u32 s7, s12, s16
	s_addc_u32 s12, s13, 0
	s_add_u32 s7, s7, s14
	s_addc_u32 s12, 0, s12
	v_add_co_u32 v1, s7, v1, s7
	s_delay_alu instid0(VALU_DEP_1) | instskip(SKIP_2) | instid1(VALU_DEP_1)
	s_cmp_lg_u32 s7, 0
	s_addc_u32 s7, s2, s12
	s_ashr_i32 s12, s3, 31
	v_readfirstlane_b32 s14, v1
	s_add_u32 s2, s6, s12
	s_mov_b32 s13, s12
	s_addc_u32 s3, s3, s12
	s_delay_alu instid0(SALU_CYCLE_1) | instskip(NEXT) | instid1(SALU_CYCLE_1)
	s_xor_b64 s[2:3], s[2:3], s[12:13]
	s_mul_i32 s17, s2, s7
	s_mul_hi_u32 s18, s2, s14
	s_mul_hi_u32 s16, s2, s7
	;; [unrolled: 1-line block ×3, first 2 shown]
	s_mul_i32 s14, s3, s14
	s_add_u32 s17, s18, s17
	s_addc_u32 s16, 0, s16
	s_mul_hi_u32 s19, s3, s7
	s_add_u32 s14, s17, s14
	s_mul_i32 s7, s3, s7
	s_addc_u32 s14, s16, s20
	s_addc_u32 s16, s19, 0
	s_add_u32 s7, s14, s7
	s_addc_u32 s14, 0, s16
	s_mul_i32 s17, s9, s7
	s_add_u32 s16, s7, 1
	v_sub_co_u32 v1, s2, s2, s17
	s_mul_hi_u32 s17, s9, s7
	s_addc_u32 s18, s14, 0
	s_mul_i32 s19, s9, s14
	s_delay_alu instid0(VALU_DEP_1)
	v_sub_co_u32 v4, s20, v1, s9
	s_add_u32 s21, s7, 2
	s_addc_u32 s22, s14, 0
	s_add_i32 s17, s17, s19
	s_cmp_lg_u32 s2, 0
	v_readfirstlane_b32 s2, v4
	s_subb_u32 s3, s3, s17
	s_cmp_lg_u32 s20, 0
	s_subb_u32 s17, s3, 0
	s_delay_alu instid0(VALU_DEP_1) | instskip(SKIP_4) | instid1(SALU_CYCLE_1)
	s_cmp_ge_u32 s2, s9
	s_cselect_b32 s2, -1, 0
	s_cmp_eq_u32 s17, 0
	v_readfirstlane_b32 s17, v1
	s_cselect_b32 s2, s2, -1
	s_cmp_lg_u32 s2, 0
	s_cselect_b32 s2, s21, s16
	s_cselect_b32 s16, s22, s18
	s_cmp_ge_u32 s17, s9
	s_cselect_b32 s17, -1, 0
	s_cmp_eq_u32 s3, 0
	s_cselect_b32 s3, s17, -1
	s_delay_alu instid0(SALU_CYCLE_1) | instskip(SKIP_2) | instid1(SALU_CYCLE_1)
	s_cmp_lg_u32 s3, 0
	s_cselect_b32 s3, s16, s14
	s_cselect_b32 s2, s2, s7
	s_xor_b64 s[2:3], s[2:3], s[12:13]
	s_delay_alu instid0(SALU_CYCLE_1)
	s_sub_u32 s2, s2, s12
	s_subb_u32 s3, s3, s12
	s_cbranch_execnz .LBB60_5
.LBB60_4:
	v_cvt_f32_u32_e32 v1, s9
	s_sub_i32 s3, 0, s9
	s_delay_alu instid0(VALU_DEP_1) | instskip(SKIP_2) | instid1(VALU_DEP_1)
	v_rcp_iflag_f32_e32 v1, v1
	s_waitcnt_depctr 0xfff
	v_mul_f32_e32 v1, 0x4f7ffffe, v1
	v_cvt_u32_f32_e32 v1, v1
	s_delay_alu instid0(VALU_DEP_1) | instskip(NEXT) | instid1(VALU_DEP_1)
	v_readfirstlane_b32 s2, v1
	s_mul_i32 s3, s3, s2
	s_delay_alu instid0(SALU_CYCLE_1) | instskip(NEXT) | instid1(SALU_CYCLE_1)
	s_mul_hi_u32 s3, s2, s3
	s_add_i32 s2, s2, s3
	s_delay_alu instid0(SALU_CYCLE_1) | instskip(NEXT) | instid1(SALU_CYCLE_1)
	s_mul_hi_u32 s2, s6, s2
	s_mul_i32 s3, s2, s9
	s_delay_alu instid0(SALU_CYCLE_1)
	s_sub_i32 s3, s6, s3
	s_add_i32 s6, s2, 1
	s_sub_i32 s7, s3, s9
	s_cmp_ge_u32 s3, s9
	s_cselect_b32 s2, s6, s2
	s_cselect_b32 s3, s7, s3
	s_add_i32 s6, s2, 1
	s_cmp_ge_u32 s3, s9
	s_mov_b32 s3, 0
	s_cselect_b32 s2, s6, s2
.LBB60_5:
	v_mov_b32_e32 v1, 0
	s_add_u32 s2, s2, 1
	s_addc_u32 s3, s3, 0
	s_mul_hi_u32 s6, s8, s2
	s_mul_i32 s3, s8, s3
	v_mad_u64_u32 v[12:13], null, s10, s15, v[0:1]
	s_mul_hi_u32 s7, s11, s10
	s_add_i32 s3, s6, s3
	s_mul_i32 s7, s7, s2
	s_mul_i32 s2, s8, s2
	s_add_i32 s3, s3, s7
	s_mov_b32 s6, exec_lo
	s_lshl_b64 s[2:3], s[2:3], 1
	s_delay_alu instid0(SALU_CYCLE_1)
	v_cmpx_gt_i64_e64 s[2:3], v[12:13]
	s_cbranch_execz .LBB60_22
; %bb.6:
	v_mad_u64_u32 v[4:5], null, 0xcd9e8d57, v12, 0
	v_alignbit_b32 v16, v3, v2, 2
	v_lshrrev_b32_e32 v17, 2, v3
	s_waitcnt vmcnt(0)
	v_dual_mov_b32 v33, v11 :: v_dual_and_b32 v34, 3, v2
	v_add_co_u32 v19, null, 0x9e3779b9, v10
	v_mad_u64_u32 v[6:7], null, 0xd2511f53, v16, 0
	v_xor3_b32 v1, v10, v5, v17
	s_delay_alu instid0(VALU_DEP_4) | instskip(SKIP_1) | instid1(VALU_DEP_3)
	v_add_co_u32 v18, null, 0xbb67ae85, v33
	v_add_co_u32 v20, null, 0x3c6ef372, v10
	v_mad_u64_u32 v[8:9], null, 0xd2511f53, v1, 0
	v_xor_b32_e32 v1, v7, v11
	v_add_co_u32 v21, null, 0x76cf5d0a, v33
	v_add_co_u32 v22, null, 0x32370b8f, v33
	s_delay_alu instid0(VALU_DEP_3) | instskip(SKIP_3) | instid1(VALU_DEP_4)
	v_xor_b32_e32 v1, v1, v13
	v_xor3_b32 v3, v18, v9, v6
	v_add_co_u32 v23, null, 0xdaa66d2b, v10
	v_add_co_u32 v24, null, 0x78dde6e4, v10
	v_mad_u64_u32 v[5:6], null, 0xcd9e8d57, v1, 0
	s_delay_alu instid0(VALU_DEP_4) | instskip(SKIP_2) | instid1(VALU_DEP_4)
	v_mad_u64_u32 v[14:15], null, 0xcd9e8d57, v3, 0
	v_add_co_u32 v25, null, 0xed9eba14, v33
	v_add_co_u32 v26, null, 0xa9066899, v33
	v_xor3_b32 v1, v19, v6, v4
	v_add_co_u32 v27, null, 0x1715609d, v10
	v_xor3_b32 v7, v20, v15, v5
	v_add_co_u32 v28, null, 0xb54cda56, v10
	s_delay_alu instid0(VALU_DEP_4) | instskip(NEXT) | instid1(VALU_DEP_3)
	v_mad_u64_u32 v[3:4], null, 0xd2511f53, v1, 0
	v_mad_u64_u32 v[5:6], null, 0xd2511f53, v7, 0
	v_add_co_u32 v29, null, 0x646e171e, v33
	v_add_co_u32 v30, null, 0x1fd5c5a3, v33
	s_delay_alu instid0(VALU_DEP_4)
	v_xor3_b32 v1, v21, v4, v8
	v_add_co_u32 v31, null, 0x5384540f, v10
	v_xor3_b32 v8, v22, v6, v3
	s_clause 0x1
	s_load_b64 s[6:7], s[0:1], 0x30
	s_load_b32 s0, s[0:1], 0x38
	v_mad_u64_u32 v[3:4], null, 0xcd9e8d57, v1, 0
	v_add_co_u32 v32, null, 0xf1bbcdc8, v10
	v_mad_u64_u32 v[6:7], null, 0xcd9e8d57, v8, 0
	v_add_co_u32 v33, null, 0xdb3d7428, v33
	s_delay_alu instid0(VALU_DEP_4) | instskip(SKIP_3) | instid1(VALU_DEP_4)
	v_xor3_b32 v1, v23, v4, v14
	v_dual_mov_b32 v39, v12 :: v_dual_add_nc_u32 v36, 0x96a522ad, v11
	v_dual_mov_b32 v40, v13 :: v_dual_add_nc_u32 v35, 0x8ff34781, v10
	v_xor3_b32 v9, v24, v7, v3
	v_mad_u64_u32 v[3:4], null, 0xd2511f53, v1, 0
	s_delay_alu instid0(VALU_DEP_2) | instskip(SKIP_2) | instid1(VALU_DEP_2)
	v_mad_u64_u32 v[7:8], null, 0xd2511f53, v9, 0
	s_waitcnt lgkmcnt(0)
	s_mul_i32 s1, s11, s0
	v_xor3_b32 v1, v25, v4, v5
	s_mul_i32 s1, s1, s10
	s_delay_alu instid0(SALU_CYCLE_1) | instskip(NEXT) | instid1(VALU_DEP_2)
	s_lshl_b32 s1, s1, 1
	v_xor3_b32 v5, v26, v8, v3
	s_delay_alu instid0(VALU_DEP_2) | instskip(NEXT) | instid1(VALU_DEP_2)
	v_mad_u64_u32 v[3:4], null, 0xcd9e8d57, v1, 0
	v_mad_u64_u32 v[8:9], null, 0xcd9e8d57, v5, 0
	s_delay_alu instid0(VALU_DEP_2) | instskip(NEXT) | instid1(VALU_DEP_2)
	v_xor3_b32 v1, v27, v4, v6
	v_xor3_b32 v9, v28, v9, v3
	s_delay_alu instid0(VALU_DEP_2) | instskip(NEXT) | instid1(VALU_DEP_2)
	v_mad_u64_u32 v[3:4], null, 0xd2511f53, v1, 0
	v_mad_u64_u32 v[5:6], null, 0xd2511f53, v9, 0
	s_delay_alu instid0(VALU_DEP_2) | instskip(NEXT) | instid1(VALU_DEP_2)
	v_xor3_b32 v1, v29, v4, v7
	v_xor3_b32 v9, v30, v6, v3
	s_delay_alu instid0(VALU_DEP_2) | instskip(SKIP_1) | instid1(VALU_DEP_3)
	v_mad_u64_u32 v[3:4], null, 0xcd9e8d57, v1, 0
	v_mad_u64_u32 v[14:15], null, s15, s10, v[0:1]
	;; [unrolled: 1-line block ×3, first 2 shown]
	s_add_i32 s15, s15, s11
	s_delay_alu instid0(VALU_DEP_3) | instskip(SKIP_1) | instid1(VALU_DEP_4)
	v_xor3_b32 v4, v31, v4, v8
	v_mad_u64_u32 v[8:9], null, s15, s10, v[0:1]
	v_mul_lo_u32 v37, s0, v14
	s_delay_alu instid0(VALU_DEP_4) | instskip(NEXT) | instid1(VALU_DEP_4)
	v_xor3_b32 v6, v32, v7, v3
	v_mad_u64_u32 v[0:1], null, 0xd2511f53, v4, 0
	s_mov_b32 s10, 0
	s_delay_alu instid0(VALU_DEP_2) | instskip(SKIP_2) | instid1(VALU_DEP_3)
	v_mad_u64_u32 v[3:4], null, 0xd2511f53, v6, 0
	v_mul_lo_u32 v38, s0, v8
	s_mov_b32 s0, 0
	v_xor3_b32 v5, v33, v1, v5
	s_delay_alu instid0(VALU_DEP_1) | instskip(NEXT) | instid1(VALU_DEP_4)
	v_mad_u64_u32 v[1:2], null, 0xcd9e8d57, v5, 0
	v_xor3_b32 v2, v4, v0, v36
	s_branch .LBB60_8
.LBB60_7:                               ;   in Loop: Header=BB60_8 Depth=1
	s_or_b32 exec_lo, exec_lo, s11
	v_add_co_u32 v12, vcc_lo, v12, s9
	v_add_co_ci_u32_e32 v13, vcc_lo, 0, v13, vcc_lo
	v_mov_b32_e32 v6, v14
	v_mov_b32_e32 v0, v3
	v_dual_mov_b32 v1, v4 :: v_dual_mov_b32 v2, v5
	s_delay_alu instid0(VALU_DEP_4) | instskip(NEXT) | instid1(VALU_DEP_4)
	v_cmp_le_i64_e32 vcc_lo, s[2:3], v[12:13]
	v_mov_b32_e32 v3, v6
	s_add_i32 s10, s10, s1
	s_waitcnt_vscnt null, 0x0
	s_barrier
	buffer_gl0_inv
	s_or_b32 s0, vcc_lo, s0
	s_delay_alu instid0(SALU_CYCLE_1)
	s_and_not1_b32 exec_lo, exec_lo, s0
	s_cbranch_execz .LBB60_22
.LBB60_8:                               ; =>This Inner Loop Header: Depth=1
	v_add_co_u32 v16, vcc_lo, v16, 1
	s_delay_alu instid0(VALU_DEP_1) | instskip(SKIP_1) | instid1(VALU_DEP_3)
	v_cndmask_b32_e64 v0, 0, 1, vcc_lo
	v_add_co_ci_u32_e32 v17, vcc_lo, 0, v17, vcc_lo
	v_mad_u64_u32 v[4:5], null, 0xd2511f53, v16, 0
	s_mov_b32 s11, exec_lo
	s_delay_alu instid0(VALU_DEP_2) | instskip(SKIP_1) | instid1(VALU_DEP_1)
	v_cmp_eq_u32_e32 vcc_lo, 0, v17
	v_cndmask_b32_e32 v0, 0, v0, vcc_lo
	v_add_nc_u32_e32 v39, v0, v39
	s_delay_alu instid0(VALU_DEP_1) | instskip(SKIP_2) | instid1(VALU_DEP_2)
	v_cmp_eq_u32_e32 vcc_lo, 0, v39
	v_cndmask_b32_e32 v0, 0, v0, vcc_lo
	v_mad_u64_u32 v[6:7], null, 0xcd9e8d57, v39, 0
	v_add_nc_u32_e32 v40, v0, v40
	v_xor_b32_e32 v0, v5, v11
	s_delay_alu instid0(VALU_DEP_3) | instskip(NEXT) | instid1(VALU_DEP_2)
	v_xor3_b32 v5, v7, v10, v17
	v_xor_b32_e32 v0, v40, v0
	s_delay_alu instid0(VALU_DEP_2) | instskip(NEXT) | instid1(VALU_DEP_2)
	v_mad_u64_u32 v[7:8], null, 0xd2511f53, v5, 0
	v_mad_u64_u32 v[14:15], null, 0xcd9e8d57, v0, 0
	s_delay_alu instid0(VALU_DEP_2) | instskip(NEXT) | instid1(VALU_DEP_2)
	v_xor3_b32 v0, v18, v8, v4
	v_xor3_b32 v6, v19, v15, v6
	s_delay_alu instid0(VALU_DEP_2) | instskip(NEXT) | instid1(VALU_DEP_2)
	v_mad_u64_u32 v[4:5], null, 0xcd9e8d57, v0, 0
	v_mad_u64_u32 v[8:9], null, 0xd2511f53, v6, 0
	s_delay_alu instid0(VALU_DEP_2) | instskip(NEXT) | instid1(VALU_DEP_2)
	v_xor3_b32 v0, v20, v5, v14
	v_xor3_b32 v7, v21, v9, v7
	;; [unrolled: 6-line block ×9, first 2 shown]
	s_delay_alu instid0(VALU_DEP_2)
	v_mov_b32_e32 v5, v8
	v_cmpx_lt_i32_e32 1, v34
	s_xor_b32 s11, exec_lo, s11
	s_cbranch_execnz .LBB60_14
; %bb.9:                                ;   in Loop: Header=BB60_8 Depth=1
	s_and_not1_saveexec_b32 s11, s11
	s_cbranch_execnz .LBB60_19
.LBB60_10:                              ;   in Loop: Header=BB60_8 Depth=1
	s_or_b32 exec_lo, exec_lo, s11
	s_delay_alu instid0(SALU_CYCLE_1)
	s_mov_b32 s11, exec_lo
	v_cmpx_gt_i64_e64 s[4:5], v[12:13]
	s_cbranch_execz .LBB60_12
.LBB60_11:                              ;   in Loop: Header=BB60_8 Depth=1
	v_add_nc_u32_e32 v0, s10, v37
	s_delay_alu instid0(VALU_DEP_1) | instskip(SKIP_1) | instid1(VALU_DEP_2)
	v_ashrrev_i32_e32 v2, 31, v0
	v_add_co_u32 v6, vcc_lo, s6, v0
	v_add_co_ci_u32_e32 v7, vcc_lo, s7, v2, vcc_lo
	global_store_b16 v[6:7], v1, off
.LBB60_12:                              ;   in Loop: Header=BB60_8 Depth=1
	s_or_b32 exec_lo, exec_lo, s11
	v_add_co_u32 v0, vcc_lo, s8, v12
	v_add_co_ci_u32_e32 v1, vcc_lo, 0, v13, vcc_lo
	s_mov_b32 s11, exec_lo
	s_delay_alu instid0(VALU_DEP_1)
	v_cmpx_gt_i64_e64 s[4:5], v[0:1]
	s_cbranch_execz .LBB60_7
; %bb.13:                               ;   in Loop: Header=BB60_8 Depth=1
	v_add_nc_u32_e32 v0, s10, v38
	s_delay_alu instid0(VALU_DEP_1) | instskip(SKIP_1) | instid1(VALU_DEP_2)
	v_ashrrev_i32_e32 v1, 31, v0
	v_add_co_u32 v0, vcc_lo, s6, v0
	v_add_co_ci_u32_e32 v1, vcc_lo, s7, v1, vcc_lo
	global_store_b16 v[0:1], v3, off
	s_branch .LBB60_7
.LBB60_14:                              ;   in Loop: Header=BB60_8 Depth=1
	s_mov_b32 s12, exec_lo
	v_cmpx_lt_i32_e32 2, v34
	s_xor_b32 s12, exec_lo, s12
; %bb.15:                               ;   in Loop: Header=BB60_8 Depth=1
	v_dual_mov_b32 v0, v5 :: v_dual_mov_b32 v1, v6
	v_dual_mov_b32 v2, v7 :: v_dual_mov_b32 v3, v8
; %bb.16:                               ;   in Loop: Header=BB60_8 Depth=1
	s_and_not1_saveexec_b32 s12, s12
; %bb.17:                               ;   in Loop: Header=BB60_8 Depth=1
	s_delay_alu instid0(VALU_DEP_1)
	v_mov_b32_e32 v1, v3
	v_mov_b32_e32 v3, v4
; %bb.18:                               ;   in Loop: Header=BB60_8 Depth=1
	s_or_b32 exec_lo, exec_lo, s12
                                        ; implicit-def: $vgpr6_vgpr7_vgpr8_vgpr9
	s_and_not1_saveexec_b32 s11, s11
	s_cbranch_execz .LBB60_10
.LBB60_19:                              ;   in Loop: Header=BB60_8 Depth=1
	s_mov_b32 s12, exec_lo
	v_cmpx_eq_u32_e32 1, v34
; %bb.20:                               ;   in Loop: Header=BB60_8 Depth=1
	v_mov_b32_e32 v1, v2
	v_mov_b32_e32 v3, v6
; %bb.21:                               ;   in Loop: Header=BB60_8 Depth=1
	s_or_b32 exec_lo, exec_lo, s12
	s_delay_alu instid0(SALU_CYCLE_1) | instskip(NEXT) | instid1(SALU_CYCLE_1)
	s_or_b32 exec_lo, exec_lo, s11
	s_mov_b32 s11, exec_lo
	v_cmpx_gt_i64_e64 s[4:5], v[12:13]
	s_cbranch_execnz .LBB60_11
	s_branch .LBB60_12
.LBB60_22:
	s_endpgm
.LBB60_23:
                                        ; implicit-def: $sgpr2_sgpr3
	s_branch .LBB60_4
	.section	.rodata,"a",@progbits
	.p2align	6, 0x0
	.amdhsa_kernel _ZN2at6native12_GLOBAL__N_143distribution_elementwise_grid_stride_kernelImLi2EZZZNS0_9templates4cuda32random_full_64_bits_range_kernelIPNS_17CUDAGeneratorImplEEEvRNS_18TensorIteratorBaseET_ENKUlvE_clEvENKUlvE3_clEvEUlP25hiprandStatePhilox4_32_10E_ZNS1_27distribution_nullary_kernelIsm15HIP_vector_typeIyLj2EES7_SF_ZZZNS5_IS7_EEvS9_SA_ENKSB_clEvENKSC_clEvEUlmE_EEvS9_T2_RKT3_T4_EUlimE_EEvlNS_15PhiloxCudaStateET1_SK_
		.amdhsa_group_segment_fixed_size 0
		.amdhsa_private_segment_fixed_size 0
		.amdhsa_kernarg_size 320
		.amdhsa_user_sgpr_count 15
		.amdhsa_user_sgpr_dispatch_ptr 0
		.amdhsa_user_sgpr_queue_ptr 0
		.amdhsa_user_sgpr_kernarg_segment_ptr 1
		.amdhsa_user_sgpr_dispatch_id 0
		.amdhsa_user_sgpr_private_segment_size 0
		.amdhsa_wavefront_size32 1
		.amdhsa_uses_dynamic_stack 0
		.amdhsa_enable_private_segment 0
		.amdhsa_system_sgpr_workgroup_id_x 1
		.amdhsa_system_sgpr_workgroup_id_y 0
		.amdhsa_system_sgpr_workgroup_id_z 0
		.amdhsa_system_sgpr_workgroup_info 0
		.amdhsa_system_vgpr_workitem_id 0
		.amdhsa_next_free_vgpr 43
		.amdhsa_next_free_sgpr 23
		.amdhsa_reserve_vcc 1
		.amdhsa_float_round_mode_32 0
		.amdhsa_float_round_mode_16_64 0
		.amdhsa_float_denorm_mode_32 3
		.amdhsa_float_denorm_mode_16_64 3
		.amdhsa_dx10_clamp 1
		.amdhsa_ieee_mode 1
		.amdhsa_fp16_overflow 0
		.amdhsa_workgroup_processor_mode 1
		.amdhsa_memory_ordered 1
		.amdhsa_forward_progress 0
		.amdhsa_shared_vgpr_count 0
		.amdhsa_exception_fp_ieee_invalid_op 0
		.amdhsa_exception_fp_denorm_src 0
		.amdhsa_exception_fp_ieee_div_zero 0
		.amdhsa_exception_fp_ieee_overflow 0
		.amdhsa_exception_fp_ieee_underflow 0
		.amdhsa_exception_fp_ieee_inexact 0
		.amdhsa_exception_int_div_zero 0
	.end_amdhsa_kernel
	.section	.text._ZN2at6native12_GLOBAL__N_143distribution_elementwise_grid_stride_kernelImLi2EZZZNS0_9templates4cuda32random_full_64_bits_range_kernelIPNS_17CUDAGeneratorImplEEEvRNS_18TensorIteratorBaseET_ENKUlvE_clEvENKUlvE3_clEvEUlP25hiprandStatePhilox4_32_10E_ZNS1_27distribution_nullary_kernelIsm15HIP_vector_typeIyLj2EES7_SF_ZZZNS5_IS7_EEvS9_SA_ENKSB_clEvENKSC_clEvEUlmE_EEvS9_T2_RKT3_T4_EUlimE_EEvlNS_15PhiloxCudaStateET1_SK_,"axG",@progbits,_ZN2at6native12_GLOBAL__N_143distribution_elementwise_grid_stride_kernelImLi2EZZZNS0_9templates4cuda32random_full_64_bits_range_kernelIPNS_17CUDAGeneratorImplEEEvRNS_18TensorIteratorBaseET_ENKUlvE_clEvENKUlvE3_clEvEUlP25hiprandStatePhilox4_32_10E_ZNS1_27distribution_nullary_kernelIsm15HIP_vector_typeIyLj2EES7_SF_ZZZNS5_IS7_EEvS9_SA_ENKSB_clEvENKSC_clEvEUlmE_EEvS9_T2_RKT3_T4_EUlimE_EEvlNS_15PhiloxCudaStateET1_SK_,comdat
.Lfunc_end60:
	.size	_ZN2at6native12_GLOBAL__N_143distribution_elementwise_grid_stride_kernelImLi2EZZZNS0_9templates4cuda32random_full_64_bits_range_kernelIPNS_17CUDAGeneratorImplEEEvRNS_18TensorIteratorBaseET_ENKUlvE_clEvENKUlvE3_clEvEUlP25hiprandStatePhilox4_32_10E_ZNS1_27distribution_nullary_kernelIsm15HIP_vector_typeIyLj2EES7_SF_ZZZNS5_IS7_EEvS9_SA_ENKSB_clEvENKSC_clEvEUlmE_EEvS9_T2_RKT3_T4_EUlimE_EEvlNS_15PhiloxCudaStateET1_SK_, .Lfunc_end60-_ZN2at6native12_GLOBAL__N_143distribution_elementwise_grid_stride_kernelImLi2EZZZNS0_9templates4cuda32random_full_64_bits_range_kernelIPNS_17CUDAGeneratorImplEEEvRNS_18TensorIteratorBaseET_ENKUlvE_clEvENKUlvE3_clEvEUlP25hiprandStatePhilox4_32_10E_ZNS1_27distribution_nullary_kernelIsm15HIP_vector_typeIyLj2EES7_SF_ZZZNS5_IS7_EEvS9_SA_ENKSB_clEvENKSC_clEvEUlmE_EEvS9_T2_RKT3_T4_EUlimE_EEvlNS_15PhiloxCudaStateET1_SK_
                                        ; -- End function
	.section	.AMDGPU.csdata,"",@progbits
; Kernel info:
; codeLenInByte = 2572
; NumSgprs: 25
; NumVgprs: 43
; ScratchSize: 0
; MemoryBound: 0
; FloatMode: 240
; IeeeMode: 1
; LDSByteSize: 0 bytes/workgroup (compile time only)
; SGPRBlocks: 3
; VGPRBlocks: 5
; NumSGPRsForWavesPerEU: 25
; NumVGPRsForWavesPerEU: 43
; Occupancy: 16
; WaveLimiterHint : 0
; COMPUTE_PGM_RSRC2:SCRATCH_EN: 0
; COMPUTE_PGM_RSRC2:USER_SGPR: 15
; COMPUTE_PGM_RSRC2:TRAP_HANDLER: 0
; COMPUTE_PGM_RSRC2:TGID_X_EN: 1
; COMPUTE_PGM_RSRC2:TGID_Y_EN: 0
; COMPUTE_PGM_RSRC2:TGID_Z_EN: 0
; COMPUTE_PGM_RSRC2:TIDIG_COMP_CNT: 0
	.section	.text._ZN2at6native12_GLOBAL__N_143distribution_elementwise_grid_stride_kernelImLi2EZZZNS0_9templates4cuda32random_full_64_bits_range_kernelIPNS_17CUDAGeneratorImplEEEvRNS_18TensorIteratorBaseET_ENKUlvE_clEvENKUlvE3_clEvEUlP25hiprandStatePhilox4_32_10E_ZNS1_27distribution_nullary_kernelIsm15HIP_vector_typeIyLj2EES7_SF_ZZZNS5_IS7_EEvS9_SA_ENKSB_clEvENKSC_clEvEUlmE_EEvS9_T2_RKT3_T4_EUlimE0_EEvlNS_15PhiloxCudaStateET1_SK_,"axG",@progbits,_ZN2at6native12_GLOBAL__N_143distribution_elementwise_grid_stride_kernelImLi2EZZZNS0_9templates4cuda32random_full_64_bits_range_kernelIPNS_17CUDAGeneratorImplEEEvRNS_18TensorIteratorBaseET_ENKUlvE_clEvENKUlvE3_clEvEUlP25hiprandStatePhilox4_32_10E_ZNS1_27distribution_nullary_kernelIsm15HIP_vector_typeIyLj2EES7_SF_ZZZNS5_IS7_EEvS9_SA_ENKSB_clEvENKSC_clEvEUlmE_EEvS9_T2_RKT3_T4_EUlimE0_EEvlNS_15PhiloxCudaStateET1_SK_,comdat
	.globl	_ZN2at6native12_GLOBAL__N_143distribution_elementwise_grid_stride_kernelImLi2EZZZNS0_9templates4cuda32random_full_64_bits_range_kernelIPNS_17CUDAGeneratorImplEEEvRNS_18TensorIteratorBaseET_ENKUlvE_clEvENKUlvE3_clEvEUlP25hiprandStatePhilox4_32_10E_ZNS1_27distribution_nullary_kernelIsm15HIP_vector_typeIyLj2EES7_SF_ZZZNS5_IS7_EEvS9_SA_ENKSB_clEvENKSC_clEvEUlmE_EEvS9_T2_RKT3_T4_EUlimE0_EEvlNS_15PhiloxCudaStateET1_SK_ ; -- Begin function _ZN2at6native12_GLOBAL__N_143distribution_elementwise_grid_stride_kernelImLi2EZZZNS0_9templates4cuda32random_full_64_bits_range_kernelIPNS_17CUDAGeneratorImplEEEvRNS_18TensorIteratorBaseET_ENKUlvE_clEvENKUlvE3_clEvEUlP25hiprandStatePhilox4_32_10E_ZNS1_27distribution_nullary_kernelIsm15HIP_vector_typeIyLj2EES7_SF_ZZZNS5_IS7_EEvS9_SA_ENKSB_clEvENKSC_clEvEUlmE_EEvS9_T2_RKT3_T4_EUlimE0_EEvlNS_15PhiloxCudaStateET1_SK_
	.p2align	8
	.type	_ZN2at6native12_GLOBAL__N_143distribution_elementwise_grid_stride_kernelImLi2EZZZNS0_9templates4cuda32random_full_64_bits_range_kernelIPNS_17CUDAGeneratorImplEEEvRNS_18TensorIteratorBaseET_ENKUlvE_clEvENKUlvE3_clEvEUlP25hiprandStatePhilox4_32_10E_ZNS1_27distribution_nullary_kernelIsm15HIP_vector_typeIyLj2EES7_SF_ZZZNS5_IS7_EEvS9_SA_ENKSB_clEvENKSC_clEvEUlmE_EEvS9_T2_RKT3_T4_EUlimE0_EEvlNS_15PhiloxCudaStateET1_SK_,@function
_ZN2at6native12_GLOBAL__N_143distribution_elementwise_grid_stride_kernelImLi2EZZZNS0_9templates4cuda32random_full_64_bits_range_kernelIPNS_17CUDAGeneratorImplEEEvRNS_18TensorIteratorBaseET_ENKUlvE_clEvENKUlvE3_clEvEUlP25hiprandStatePhilox4_32_10E_ZNS1_27distribution_nullary_kernelIsm15HIP_vector_typeIyLj2EES7_SF_ZZZNS5_IS7_EEvS9_SA_ENKSB_clEvENKSC_clEvEUlmE_EEvS9_T2_RKT3_T4_EUlimE0_EEvlNS_15PhiloxCudaStateET1_SK_: ; @_ZN2at6native12_GLOBAL__N_143distribution_elementwise_grid_stride_kernelImLi2EZZZNS0_9templates4cuda32random_full_64_bits_range_kernelIPNS_17CUDAGeneratorImplEEEvRNS_18TensorIteratorBaseET_ENKUlvE_clEvENKUlvE3_clEvEUlP25hiprandStatePhilox4_32_10E_ZNS1_27distribution_nullary_kernelIsm15HIP_vector_typeIyLj2EES7_SF_ZZZNS5_IS7_EEvS9_SA_ENKSB_clEvENKSC_clEvEUlmE_EEvS9_T2_RKT3_T4_EUlimE0_EEvlNS_15PhiloxCudaStateET1_SK_
; %bb.0:
	s_clause 0x2
	s_load_b64 s[4:5], s[0:1], 0x10
	s_load_b128 s[16:19], s[0:1], 0x0
	s_load_b32 s2, s[0:1], 0x20
	s_waitcnt lgkmcnt(0)
	v_dual_mov_b32 v2, s4 :: v_dual_mov_b32 v3, s5
	v_dual_mov_b32 v10, s18 :: v_dual_mov_b32 v11, s19
	s_bitcmp0_b32 s2, 0
	s_mov_b32 s2, 0
	s_cbranch_scc1 .LBB61_2
; %bb.1:
	v_dual_mov_b32 v1, s4 :: v_dual_mov_b32 v2, s5
	v_dual_mov_b32 v4, s18 :: v_dual_mov_b32 v5, s19
	s_load_b64 s[4:5], s[0:1], 0x18
	flat_load_b64 v[2:3], v[1:2]
	flat_load_b64 v[10:11], v[4:5]
	s_waitcnt vmcnt(1) lgkmcnt(0)
	v_add_co_u32 v2, vcc_lo, v2, s4
	v_add_co_ci_u32_e32 v3, vcc_lo, s5, v3, vcc_lo
.LBB61_2:
	s_clause 0x1
	s_load_b32 s3, s[0:1], 0x154
	s_load_b32 s4, s[0:1], 0x148
	s_waitcnt lgkmcnt(0)
	s_and_b32 s5, s3, 0xffff
	s_add_u32 s6, s16, -1
	s_mul_i32 s24, s4, s5
	s_addc_u32 s3, s17, -1
	s_lshl_b32 s25, s24, 1
	s_cmp_lg_u64 s[2:3], 0
	s_cbranch_scc0 .LBB61_49
; %bb.3:
	v_cvt_f32_ubyte0_e32 v1, 0
	v_cvt_f32_u32_e32 v4, s25
	s_sub_u32 s8, 0, s25
	s_subb_u32 s9, 0, 0
	s_delay_alu instid0(VALU_DEP_1) | instskip(NEXT) | instid1(VALU_DEP_1)
	v_fmamk_f32 v1, v1, 0x4f800000, v4
	v_rcp_f32_e32 v1, v1
	s_waitcnt_depctr 0xfff
	v_mul_f32_e32 v1, 0x5f7ffffc, v1
	s_delay_alu instid0(VALU_DEP_1) | instskip(NEXT) | instid1(VALU_DEP_1)
	v_mul_f32_e32 v4, 0x2f800000, v1
	v_trunc_f32_e32 v4, v4
	s_delay_alu instid0(VALU_DEP_1) | instskip(SKIP_1) | instid1(VALU_DEP_2)
	v_fmamk_f32 v1, v4, 0xcf800000, v1
	v_cvt_u32_f32_e32 v4, v4
	v_cvt_u32_f32_e32 v1, v1
	s_delay_alu instid0(VALU_DEP_2) | instskip(NEXT) | instid1(VALU_DEP_2)
	v_readfirstlane_b32 s2, v4
	v_readfirstlane_b32 s7, v1
	s_delay_alu instid0(VALU_DEP_2) | instskip(NEXT) | instid1(VALU_DEP_1)
	s_mul_i32 s10, s8, s2
	s_mul_hi_u32 s12, s8, s7
	s_mul_i32 s11, s9, s7
	s_add_i32 s10, s12, s10
	s_mul_i32 s13, s8, s7
	s_add_i32 s10, s10, s11
	s_mul_hi_u32 s12, s7, s13
	s_mul_hi_u32 s14, s2, s13
	s_mul_i32 s11, s2, s13
	s_mul_hi_u32 s13, s7, s10
	s_mul_i32 s7, s7, s10
	s_mul_hi_u32 s18, s2, s10
	s_add_u32 s7, s12, s7
	s_addc_u32 s12, 0, s13
	s_add_u32 s7, s7, s11
	s_mul_i32 s10, s2, s10
	s_addc_u32 s7, s12, s14
	s_addc_u32 s11, s18, 0
	s_add_u32 s7, s7, s10
	s_addc_u32 s10, 0, s11
	v_add_co_u32 v1, s7, v1, s7
	s_delay_alu instid0(VALU_DEP_1) | instskip(SKIP_1) | instid1(VALU_DEP_1)
	s_cmp_lg_u32 s7, 0
	s_addc_u32 s2, s2, s10
	v_readfirstlane_b32 s7, v1
	s_mul_i32 s10, s8, s2
	s_delay_alu instid0(VALU_DEP_1)
	s_mul_hi_u32 s11, s8, s7
	s_mul_i32 s9, s9, s7
	s_add_i32 s10, s11, s10
	s_mul_i32 s8, s8, s7
	s_add_i32 s10, s10, s9
	s_mul_hi_u32 s11, s2, s8
	s_mul_i32 s12, s2, s8
	s_mul_hi_u32 s8, s7, s8
	s_mul_hi_u32 s13, s7, s10
	s_mul_i32 s7, s7, s10
	s_mul_hi_u32 s9, s2, s10
	s_add_u32 s7, s8, s7
	s_addc_u32 s8, 0, s13
	s_add_u32 s7, s7, s12
	s_mul_i32 s10, s2, s10
	s_addc_u32 s7, s8, s11
	s_addc_u32 s8, s9, 0
	s_add_u32 s7, s7, s10
	s_addc_u32 s8, 0, s8
	v_add_co_u32 v1, s7, v1, s7
	s_delay_alu instid0(VALU_DEP_1) | instskip(SKIP_2) | instid1(VALU_DEP_1)
	s_cmp_lg_u32 s7, 0
	s_addc_u32 s7, s2, s8
	s_ashr_i32 s8, s3, 31
	v_readfirstlane_b32 s10, v1
	s_add_u32 s2, s6, s8
	s_mov_b32 s9, s8
	s_addc_u32 s3, s3, s8
	s_delay_alu instid0(SALU_CYCLE_1) | instskip(NEXT) | instid1(SALU_CYCLE_1)
	s_xor_b64 s[2:3], s[2:3], s[8:9]
	s_mul_i32 s12, s2, s7
	s_mul_hi_u32 s13, s2, s10
	s_mul_hi_u32 s11, s2, s7
	;; [unrolled: 1-line block ×3, first 2 shown]
	s_mul_i32 s10, s3, s10
	s_add_u32 s12, s13, s12
	s_addc_u32 s11, 0, s11
	s_mul_hi_u32 s14, s3, s7
	s_add_u32 s10, s12, s10
	s_mul_i32 s7, s3, s7
	s_addc_u32 s10, s11, s18
	s_addc_u32 s11, s14, 0
	s_add_u32 s7, s10, s7
	s_addc_u32 s10, 0, s11
	s_mul_i32 s12, s25, s7
	s_add_u32 s11, s7, 1
	v_sub_co_u32 v1, s2, s2, s12
	s_mul_hi_u32 s12, s25, s7
	s_addc_u32 s13, s10, 0
	s_mul_i32 s14, s25, s10
	s_delay_alu instid0(VALU_DEP_1)
	v_sub_co_u32 v4, s18, v1, s25
	s_add_u32 s19, s7, 2
	s_addc_u32 s20, s10, 0
	s_add_i32 s12, s12, s14
	s_cmp_lg_u32 s2, 0
	v_readfirstlane_b32 s2, v4
	s_subb_u32 s3, s3, s12
	s_cmp_lg_u32 s18, 0
	s_subb_u32 s12, s3, 0
	s_delay_alu instid0(VALU_DEP_1) | instskip(SKIP_4) | instid1(SALU_CYCLE_1)
	s_cmp_ge_u32 s2, s25
	s_cselect_b32 s2, -1, 0
	s_cmp_eq_u32 s12, 0
	v_readfirstlane_b32 s12, v1
	s_cselect_b32 s2, s2, -1
	s_cmp_lg_u32 s2, 0
	s_cselect_b32 s2, s19, s11
	s_cselect_b32 s11, s20, s13
	s_cmp_ge_u32 s12, s25
	s_cselect_b32 s12, -1, 0
	s_cmp_eq_u32 s3, 0
	s_cselect_b32 s3, s12, -1
	s_delay_alu instid0(SALU_CYCLE_1) | instskip(SKIP_2) | instid1(SALU_CYCLE_1)
	s_cmp_lg_u32 s3, 0
	s_cselect_b32 s3, s11, s10
	s_cselect_b32 s2, s2, s7
	s_xor_b64 s[2:3], s[2:3], s[8:9]
	s_delay_alu instid0(SALU_CYCLE_1)
	s_sub_u32 s2, s2, s8
	s_subb_u32 s3, s3, s8
	s_cbranch_execnz .LBB61_5
.LBB61_4:
	v_cvt_f32_u32_e32 v1, s25
	s_sub_i32 s3, 0, s25
	s_delay_alu instid0(VALU_DEP_1) | instskip(SKIP_2) | instid1(VALU_DEP_1)
	v_rcp_iflag_f32_e32 v1, v1
	s_waitcnt_depctr 0xfff
	v_mul_f32_e32 v1, 0x4f7ffffe, v1
	v_cvt_u32_f32_e32 v1, v1
	s_delay_alu instid0(VALU_DEP_1) | instskip(NEXT) | instid1(VALU_DEP_1)
	v_readfirstlane_b32 s2, v1
	s_mul_i32 s3, s3, s2
	s_delay_alu instid0(SALU_CYCLE_1) | instskip(NEXT) | instid1(SALU_CYCLE_1)
	s_mul_hi_u32 s3, s2, s3
	s_add_i32 s2, s2, s3
	s_delay_alu instid0(SALU_CYCLE_1) | instskip(NEXT) | instid1(SALU_CYCLE_1)
	s_mul_hi_u32 s2, s6, s2
	s_mul_i32 s3, s2, s25
	s_delay_alu instid0(SALU_CYCLE_1)
	s_sub_i32 s3, s6, s3
	s_add_i32 s6, s2, 1
	s_sub_i32 s7, s3, s25
	s_cmp_ge_u32 s3, s25
	s_cselect_b32 s2, s6, s2
	s_cselect_b32 s3, s7, s3
	s_add_i32 s6, s2, 1
	s_cmp_ge_u32 s3, s25
	s_mov_b32 s3, 0
	s_cselect_b32 s2, s6, s2
.LBB61_5:
	v_mov_b32_e32 v1, 0
	s_add_u32 s2, s2, 1
	s_addc_u32 s3, s3, 0
	s_mul_hi_u32 s6, s24, s2
	s_mul_i32 s3, s24, s3
	v_mad_u64_u32 v[12:13], null, s5, s15, v[0:1]
	s_mul_hi_u32 s4, s4, s5
	s_add_i32 s3, s6, s3
	s_mul_i32 s4, s4, s2
	s_mul_i32 s2, s24, s2
	s_add_i32 s3, s3, s4
	s_mov_b32 s4, exec_lo
	s_lshl_b64 s[2:3], s[2:3], 1
	s_delay_alu instid0(SALU_CYCLE_1)
	v_cmpx_gt_i64_e64 s[2:3], v[12:13]
	s_cbranch_execz .LBB61_48
; %bb.6:
	v_alignbit_b32 v16, v3, v2, 2
	v_mad_u64_u32 v[0:1], null, 0xcd9e8d57, v12, 0
	v_lshrrev_b32_e32 v17, 2, v3
	s_waitcnt vmcnt(0)
	v_dual_mov_b32 v9, v11 :: v_dual_and_b32 v26, 3, v2
	v_mad_u64_u32 v[3:4], null, 0xd2511f53, v16, 0
	v_add_co_u32 v19, null, 0x9e3779b9, v10
	v_xor3_b32 v1, v10, v1, v17
	s_delay_alu instid0(VALU_DEP_4) | instskip(SKIP_2) | instid1(VALU_DEP_4)
	v_add_co_u32 v18, null, 0xbb67ae85, v9
	v_add_co_u32 v20, null, 0x3c6ef372, v10
	v_xor_b32_e32 v6, v4, v11
	v_mad_u64_u32 v[4:5], null, 0xd2511f53, v1, 0
	v_add_co_u32 v21, null, 0x76cf5d0a, v9
	s_delay_alu instid0(VALU_DEP_3) | instskip(SKIP_3) | instid1(VALU_DEP_4)
	v_xor_b32_e32 v1, v6, v13
	v_add_co_u32 v22, null, 0x32370b8f, v9
	v_add_co_u32 v23, null, 0xdaa66d2b, v10
	v_xor3_b32 v3, v18, v5, v3
	v_mad_u64_u32 v[5:6], null, 0xcd9e8d57, v1, 0
	v_add_co_u32 v24, null, 0x78dde6e4, v10
	s_delay_alu instid0(VALU_DEP_3) | instskip(SKIP_1) | instid1(VALU_DEP_4)
	v_mad_u64_u32 v[7:8], null, 0xcd9e8d57, v3, 0
	v_add_co_u32 v25, null, 0xed9eba14, v9
	v_xor3_b32 v3, v19, v6, v0
	v_add_co_u32 v27, null, 0xa9066899, v9
	v_add_co_u32 v29, null, 0x1715609d, v10
	v_xor3_b32 v8, v20, v8, v5
	s_delay_alu instid0(VALU_DEP_4) | instskip(SKIP_1) | instid1(VALU_DEP_3)
	v_mad_u64_u32 v[0:1], null, 0xd2511f53, v3, 0
	v_add_co_u32 v30, null, 0xb54cda56, v10
	v_mad_u64_u32 v[5:6], null, 0xd2511f53, v8, 0
	v_add_co_u32 v32, null, 0x646e171e, v9
	s_delay_alu instid0(VALU_DEP_4) | instskip(SKIP_2) | instid1(VALU_DEP_4)
	v_xor3_b32 v3, v21, v1, v4
	s_load_b256 s[4:11], s[0:1], 0x30
	v_add_co_u32 v33, null, 0x1fd5c5a3, v9
	v_xor3_b32 v6, v22, v6, v0
	s_delay_alu instid0(VALU_DEP_3) | instskip(SKIP_1) | instid1(VALU_DEP_3)
	v_mad_u64_u32 v[0:1], null, 0xcd9e8d57, v3, 0
	v_add_co_u32 v28, null, 0x5384540f, v10
	v_mad_u64_u32 v[3:4], null, 0xcd9e8d57, v6, 0
	v_add_co_u32 v31, null, 0xf1bbcdc8, v10
	s_delay_alu instid0(VALU_DEP_4)
	v_xor3_b32 v6, v23, v1, v7
	s_add_u32 s12, s0, 48
	s_addc_u32 s13, s1, 0
	s_clause 0x1
	s_load_b64 s[14:15], s[0:1], 0xf4
	s_load_b64 s[18:19], s[0:1], 0x138
	v_xor3_b32 v4, v24, v4, v0
	v_mad_u64_u32 v[0:1], null, 0xd2511f53, v6, 0
	v_add_co_u32 v34, null, 0xdb3d7428, v9
	s_delay_alu instid0(VALU_DEP_3) | instskip(SKIP_3) | instid1(VALU_DEP_4)
	v_mad_u64_u32 v[6:7], null, 0xd2511f53, v4, 0
	s_waitcnt lgkmcnt(0)
	s_add_i32 s20, s4, -1
	v_dual_mov_b32 v37, v12 :: v_dual_add_nc_u32 v36, 0x96a522ad, v11
	v_xor3_b32 v2, v25, v1, v5
	s_cmp_gt_u32 s20, 1
	v_dual_mov_b32 v38, v13 :: v_dual_add_nc_u32 v35, 0x8ff34781, v10
	s_delay_alu instid0(VALU_DEP_4) | instskip(NEXT) | instid1(VALU_DEP_3)
	v_xor3_b32 v7, v27, v7, v0
	v_mad_u64_u32 v[0:1], null, 0xcd9e8d57, v2, 0
	s_cselect_b32 s11, -1, 0
	s_cmp_lg_u32 s4, 0
	s_delay_alu instid0(VALU_DEP_2) | instskip(SKIP_2) | instid1(VALU_DEP_2)
	v_mad_u64_u32 v[4:5], null, 0xcd9e8d57, v7, 0
	s_cselect_b32 s27, -1, 0
	s_add_u32 s0, s0, 0xf4
	v_xor3_b32 v2, v29, v1, v3
	s_addc_u32 s1, s1, 0
	s_min_u32 s21, s20, 15
	s_cmp_gt_u32 s4, 1
	s_delay_alu instid0(VALU_DEP_2) | instskip(SKIP_3) | instid1(VALU_DEP_2)
	v_xor3_b32 v5, v30, v5, v0
	v_mad_u64_u32 v[0:1], null, 0xd2511f53, v2, 0
	s_cselect_b32 s4, -1, 0
	s_add_i32 s21, s21, 1
	v_mad_u64_u32 v[2:3], null, 0xd2511f53, v5, 0
	s_and_b32 s28, s21, 3
	s_cmp_lg_u32 s20, 2
	s_delay_alu instid0(VALU_DEP_2) | instskip(SKIP_3) | instid1(VALU_DEP_2)
	v_xor3_b32 v5, v32, v1, v6
	s_cselect_b32 s29, -1, 0
	s_and_b32 s30, s21, 28
	s_cmp_lg_u32 s28, 0
	v_xor3_b32 v3, v33, v3, v0
	v_mad_u64_u32 v[0:1], null, 0xcd9e8d57, v5, 0
	s_mov_b32 s26, 0
	s_cselect_b32 s31, -1, 0
	s_delay_alu instid0(VALU_DEP_2) | instskip(NEXT) | instid1(VALU_DEP_2)
	v_mad_u64_u32 v[5:6], null, 0xcd9e8d57, v3, 0
	v_xor3_b32 v3, v28, v1, v4
	s_delay_alu instid0(VALU_DEP_2) | instskip(NEXT) | instid1(VALU_DEP_2)
	v_xor3_b32 v5, v31, v6, v0
	v_mad_u64_u32 v[0:1], null, 0xd2511f53, v3, 0
	s_delay_alu instid0(VALU_DEP_2) | instskip(NEXT) | instid1(VALU_DEP_2)
	v_mad_u64_u32 v[3:4], null, 0xd2511f53, v5, 0
	v_xor3_b32 v5, v34, v1, v2
	s_delay_alu instid0(VALU_DEP_1) | instskip(NEXT) | instid1(VALU_DEP_3)
	v_mad_u64_u32 v[1:2], null, 0xcd9e8d57, v5, 0
	v_xor3_b32 v2, v4, v0, v36
	s_branch .LBB61_9
.LBB61_7:                               ;   in Loop: Header=BB61_9 Depth=1
	global_store_b16 v1, v3, s[18:19]
.LBB61_8:                               ;   in Loop: Header=BB61_9 Depth=1
	s_or_b32 exec_lo, exec_lo, s33
	v_add_co_u32 v12, vcc_lo, v12, s25
	v_add_co_ci_u32_e32 v13, vcc_lo, 0, v13, vcc_lo
	v_mov_b32_e32 v6, v14
	v_mov_b32_e32 v0, v3
	v_dual_mov_b32 v1, v4 :: v_dual_mov_b32 v2, v5
	s_delay_alu instid0(VALU_DEP_4) | instskip(NEXT) | instid1(VALU_DEP_4)
	v_cmp_le_i64_e32 vcc_lo, s[2:3], v[12:13]
	v_mov_b32_e32 v3, v6
	s_waitcnt_vscnt null, 0x0
	s_barrier
	buffer_gl0_inv
	s_or_b32 s26, vcc_lo, s26
	s_delay_alu instid0(SALU_CYCLE_1)
	s_and_not1_b32 exec_lo, exec_lo, s26
	s_cbranch_execz .LBB61_48
.LBB61_9:                               ; =>This Loop Header: Depth=1
                                        ;     Child Loop BB61_24 Depth 2
                                        ;     Child Loop BB61_29 Depth 2
	;; [unrolled: 1-line block ×4, first 2 shown]
	v_add_co_u32 v16, vcc_lo, v16, 1
	s_delay_alu instid0(VALU_DEP_1) | instskip(SKIP_1) | instid1(VALU_DEP_3)
	v_cndmask_b32_e64 v0, 0, 1, vcc_lo
	v_add_co_ci_u32_e32 v17, vcc_lo, 0, v17, vcc_lo
	v_mad_u64_u32 v[4:5], null, 0xd2511f53, v16, 0
	s_mov_b32 s20, exec_lo
	s_delay_alu instid0(VALU_DEP_2) | instskip(SKIP_1) | instid1(VALU_DEP_1)
	v_cmp_eq_u32_e32 vcc_lo, 0, v17
	v_cndmask_b32_e32 v0, 0, v0, vcc_lo
	v_add_nc_u32_e32 v37, v0, v37
	s_delay_alu instid0(VALU_DEP_1) | instskip(SKIP_2) | instid1(VALU_DEP_2)
	v_cmp_eq_u32_e32 vcc_lo, 0, v37
	v_cndmask_b32_e32 v0, 0, v0, vcc_lo
	v_mad_u64_u32 v[6:7], null, 0xcd9e8d57, v37, 0
	v_add_nc_u32_e32 v38, v0, v38
	v_xor_b32_e32 v0, v5, v11
	s_delay_alu instid0(VALU_DEP_3) | instskip(NEXT) | instid1(VALU_DEP_2)
	v_xor3_b32 v5, v7, v10, v17
	v_xor_b32_e32 v0, v38, v0
	s_delay_alu instid0(VALU_DEP_2) | instskip(NEXT) | instid1(VALU_DEP_2)
	v_mad_u64_u32 v[7:8], null, 0xd2511f53, v5, 0
	v_mad_u64_u32 v[14:15], null, 0xcd9e8d57, v0, 0
	s_delay_alu instid0(VALU_DEP_2) | instskip(NEXT) | instid1(VALU_DEP_2)
	v_xor3_b32 v0, v18, v8, v4
	v_xor3_b32 v6, v19, v15, v6
	s_delay_alu instid0(VALU_DEP_2) | instskip(NEXT) | instid1(VALU_DEP_2)
	v_mad_u64_u32 v[4:5], null, 0xcd9e8d57, v0, 0
	v_mad_u64_u32 v[8:9], null, 0xd2511f53, v6, 0
	s_delay_alu instid0(VALU_DEP_2) | instskip(NEXT) | instid1(VALU_DEP_2)
	v_xor3_b32 v0, v20, v5, v14
	v_xor3_b32 v7, v21, v9, v7
	;; [unrolled: 6-line block ×9, first 2 shown]
	s_delay_alu instid0(VALU_DEP_2)
	v_mov_b32_e32 v5, v8
	v_cmpx_lt_i32_e32 1, v26
	s_xor_b32 s20, exec_lo, s20
	s_cbranch_execnz .LBB61_12
; %bb.10:                               ;   in Loop: Header=BB61_9 Depth=1
	s_and_not1_saveexec_b32 s20, s20
	s_cbranch_execnz .LBB61_17
.LBB61_11:                              ;   in Loop: Header=BB61_9 Depth=1
	s_or_b32 exec_lo, exec_lo, s20
	s_delay_alu instid0(SALU_CYCLE_1)
	s_mov_b32 s33, exec_lo
	v_cmpx_gt_i64_e64 s[16:17], v[12:13]
	s_cbranch_execnz .LBB61_20
	s_branch .LBB61_34
.LBB61_12:                              ;   in Loop: Header=BB61_9 Depth=1
	s_mov_b32 s21, exec_lo
	v_cmpx_lt_i32_e32 2, v26
	s_xor_b32 s21, exec_lo, s21
; %bb.13:                               ;   in Loop: Header=BB61_9 Depth=1
	v_dual_mov_b32 v0, v5 :: v_dual_mov_b32 v1, v6
	v_dual_mov_b32 v2, v7 :: v_dual_mov_b32 v3, v8
; %bb.14:                               ;   in Loop: Header=BB61_9 Depth=1
	s_and_not1_saveexec_b32 s21, s21
; %bb.15:                               ;   in Loop: Header=BB61_9 Depth=1
	s_delay_alu instid0(VALU_DEP_1)
	v_mov_b32_e32 v1, v3
	v_mov_b32_e32 v3, v4
; %bb.16:                               ;   in Loop: Header=BB61_9 Depth=1
	s_or_b32 exec_lo, exec_lo, s21
                                        ; implicit-def: $vgpr6_vgpr7_vgpr8_vgpr9
	s_and_not1_saveexec_b32 s20, s20
	s_cbranch_execz .LBB61_11
.LBB61_17:                              ;   in Loop: Header=BB61_9 Depth=1
	s_mov_b32 s21, exec_lo
	v_cmpx_eq_u32_e32 1, v26
; %bb.18:                               ;   in Loop: Header=BB61_9 Depth=1
	v_mov_b32_e32 v1, v2
	v_mov_b32_e32 v3, v6
; %bb.19:                               ;   in Loop: Header=BB61_9 Depth=1
	s_or_b32 exec_lo, exec_lo, s21
	s_delay_alu instid0(SALU_CYCLE_1) | instskip(NEXT) | instid1(SALU_CYCLE_1)
	s_or_b32 exec_lo, exec_lo, s20
	s_mov_b32 s33, exec_lo
	v_cmpx_gt_i64_e64 s[16:17], v[12:13]
	s_cbranch_execz .LBB61_34
.LBB61_20:                              ;   in Loop: Header=BB61_9 Depth=1
	s_and_not1_b32 vcc_lo, exec_lo, s11
	s_cbranch_vccnz .LBB61_26
; %bb.21:                               ;   in Loop: Header=BB61_9 Depth=1
	v_mov_b32_e32 v0, 0
	s_and_not1_b32 vcc_lo, exec_lo, s27
	s_cbranch_vccnz .LBB61_30
; %bb.22:                               ;   in Loop: Header=BB61_9 Depth=1
	s_and_not1_b32 vcc_lo, exec_lo, s29
	s_mov_b32 s20, 0
	s_cbranch_vccnz .LBB61_27
; %bb.23:                               ;   in Loop: Header=BB61_9 Depth=1
	v_mov_b32_e32 v0, 0
	v_mov_b32_e32 v2, v12
	s_mov_b32 s34, 0
	s_mov_b64 s[20:21], s[12:13]
	s_mov_b64 s[22:23], s[0:1]
.LBB61_24:                              ;   Parent Loop BB61_9 Depth=1
                                        ; =>  This Inner Loop Header: Depth=2
	s_clause 0x1
	s_load_b256 s[36:43], s[20:21], 0x4
	s_load_b128 s[44:47], s[20:21], 0x24
	s_load_b128 s[48:51], s[22:23], 0x0
	s_add_u32 s20, s20, 48
	s_addc_u32 s21, s21, 0
	s_add_i32 s34, s34, 4
	s_add_u32 s22, s22, 16
	s_addc_u32 s23, s23, 0
	s_cmp_lg_u32 s30, s34
	s_waitcnt lgkmcnt(0)
	v_mul_hi_u32 v6, s37, v2
	s_delay_alu instid0(VALU_DEP_1) | instskip(NEXT) | instid1(VALU_DEP_1)
	v_add_nc_u32_e32 v6, v2, v6
	v_lshrrev_b32_e32 v6, s38, v6
	s_delay_alu instid0(VALU_DEP_1) | instskip(SKIP_1) | instid1(VALU_DEP_2)
	v_mul_hi_u32 v7, s40, v6
	v_mul_lo_u32 v15, v6, s36
	v_add_nc_u32_e32 v7, v6, v7
	s_delay_alu instid0(VALU_DEP_2) | instskip(NEXT) | instid1(VALU_DEP_2)
	v_sub_nc_u32_e32 v15, v2, v15
	v_lshrrev_b32_e32 v7, s41, v7
	s_delay_alu instid0(VALU_DEP_2) | instskip(NEXT) | instid1(VALU_DEP_2)
	v_mul_lo_u32 v15, v15, s48
	v_mul_hi_u32 v8, s43, v7
	v_mul_lo_u32 v39, v7, s39
	s_delay_alu instid0(VALU_DEP_2) | instskip(NEXT) | instid1(VALU_DEP_2)
	v_add_nc_u32_e32 v8, v7, v8
	v_sub_nc_u32_e32 v6, v6, v39
	s_delay_alu instid0(VALU_DEP_2) | instskip(NEXT) | instid1(VALU_DEP_2)
	v_lshrrev_b32_e32 v8, s44, v8
	v_mul_lo_u32 v6, v6, s49
	s_delay_alu instid0(VALU_DEP_2) | instskip(NEXT) | instid1(VALU_DEP_2)
	v_mul_hi_u32 v9, s46, v8
	v_add3_u32 v0, v15, v0, v6
	s_delay_alu instid0(VALU_DEP_2) | instskip(NEXT) | instid1(VALU_DEP_1)
	v_add_nc_u32_e32 v9, v8, v9
	v_lshrrev_b32_e32 v2, s47, v9
	v_mul_lo_u32 v9, v8, s42
	s_delay_alu instid0(VALU_DEP_2) | instskip(NEXT) | instid1(VALU_DEP_2)
	v_mul_lo_u32 v40, v2, s45
	v_sub_nc_u32_e32 v7, v7, v9
	s_delay_alu instid0(VALU_DEP_2) | instskip(NEXT) | instid1(VALU_DEP_2)
	v_sub_nc_u32_e32 v8, v8, v40
	v_mul_lo_u32 v7, v7, s50
	s_delay_alu instid0(VALU_DEP_2) | instskip(NEXT) | instid1(VALU_DEP_1)
	v_mul_lo_u32 v8, v8, s51
	v_add3_u32 v0, v7, v0, v8
	s_cbranch_scc1 .LBB61_24
; %bb.25:                               ;   in Loop: Header=BB61_9 Depth=1
	s_mov_b32 s20, s30
	s_and_not1_b32 vcc_lo, exec_lo, s31
	s_cbranch_vccz .LBB61_28
	s_branch .LBB61_30
.LBB61_26:                              ;   in Loop: Header=BB61_9 Depth=1
                                        ; implicit-def: $vgpr0
	s_branch .LBB61_31
.LBB61_27:                              ;   in Loop: Header=BB61_9 Depth=1
	v_mov_b32_e32 v2, v12
	s_and_not1_b32 vcc_lo, exec_lo, s31
	s_cbranch_vccnz .LBB61_30
.LBB61_28:                              ;   in Loop: Header=BB61_9 Depth=1
	s_lshl_b32 s21, s20, 2
	s_mul_i32 s22, s20, 12
	s_add_u32 s20, s0, s21
	s_addc_u32 s21, s1, 0
	s_add_u32 s22, s12, s22
	s_addc_u32 s23, s13, 0
	s_mov_b32 s34, s28
	.p2align	6
.LBB61_29:                              ;   Parent Loop BB61_9 Depth=1
                                        ; =>  This Inner Loop Header: Depth=2
	s_clause 0x1
	s_load_b64 s[36:37], s[22:23], 0x4
	s_load_b32 s35, s[22:23], 0xc
	s_add_u32 s22, s22, 12
	s_addc_u32 s23, s23, 0
	s_waitcnt lgkmcnt(0)
	v_mul_hi_u32 v6, s37, v2
	s_load_b32 s37, s[20:21], 0x0
	s_add_u32 s20, s20, 4
	s_addc_u32 s21, s21, 0
	s_add_i32 s34, s34, -1
	s_delay_alu instid0(SALU_CYCLE_1) | instskip(NEXT) | instid1(VALU_DEP_1)
	s_cmp_lg_u32 s34, 0
	v_add_nc_u32_e32 v6, v2, v6
	s_delay_alu instid0(VALU_DEP_1) | instskip(NEXT) | instid1(VALU_DEP_1)
	v_lshrrev_b32_e32 v8, s35, v6
	v_mul_lo_u32 v6, v8, s36
	s_delay_alu instid0(VALU_DEP_1) | instskip(SKIP_1) | instid1(VALU_DEP_1)
	v_sub_nc_u32_e32 v2, v2, v6
	s_waitcnt lgkmcnt(0)
	v_mad_u64_u32 v[6:7], null, v2, s37, v[0:1]
	v_mov_b32_e32 v2, v8
	s_delay_alu instid0(VALU_DEP_2)
	v_mov_b32_e32 v0, v6
	s_cbranch_scc1 .LBB61_29
.LBB61_30:                              ;   in Loop: Header=BB61_9 Depth=1
	s_cbranch_execnz .LBB61_33
.LBB61_31:                              ;   in Loop: Header=BB61_9 Depth=1
	v_mul_hi_u32 v0, v12, s6
	s_and_not1_b32 vcc_lo, exec_lo, s4
	s_delay_alu instid0(VALU_DEP_1) | instskip(NEXT) | instid1(VALU_DEP_1)
	v_add_nc_u32_e32 v0, v0, v12
	v_lshrrev_b32_e32 v2, s7, v0
	s_delay_alu instid0(VALU_DEP_1) | instskip(NEXT) | instid1(VALU_DEP_1)
	v_mul_lo_u32 v0, v2, s5
	v_sub_nc_u32_e32 v0, v12, v0
	s_delay_alu instid0(VALU_DEP_1)
	v_mul_lo_u32 v0, v0, s14
	s_cbranch_vccnz .LBB61_33
; %bb.32:                               ;   in Loop: Header=BB61_9 Depth=1
	v_mul_hi_u32 v6, s9, v2
	s_delay_alu instid0(VALU_DEP_1) | instskip(NEXT) | instid1(VALU_DEP_1)
	v_add_nc_u32_e32 v6, v2, v6
	v_lshrrev_b32_e32 v6, s10, v6
	s_delay_alu instid0(VALU_DEP_1) | instskip(NEXT) | instid1(VALU_DEP_1)
	v_mul_lo_u32 v6, v6, s8
	v_sub_nc_u32_e32 v2, v2, v6
	s_delay_alu instid0(VALU_DEP_1) | instskip(NEXT) | instid1(VALU_DEP_1)
	v_mad_u64_u32 v[6:7], null, v2, s15, v[0:1]
	v_mov_b32_e32 v0, v6
.LBB61_33:                              ;   in Loop: Header=BB61_9 Depth=1
	global_store_b16 v0, v1, s[18:19]
.LBB61_34:                              ;   in Loop: Header=BB61_9 Depth=1
	s_or_b32 exec_lo, exec_lo, s33
	v_add_co_u32 v0, vcc_lo, v12, s24
	v_add_co_ci_u32_e32 v1, vcc_lo, 0, v13, vcc_lo
	s_mov_b32 s33, exec_lo
	s_delay_alu instid0(VALU_DEP_1)
	v_cmpx_gt_i64_e64 s[16:17], v[0:1]
	s_cbranch_execz .LBB61_8
; %bb.35:                               ;   in Loop: Header=BB61_9 Depth=1
	s_and_not1_b32 vcc_lo, exec_lo, s11
	s_cbranch_vccnz .LBB61_41
; %bb.36:                               ;   in Loop: Header=BB61_9 Depth=1
	v_mov_b32_e32 v1, 0
	s_and_not1_b32 vcc_lo, exec_lo, s27
	s_cbranch_vccnz .LBB61_45
; %bb.37:                               ;   in Loop: Header=BB61_9 Depth=1
	s_and_not1_b32 vcc_lo, exec_lo, s29
	s_mov_b32 s20, 0
	s_cbranch_vccnz .LBB61_42
; %bb.38:                               ;   in Loop: Header=BB61_9 Depth=1
	v_dual_mov_b32 v1, 0 :: v_dual_mov_b32 v2, v0
	s_mov_b32 s34, 0
	s_mov_b64 s[20:21], s[12:13]
	s_mov_b64 s[22:23], s[0:1]
.LBB61_39:                              ;   Parent Loop BB61_9 Depth=1
                                        ; =>  This Inner Loop Header: Depth=2
	s_clause 0x1
	s_load_b256 s[36:43], s[20:21], 0x4
	s_load_b128 s[44:47], s[20:21], 0x24
	s_load_b128 s[48:51], s[22:23], 0x0
	s_add_u32 s20, s20, 48
	s_addc_u32 s21, s21, 0
	s_add_i32 s34, s34, 4
	s_add_u32 s22, s22, 16
	s_addc_u32 s23, s23, 0
	s_cmp_eq_u32 s30, s34
	s_waitcnt lgkmcnt(0)
	v_mul_hi_u32 v6, s37, v2
	s_delay_alu instid0(VALU_DEP_1) | instskip(NEXT) | instid1(VALU_DEP_1)
	v_add_nc_u32_e32 v6, v2, v6
	v_lshrrev_b32_e32 v6, s38, v6
	s_delay_alu instid0(VALU_DEP_1) | instskip(SKIP_1) | instid1(VALU_DEP_2)
	v_mul_hi_u32 v7, s40, v6
	v_mul_lo_u32 v15, v6, s36
	v_add_nc_u32_e32 v7, v6, v7
	s_delay_alu instid0(VALU_DEP_2) | instskip(NEXT) | instid1(VALU_DEP_2)
	v_sub_nc_u32_e32 v15, v2, v15
	v_lshrrev_b32_e32 v7, s41, v7
	s_delay_alu instid0(VALU_DEP_2) | instskip(NEXT) | instid1(VALU_DEP_2)
	v_mul_lo_u32 v15, v15, s48
	v_mul_hi_u32 v8, s43, v7
	v_mul_lo_u32 v39, v7, s39
	s_delay_alu instid0(VALU_DEP_2) | instskip(NEXT) | instid1(VALU_DEP_2)
	v_add_nc_u32_e32 v8, v7, v8
	v_sub_nc_u32_e32 v6, v6, v39
	s_delay_alu instid0(VALU_DEP_2) | instskip(NEXT) | instid1(VALU_DEP_2)
	v_lshrrev_b32_e32 v8, s44, v8
	v_mul_lo_u32 v6, v6, s49
	s_delay_alu instid0(VALU_DEP_2) | instskip(NEXT) | instid1(VALU_DEP_2)
	v_mul_hi_u32 v9, s46, v8
	v_add3_u32 v1, v15, v1, v6
	s_delay_alu instid0(VALU_DEP_2) | instskip(NEXT) | instid1(VALU_DEP_1)
	v_add_nc_u32_e32 v9, v8, v9
	v_lshrrev_b32_e32 v2, s47, v9
	v_mul_lo_u32 v9, v8, s42
	s_delay_alu instid0(VALU_DEP_2) | instskip(NEXT) | instid1(VALU_DEP_2)
	v_mul_lo_u32 v40, v2, s45
	v_sub_nc_u32_e32 v7, v7, v9
	s_delay_alu instid0(VALU_DEP_2) | instskip(NEXT) | instid1(VALU_DEP_2)
	v_sub_nc_u32_e32 v8, v8, v40
	v_mul_lo_u32 v7, v7, s50
	s_delay_alu instid0(VALU_DEP_2) | instskip(NEXT) | instid1(VALU_DEP_1)
	v_mul_lo_u32 v8, v8, s51
	v_add3_u32 v1, v7, v1, v8
	s_cbranch_scc0 .LBB61_39
; %bb.40:                               ;   in Loop: Header=BB61_9 Depth=1
	s_mov_b32 s20, s30
	s_and_not1_b32 vcc_lo, exec_lo, s31
	s_cbranch_vccz .LBB61_43
	s_branch .LBB61_45
.LBB61_41:                              ;   in Loop: Header=BB61_9 Depth=1
                                        ; implicit-def: $vgpr1
	s_branch .LBB61_46
.LBB61_42:                              ;   in Loop: Header=BB61_9 Depth=1
	v_mov_b32_e32 v2, v0
	s_and_not1_b32 vcc_lo, exec_lo, s31
	s_cbranch_vccnz .LBB61_45
.LBB61_43:                              ;   in Loop: Header=BB61_9 Depth=1
	s_lshl_b32 s21, s20, 2
	s_mul_i32 s22, s20, 12
	s_add_u32 s20, s0, s21
	s_addc_u32 s21, s1, 0
	s_add_u32 s22, s12, s22
	s_addc_u32 s23, s13, 0
	s_mov_b32 s34, s28
	.p2align	6
.LBB61_44:                              ;   Parent Loop BB61_9 Depth=1
                                        ; =>  This Inner Loop Header: Depth=2
	s_clause 0x1
	s_load_b64 s[36:37], s[22:23], 0x4
	s_load_b32 s35, s[22:23], 0xc
	s_add_u32 s22, s22, 12
	s_addc_u32 s23, s23, 0
	s_waitcnt lgkmcnt(0)
	v_mul_hi_u32 v6, s37, v2
	s_load_b32 s37, s[20:21], 0x0
	s_add_u32 s20, s20, 4
	s_addc_u32 s21, s21, 0
	s_add_i32 s34, s34, -1
	s_delay_alu instid0(SALU_CYCLE_1) | instskip(NEXT) | instid1(VALU_DEP_1)
	s_cmp_lg_u32 s34, 0
	v_add_nc_u32_e32 v6, v2, v6
	s_delay_alu instid0(VALU_DEP_1) | instskip(NEXT) | instid1(VALU_DEP_1)
	v_lshrrev_b32_e32 v8, s35, v6
	v_mul_lo_u32 v6, v8, s36
	s_delay_alu instid0(VALU_DEP_1) | instskip(SKIP_1) | instid1(VALU_DEP_1)
	v_sub_nc_u32_e32 v2, v2, v6
	s_waitcnt lgkmcnt(0)
	v_mad_u64_u32 v[6:7], null, v2, s37, v[1:2]
	s_delay_alu instid0(VALU_DEP_1)
	v_dual_mov_b32 v2, v8 :: v_dual_mov_b32 v1, v6
	s_cbranch_scc1 .LBB61_44
.LBB61_45:                              ;   in Loop: Header=BB61_9 Depth=1
	s_cbranch_execnz .LBB61_7
.LBB61_46:                              ;   in Loop: Header=BB61_9 Depth=1
	v_mul_hi_u32 v1, v0, s6
	s_and_not1_b32 vcc_lo, exec_lo, s4
	s_delay_alu instid0(VALU_DEP_1) | instskip(NEXT) | instid1(VALU_DEP_1)
	v_add_nc_u32_e32 v1, v1, v0
	v_lshrrev_b32_e32 v2, s7, v1
	s_delay_alu instid0(VALU_DEP_1) | instskip(NEXT) | instid1(VALU_DEP_1)
	v_mul_lo_u32 v1, v2, s5
	v_sub_nc_u32_e32 v0, v0, v1
	s_delay_alu instid0(VALU_DEP_1)
	v_mul_lo_u32 v1, v0, s14
	s_cbranch_vccnz .LBB61_7
; %bb.47:                               ;   in Loop: Header=BB61_9 Depth=1
	v_mul_hi_u32 v0, s9, v2
	s_delay_alu instid0(VALU_DEP_1) | instskip(NEXT) | instid1(VALU_DEP_1)
	v_add_nc_u32_e32 v0, v2, v0
	v_lshrrev_b32_e32 v0, s10, v0
	s_delay_alu instid0(VALU_DEP_1) | instskip(NEXT) | instid1(VALU_DEP_1)
	v_mul_lo_u32 v0, v0, s8
	v_sub_nc_u32_e32 v0, v2, v0
	s_delay_alu instid0(VALU_DEP_1) | instskip(NEXT) | instid1(VALU_DEP_1)
	v_mad_u64_u32 v[6:7], null, v0, s15, v[1:2]
	v_mov_b32_e32 v1, v6
	s_branch .LBB61_7
.LBB61_48:
	s_endpgm
.LBB61_49:
                                        ; implicit-def: $sgpr2_sgpr3
	s_branch .LBB61_4
	.section	.rodata,"a",@progbits
	.p2align	6, 0x0
	.amdhsa_kernel _ZN2at6native12_GLOBAL__N_143distribution_elementwise_grid_stride_kernelImLi2EZZZNS0_9templates4cuda32random_full_64_bits_range_kernelIPNS_17CUDAGeneratorImplEEEvRNS_18TensorIteratorBaseET_ENKUlvE_clEvENKUlvE3_clEvEUlP25hiprandStatePhilox4_32_10E_ZNS1_27distribution_nullary_kernelIsm15HIP_vector_typeIyLj2EES7_SF_ZZZNS5_IS7_EEvS9_SA_ENKSB_clEvENKSC_clEvEUlmE_EEvS9_T2_RKT3_T4_EUlimE0_EEvlNS_15PhiloxCudaStateET1_SK_
		.amdhsa_group_segment_fixed_size 0
		.amdhsa_private_segment_fixed_size 0
		.amdhsa_kernarg_size 584
		.amdhsa_user_sgpr_count 15
		.amdhsa_user_sgpr_dispatch_ptr 0
		.amdhsa_user_sgpr_queue_ptr 0
		.amdhsa_user_sgpr_kernarg_segment_ptr 1
		.amdhsa_user_sgpr_dispatch_id 0
		.amdhsa_user_sgpr_private_segment_size 0
		.amdhsa_wavefront_size32 1
		.amdhsa_uses_dynamic_stack 0
		.amdhsa_enable_private_segment 0
		.amdhsa_system_sgpr_workgroup_id_x 1
		.amdhsa_system_sgpr_workgroup_id_y 0
		.amdhsa_system_sgpr_workgroup_id_z 0
		.amdhsa_system_sgpr_workgroup_info 0
		.amdhsa_system_vgpr_workitem_id 0
		.amdhsa_next_free_vgpr 41
		.amdhsa_next_free_sgpr 52
		.amdhsa_reserve_vcc 1
		.amdhsa_float_round_mode_32 0
		.amdhsa_float_round_mode_16_64 0
		.amdhsa_float_denorm_mode_32 3
		.amdhsa_float_denorm_mode_16_64 3
		.amdhsa_dx10_clamp 1
		.amdhsa_ieee_mode 1
		.amdhsa_fp16_overflow 0
		.amdhsa_workgroup_processor_mode 1
		.amdhsa_memory_ordered 1
		.amdhsa_forward_progress 0
		.amdhsa_shared_vgpr_count 0
		.amdhsa_exception_fp_ieee_invalid_op 0
		.amdhsa_exception_fp_denorm_src 0
		.amdhsa_exception_fp_ieee_div_zero 0
		.amdhsa_exception_fp_ieee_overflow 0
		.amdhsa_exception_fp_ieee_underflow 0
		.amdhsa_exception_fp_ieee_inexact 0
		.amdhsa_exception_int_div_zero 0
	.end_amdhsa_kernel
	.section	.text._ZN2at6native12_GLOBAL__N_143distribution_elementwise_grid_stride_kernelImLi2EZZZNS0_9templates4cuda32random_full_64_bits_range_kernelIPNS_17CUDAGeneratorImplEEEvRNS_18TensorIteratorBaseET_ENKUlvE_clEvENKUlvE3_clEvEUlP25hiprandStatePhilox4_32_10E_ZNS1_27distribution_nullary_kernelIsm15HIP_vector_typeIyLj2EES7_SF_ZZZNS5_IS7_EEvS9_SA_ENKSB_clEvENKSC_clEvEUlmE_EEvS9_T2_RKT3_T4_EUlimE0_EEvlNS_15PhiloxCudaStateET1_SK_,"axG",@progbits,_ZN2at6native12_GLOBAL__N_143distribution_elementwise_grid_stride_kernelImLi2EZZZNS0_9templates4cuda32random_full_64_bits_range_kernelIPNS_17CUDAGeneratorImplEEEvRNS_18TensorIteratorBaseET_ENKUlvE_clEvENKUlvE3_clEvEUlP25hiprandStatePhilox4_32_10E_ZNS1_27distribution_nullary_kernelIsm15HIP_vector_typeIyLj2EES7_SF_ZZZNS5_IS7_EEvS9_SA_ENKSB_clEvENKSC_clEvEUlmE_EEvS9_T2_RKT3_T4_EUlimE0_EEvlNS_15PhiloxCudaStateET1_SK_,comdat
.Lfunc_end61:
	.size	_ZN2at6native12_GLOBAL__N_143distribution_elementwise_grid_stride_kernelImLi2EZZZNS0_9templates4cuda32random_full_64_bits_range_kernelIPNS_17CUDAGeneratorImplEEEvRNS_18TensorIteratorBaseET_ENKUlvE_clEvENKUlvE3_clEvEUlP25hiprandStatePhilox4_32_10E_ZNS1_27distribution_nullary_kernelIsm15HIP_vector_typeIyLj2EES7_SF_ZZZNS5_IS7_EEvS9_SA_ENKSB_clEvENKSC_clEvEUlmE_EEvS9_T2_RKT3_T4_EUlimE0_EEvlNS_15PhiloxCudaStateET1_SK_, .Lfunc_end61-_ZN2at6native12_GLOBAL__N_143distribution_elementwise_grid_stride_kernelImLi2EZZZNS0_9templates4cuda32random_full_64_bits_range_kernelIPNS_17CUDAGeneratorImplEEEvRNS_18TensorIteratorBaseET_ENKUlvE_clEvENKUlvE3_clEvEUlP25hiprandStatePhilox4_32_10E_ZNS1_27distribution_nullary_kernelIsm15HIP_vector_typeIyLj2EES7_SF_ZZZNS5_IS7_EEvS9_SA_ENKSB_clEvENKSC_clEvEUlmE_EEvS9_T2_RKT3_T4_EUlimE0_EEvlNS_15PhiloxCudaStateET1_SK_
                                        ; -- End function
	.section	.AMDGPU.csdata,"",@progbits
; Kernel info:
; codeLenInByte = 3776
; NumSgprs: 54
; NumVgprs: 41
; ScratchSize: 0
; MemoryBound: 0
; FloatMode: 240
; IeeeMode: 1
; LDSByteSize: 0 bytes/workgroup (compile time only)
; SGPRBlocks: 6
; VGPRBlocks: 5
; NumSGPRsForWavesPerEU: 54
; NumVGPRsForWavesPerEU: 41
; Occupancy: 16
; WaveLimiterHint : 1
; COMPUTE_PGM_RSRC2:SCRATCH_EN: 0
; COMPUTE_PGM_RSRC2:USER_SGPR: 15
; COMPUTE_PGM_RSRC2:TRAP_HANDLER: 0
; COMPUTE_PGM_RSRC2:TGID_X_EN: 1
; COMPUTE_PGM_RSRC2:TGID_Y_EN: 0
; COMPUTE_PGM_RSRC2:TGID_Z_EN: 0
; COMPUTE_PGM_RSRC2:TIDIG_COMP_CNT: 0
	.section	.text._ZN2at6native12_GLOBAL__N_143distribution_elementwise_grid_stride_kernelImLi2EZZZNS0_9templates4cuda32random_full_64_bits_range_kernelIPNS_17CUDAGeneratorImplEEEvRNS_18TensorIteratorBaseET_ENKUlvE_clEvENKUlvE4_clEvEUlP25hiprandStatePhilox4_32_10E_ZNS1_27distribution_nullary_kernelIdm15HIP_vector_typeIyLj2EES7_SF_ZZZNS5_IS7_EEvS9_SA_ENKSB_clEvENKSC_clEvEUlmE_EEvS9_T2_RKT3_T4_EUlimE_EEvlNS_15PhiloxCudaStateET1_SK_,"axG",@progbits,_ZN2at6native12_GLOBAL__N_143distribution_elementwise_grid_stride_kernelImLi2EZZZNS0_9templates4cuda32random_full_64_bits_range_kernelIPNS_17CUDAGeneratorImplEEEvRNS_18TensorIteratorBaseET_ENKUlvE_clEvENKUlvE4_clEvEUlP25hiprandStatePhilox4_32_10E_ZNS1_27distribution_nullary_kernelIdm15HIP_vector_typeIyLj2EES7_SF_ZZZNS5_IS7_EEvS9_SA_ENKSB_clEvENKSC_clEvEUlmE_EEvS9_T2_RKT3_T4_EUlimE_EEvlNS_15PhiloxCudaStateET1_SK_,comdat
	.globl	_ZN2at6native12_GLOBAL__N_143distribution_elementwise_grid_stride_kernelImLi2EZZZNS0_9templates4cuda32random_full_64_bits_range_kernelIPNS_17CUDAGeneratorImplEEEvRNS_18TensorIteratorBaseET_ENKUlvE_clEvENKUlvE4_clEvEUlP25hiprandStatePhilox4_32_10E_ZNS1_27distribution_nullary_kernelIdm15HIP_vector_typeIyLj2EES7_SF_ZZZNS5_IS7_EEvS9_SA_ENKSB_clEvENKSC_clEvEUlmE_EEvS9_T2_RKT3_T4_EUlimE_EEvlNS_15PhiloxCudaStateET1_SK_ ; -- Begin function _ZN2at6native12_GLOBAL__N_143distribution_elementwise_grid_stride_kernelImLi2EZZZNS0_9templates4cuda32random_full_64_bits_range_kernelIPNS_17CUDAGeneratorImplEEEvRNS_18TensorIteratorBaseET_ENKUlvE_clEvENKUlvE4_clEvEUlP25hiprandStatePhilox4_32_10E_ZNS1_27distribution_nullary_kernelIdm15HIP_vector_typeIyLj2EES7_SF_ZZZNS5_IS7_EEvS9_SA_ENKSB_clEvENKSC_clEvEUlmE_EEvS9_T2_RKT3_T4_EUlimE_EEvlNS_15PhiloxCudaStateET1_SK_
	.p2align	8
	.type	_ZN2at6native12_GLOBAL__N_143distribution_elementwise_grid_stride_kernelImLi2EZZZNS0_9templates4cuda32random_full_64_bits_range_kernelIPNS_17CUDAGeneratorImplEEEvRNS_18TensorIteratorBaseET_ENKUlvE_clEvENKUlvE4_clEvEUlP25hiprandStatePhilox4_32_10E_ZNS1_27distribution_nullary_kernelIdm15HIP_vector_typeIyLj2EES7_SF_ZZZNS5_IS7_EEvS9_SA_ENKSB_clEvENKSC_clEvEUlmE_EEvS9_T2_RKT3_T4_EUlimE_EEvlNS_15PhiloxCudaStateET1_SK_,@function
_ZN2at6native12_GLOBAL__N_143distribution_elementwise_grid_stride_kernelImLi2EZZZNS0_9templates4cuda32random_full_64_bits_range_kernelIPNS_17CUDAGeneratorImplEEEvRNS_18TensorIteratorBaseET_ENKUlvE_clEvENKUlvE4_clEvEUlP25hiprandStatePhilox4_32_10E_ZNS1_27distribution_nullary_kernelIdm15HIP_vector_typeIyLj2EES7_SF_ZZZNS5_IS7_EEvS9_SA_ENKSB_clEvENKSC_clEvEUlmE_EEvS9_T2_RKT3_T4_EUlimE_EEvlNS_15PhiloxCudaStateET1_SK_: ; @_ZN2at6native12_GLOBAL__N_143distribution_elementwise_grid_stride_kernelImLi2EZZZNS0_9templates4cuda32random_full_64_bits_range_kernelIPNS_17CUDAGeneratorImplEEEvRNS_18TensorIteratorBaseET_ENKUlvE_clEvENKUlvE4_clEvEUlP25hiprandStatePhilox4_32_10E_ZNS1_27distribution_nullary_kernelIdm15HIP_vector_typeIyLj2EES7_SF_ZZZNS5_IS7_EEvS9_SA_ENKSB_clEvENKSC_clEvEUlmE_EEvS9_T2_RKT3_T4_EUlimE_EEvlNS_15PhiloxCudaStateET1_SK_
; %bb.0:
	s_clause 0x2
	s_load_b64 s[8:9], s[0:1], 0x10
	s_load_b128 s[4:7], s[0:1], 0x0
	s_load_b32 s2, s[0:1], 0x20
	s_waitcnt lgkmcnt(0)
	v_dual_mov_b32 v2, s8 :: v_dual_mov_b32 v3, s9
	v_dual_mov_b32 v12, s7 :: v_dual_mov_b32 v11, s6
	s_bitcmp0_b32 s2, 0
	s_mov_b32 s2, 0
	s_cbranch_scc1 .LBB62_2
; %bb.1:
	v_dual_mov_b32 v1, s8 :: v_dual_mov_b32 v2, s9
	v_dual_mov_b32 v4, s6 :: v_dual_mov_b32 v5, s7
	s_load_b64 s[6:7], s[0:1], 0x18
	flat_load_b64 v[2:3], v[1:2]
	flat_load_b64 v[11:12], v[4:5]
	s_waitcnt vmcnt(1) lgkmcnt(0)
	v_add_co_u32 v2, vcc_lo, v2, s6
	v_add_co_ci_u32_e32 v3, vcc_lo, s7, v3, vcc_lo
.LBB62_2:
	s_clause 0x1
	s_load_b32 s3, s[0:1], 0x4c
	s_load_b32 s11, s[0:1], 0x40
	s_waitcnt lgkmcnt(0)
	s_and_b32 s10, s3, 0xffff
	s_add_u32 s6, s4, -1
	s_mul_i32 s8, s11, s10
	s_addc_u32 s3, s5, -1
	s_lshl_b32 s9, s8, 1
	s_cmp_lg_u64 s[2:3], 0
	s_cbranch_scc0 .LBB62_23
; %bb.3:
	v_cvt_f32_ubyte0_e32 v1, 0
	v_cvt_f32_u32_e32 v4, s9
	s_sub_u32 s12, 0, s9
	s_subb_u32 s13, 0, 0
	s_delay_alu instid0(VALU_DEP_1) | instskip(NEXT) | instid1(VALU_DEP_1)
	v_fmamk_f32 v1, v1, 0x4f800000, v4
	v_rcp_f32_e32 v1, v1
	s_waitcnt_depctr 0xfff
	v_mul_f32_e32 v1, 0x5f7ffffc, v1
	s_delay_alu instid0(VALU_DEP_1) | instskip(NEXT) | instid1(VALU_DEP_1)
	v_mul_f32_e32 v4, 0x2f800000, v1
	v_trunc_f32_e32 v4, v4
	s_delay_alu instid0(VALU_DEP_1) | instskip(SKIP_1) | instid1(VALU_DEP_2)
	v_fmamk_f32 v1, v4, 0xcf800000, v1
	v_cvt_u32_f32_e32 v4, v4
	v_cvt_u32_f32_e32 v1, v1
	s_delay_alu instid0(VALU_DEP_2) | instskip(NEXT) | instid1(VALU_DEP_2)
	v_readfirstlane_b32 s2, v4
	v_readfirstlane_b32 s7, v1
	s_delay_alu instid0(VALU_DEP_2) | instskip(NEXT) | instid1(VALU_DEP_1)
	s_mul_i32 s14, s12, s2
	s_mul_hi_u32 s17, s12, s7
	s_mul_i32 s16, s13, s7
	s_add_i32 s14, s17, s14
	s_mul_i32 s18, s12, s7
	s_add_i32 s14, s14, s16
	s_mul_hi_u32 s17, s7, s18
	s_mul_hi_u32 s19, s2, s18
	s_mul_i32 s16, s2, s18
	s_mul_hi_u32 s18, s7, s14
	s_mul_i32 s7, s7, s14
	s_mul_hi_u32 s20, s2, s14
	s_add_u32 s7, s17, s7
	s_addc_u32 s17, 0, s18
	s_add_u32 s7, s7, s16
	s_mul_i32 s14, s2, s14
	s_addc_u32 s7, s17, s19
	s_addc_u32 s16, s20, 0
	s_add_u32 s7, s7, s14
	s_addc_u32 s14, 0, s16
	v_add_co_u32 v1, s7, v1, s7
	s_delay_alu instid0(VALU_DEP_1) | instskip(SKIP_1) | instid1(VALU_DEP_1)
	s_cmp_lg_u32 s7, 0
	s_addc_u32 s2, s2, s14
	v_readfirstlane_b32 s7, v1
	s_mul_i32 s14, s12, s2
	s_delay_alu instid0(VALU_DEP_1)
	s_mul_hi_u32 s16, s12, s7
	s_mul_i32 s13, s13, s7
	s_add_i32 s14, s16, s14
	s_mul_i32 s12, s12, s7
	s_add_i32 s14, s14, s13
	s_mul_hi_u32 s16, s2, s12
	s_mul_i32 s17, s2, s12
	s_mul_hi_u32 s12, s7, s12
	s_mul_hi_u32 s18, s7, s14
	s_mul_i32 s7, s7, s14
	s_mul_hi_u32 s13, s2, s14
	s_add_u32 s7, s12, s7
	s_addc_u32 s12, 0, s18
	s_add_u32 s7, s7, s17
	s_mul_i32 s14, s2, s14
	s_addc_u32 s7, s12, s16
	s_addc_u32 s12, s13, 0
	s_add_u32 s7, s7, s14
	s_addc_u32 s12, 0, s12
	v_add_co_u32 v1, s7, v1, s7
	s_delay_alu instid0(VALU_DEP_1) | instskip(SKIP_2) | instid1(VALU_DEP_1)
	s_cmp_lg_u32 s7, 0
	s_addc_u32 s7, s2, s12
	s_ashr_i32 s12, s3, 31
	v_readfirstlane_b32 s14, v1
	s_add_u32 s2, s6, s12
	s_mov_b32 s13, s12
	s_addc_u32 s3, s3, s12
	s_delay_alu instid0(SALU_CYCLE_1) | instskip(NEXT) | instid1(SALU_CYCLE_1)
	s_xor_b64 s[2:3], s[2:3], s[12:13]
	s_mul_i32 s17, s2, s7
	s_mul_hi_u32 s18, s2, s14
	s_mul_hi_u32 s16, s2, s7
	;; [unrolled: 1-line block ×3, first 2 shown]
	s_mul_i32 s14, s3, s14
	s_add_u32 s17, s18, s17
	s_addc_u32 s16, 0, s16
	s_mul_hi_u32 s19, s3, s7
	s_add_u32 s14, s17, s14
	s_mul_i32 s7, s3, s7
	s_addc_u32 s14, s16, s20
	s_addc_u32 s16, s19, 0
	s_add_u32 s7, s14, s7
	s_addc_u32 s14, 0, s16
	s_mul_i32 s17, s9, s7
	s_add_u32 s16, s7, 1
	v_sub_co_u32 v1, s2, s2, s17
	s_mul_hi_u32 s17, s9, s7
	s_addc_u32 s18, s14, 0
	s_mul_i32 s19, s9, s14
	s_delay_alu instid0(VALU_DEP_1)
	v_sub_co_u32 v4, s20, v1, s9
	s_add_u32 s21, s7, 2
	s_addc_u32 s22, s14, 0
	s_add_i32 s17, s17, s19
	s_cmp_lg_u32 s2, 0
	v_readfirstlane_b32 s2, v4
	s_subb_u32 s3, s3, s17
	s_cmp_lg_u32 s20, 0
	s_subb_u32 s17, s3, 0
	s_delay_alu instid0(VALU_DEP_1) | instskip(SKIP_4) | instid1(SALU_CYCLE_1)
	s_cmp_ge_u32 s2, s9
	s_cselect_b32 s2, -1, 0
	s_cmp_eq_u32 s17, 0
	v_readfirstlane_b32 s17, v1
	s_cselect_b32 s2, s2, -1
	s_cmp_lg_u32 s2, 0
	s_cselect_b32 s2, s21, s16
	s_cselect_b32 s16, s22, s18
	s_cmp_ge_u32 s17, s9
	s_cselect_b32 s17, -1, 0
	s_cmp_eq_u32 s3, 0
	s_cselect_b32 s3, s17, -1
	s_delay_alu instid0(SALU_CYCLE_1) | instskip(SKIP_2) | instid1(SALU_CYCLE_1)
	s_cmp_lg_u32 s3, 0
	s_cselect_b32 s3, s16, s14
	s_cselect_b32 s2, s2, s7
	s_xor_b64 s[2:3], s[2:3], s[12:13]
	s_delay_alu instid0(SALU_CYCLE_1)
	s_sub_u32 s2, s2, s12
	s_subb_u32 s3, s3, s12
	s_cbranch_execnz .LBB62_5
.LBB62_4:
	v_cvt_f32_u32_e32 v1, s9
	s_sub_i32 s3, 0, s9
	s_delay_alu instid0(VALU_DEP_1) | instskip(SKIP_2) | instid1(VALU_DEP_1)
	v_rcp_iflag_f32_e32 v1, v1
	s_waitcnt_depctr 0xfff
	v_mul_f32_e32 v1, 0x4f7ffffe, v1
	v_cvt_u32_f32_e32 v1, v1
	s_delay_alu instid0(VALU_DEP_1) | instskip(NEXT) | instid1(VALU_DEP_1)
	v_readfirstlane_b32 s2, v1
	s_mul_i32 s3, s3, s2
	s_delay_alu instid0(SALU_CYCLE_1) | instskip(NEXT) | instid1(SALU_CYCLE_1)
	s_mul_hi_u32 s3, s2, s3
	s_add_i32 s2, s2, s3
	s_delay_alu instid0(SALU_CYCLE_1) | instskip(NEXT) | instid1(SALU_CYCLE_1)
	s_mul_hi_u32 s2, s6, s2
	s_mul_i32 s3, s2, s9
	s_delay_alu instid0(SALU_CYCLE_1)
	s_sub_i32 s3, s6, s3
	s_add_i32 s6, s2, 1
	s_sub_i32 s7, s3, s9
	s_cmp_ge_u32 s3, s9
	s_cselect_b32 s2, s6, s2
	s_cselect_b32 s3, s7, s3
	s_add_i32 s6, s2, 1
	s_cmp_ge_u32 s3, s9
	s_mov_b32 s3, 0
	s_cselect_b32 s2, s6, s2
.LBB62_5:
	v_mov_b32_e32 v1, 0
	s_add_u32 s2, s2, 1
	s_addc_u32 s3, s3, 0
	s_mul_hi_u32 s6, s8, s2
	s_mul_i32 s3, s8, s3
	v_mad_u64_u32 v[13:14], null, s10, s15, v[0:1]
	s_mul_hi_u32 s7, s11, s10
	s_add_i32 s3, s6, s3
	s_mul_i32 s7, s7, s2
	s_mul_i32 s2, s8, s2
	s_add_i32 s3, s3, s7
	s_mov_b32 s6, exec_lo
	s_lshl_b64 s[2:3], s[2:3], 1
	s_delay_alu instid0(SALU_CYCLE_1)
	v_cmpx_gt_i64_e64 s[2:3], v[13:14]
	s_cbranch_execz .LBB62_22
; %bb.6:
	v_alignbit_b32 v17, v3, v2, 2
	v_mad_u64_u32 v[6:7], null, 0xcd9e8d57, v13, 0
	v_lshrrev_b32_e32 v18, 2, v3
	s_waitcnt vmcnt(0)
	v_dual_mov_b32 v15, v12 :: v_dual_add_nc_u32 v34, 0x8ff34781, v11
	v_mad_u64_u32 v[4:5], null, 0xd2511f53, v17, 0
	v_add_co_u32 v20, null, 0x9e3779b9, v11
	v_xor3_b32 v3, v11, v7, v18
	s_delay_alu instid0(VALU_DEP_4) | instskip(SKIP_2) | instid1(VALU_DEP_4)
	v_add_co_u32 v19, null, 0xbb67ae85, v15
	v_add_co_u32 v21, null, 0x3c6ef372, v11
	v_xor_b32_e32 v1, v5, v12
	v_mad_u64_u32 v[7:8], null, 0xd2511f53, v3, 0
	v_add_co_u32 v22, null, 0x76cf5d0a, v15
	s_delay_alu instid0(VALU_DEP_3) | instskip(SKIP_2) | instid1(VALU_DEP_3)
	v_xor_b32_e32 v1, v1, v14
	v_add_co_u32 v23, null, 0x32370b8f, v15
	v_add_co_u32 v24, null, 0xdaa66d2b, v11
	v_mad_u64_u32 v[9:10], null, 0xcd9e8d57, v1, 0
	v_xor3_b32 v1, v19, v8, v4
	v_add_co_u32 v25, null, 0x78dde6e4, v11
	v_add_co_u32 v26, null, 0xed9eba14, v15
	s_delay_alu instid0(VALU_DEP_3) | instskip(SKIP_3) | instid1(VALU_DEP_3)
	v_mad_u64_u32 v[3:4], null, 0xcd9e8d57, v1, 0
	v_xor3_b32 v8, v20, v10, v6
	v_add_co_u32 v27, null, 0xa9066899, v15
	v_add_co_u32 v28, null, 0x1715609d, v11
	v_mad_u64_u32 v[5:6], null, 0xd2511f53, v8, 0
	v_xor3_b32 v1, v21, v4, v9
	v_add_co_u32 v29, null, 0xb54cda56, v11
	v_add_co_u32 v30, null, 0x646e171e, v15
	v_add_co_u32 v31, null, 0x1fd5c5a3, v15
	v_xor3_b32 v4, v22, v6, v7
	v_mad_u64_u32 v[6:7], null, 0xd2511f53, v1, 0
	v_add_co_u32 v32, null, 0x5384540f, v11
	s_delay_alu instid0(VALU_DEP_3) | instskip(SKIP_1) | instid1(VALU_DEP_4)
	v_mad_u64_u32 v[8:9], null, 0xcd9e8d57, v4, 0
	v_dual_mov_b32 v38, v13 :: v_dual_and_b32 v33, 3, v2
	v_xor3_b32 v1, v23, v7, v5
	s_clause 0x1
	s_load_b64 s[6:7], s[0:1], 0x30
	s_load_b32 s0, s[0:1], 0x38
	v_add_co_u32 v35, null, 0xf1bbcdc8, v11
	s_delay_alu instid0(VALU_DEP_4) | instskip(SKIP_2) | instid1(VALU_DEP_3)
	v_xor3_b32 v5, v24, v9, v3
	v_mad_u64_u32 v[3:4], null, 0xcd9e8d57, v1, 0
	v_add_co_u32 v36, null, 0xdb3d7428, v15
	v_mad_u64_u32 v[9:10], null, 0xd2511f53, v5, 0
	v_add_nc_u32_e32 v37, 0x96a522ad, v12
	v_mov_b32_e32 v41, v14
	v_xor3_b32 v1, v25, v4, v8
	s_delay_alu instid0(VALU_DEP_4) | instskip(NEXT) | instid1(VALU_DEP_2)
	v_xor3_b32 v8, v26, v10, v6
	v_mad_u64_u32 v[4:5], null, 0xd2511f53, v1, 0
	s_waitcnt lgkmcnt(0)
	s_mul_i32 s1, s11, s0
	s_delay_alu instid0(VALU_DEP_2) | instskip(SKIP_1) | instid1(VALU_DEP_2)
	v_mad_u64_u32 v[6:7], null, 0xcd9e8d57, v8, 0
	s_mul_i32 s1, s1, s10
	v_xor3_b32 v1, v27, v5, v9
	s_lshl_b32 s1, s1, 1
	s_delay_alu instid0(VALU_DEP_2) | instskip(NEXT) | instid1(VALU_DEP_2)
	v_xor3_b32 v3, v28, v7, v3
	v_mad_u64_u32 v[7:8], null, 0xcd9e8d57, v1, 0
	s_delay_alu instid0(VALU_DEP_2) | instskip(NEXT) | instid1(VALU_DEP_2)
	v_mad_u64_u32 v[9:10], null, 0xd2511f53, v3, 0
	v_xor3_b32 v1, v29, v8, v6
	s_delay_alu instid0(VALU_DEP_2) | instskip(NEXT) | instid1(VALU_DEP_2)
	v_xor3_b32 v8, v30, v10, v4
	v_mad_u64_u32 v[3:4], null, 0xd2511f53, v1, 0
	s_delay_alu instid0(VALU_DEP_2) | instskip(NEXT) | instid1(VALU_DEP_2)
	v_mad_u64_u32 v[5:6], null, 0xcd9e8d57, v8, 0
	v_xor3_b32 v1, v31, v4, v9
	s_delay_alu instid0(VALU_DEP_2) | instskip(NEXT) | instid1(VALU_DEP_2)
	v_xor3_b32 v2, v32, v6, v7
	v_mad_u64_u32 v[6:7], null, 0xcd9e8d57, v1, 0
	v_mad_u64_u32 v[15:16], null, s15, s10, v[0:1]
	s_delay_alu instid0(VALU_DEP_3) | instskip(SKIP_1) | instid1(VALU_DEP_3)
	v_mad_u64_u32 v[8:9], null, 0xd2511f53, v2, 0
	s_add_i32 s15, s15, s11
	v_xor3_b32 v1, v35, v7, v5
	s_delay_alu instid0(VALU_DEP_3) | instskip(NEXT) | instid1(VALU_DEP_3)
	v_mul_lo_u32 v39, s0, v15
	v_xor3_b32 v7, v36, v9, v3
	s_delay_alu instid0(VALU_DEP_3) | instskip(SKIP_1) | instid1(VALU_DEP_3)
	v_mad_u64_u32 v[3:4], null, s15, s10, v[0:1]
	v_mad_u64_u32 v[4:5], null, 0xd2511f53, v1, 0
	;; [unrolled: 1-line block ×3, first 2 shown]
	s_mov_b32 s10, 0
	s_delay_alu instid0(VALU_DEP_3) | instskip(SKIP_1) | instid1(VALU_DEP_3)
	v_mul_lo_u32 v40, s0, v3
	s_mov_b32 s0, 0
	v_mov_b32_e32 v3, v4
	s_delay_alu instid0(VALU_DEP_3)
	v_xor3_b32 v0, v2, v6, v34
	v_xor3_b32 v2, v5, v8, v37
	s_branch .LBB62_8
.LBB62_7:                               ;   in Loop: Header=BB62_8 Depth=1
	s_or_b32 exec_lo, exec_lo, s11
	v_add_co_u32 v13, vcc_lo, v13, s9
	v_add_co_ci_u32_e32 v14, vcc_lo, 0, v14, vcc_lo
	v_mov_b32_e32 v7, v15
	v_dual_mov_b32 v0, v4 :: v_dual_mov_b32 v1, v5
	s_delay_alu instid0(VALU_DEP_3) | instskip(NEXT) | instid1(VALU_DEP_3)
	v_cmp_le_i64_e32 vcc_lo, s[2:3], v[13:14]
	v_dual_mov_b32 v2, v6 :: v_dual_mov_b32 v3, v7
	s_add_i32 s10, s10, s1
	s_waitcnt_vscnt null, 0x0
	s_barrier
	s_or_b32 s0, vcc_lo, s0
	buffer_gl0_inv
	s_and_not1_b32 exec_lo, exec_lo, s0
	s_cbranch_execz .LBB62_22
.LBB62_8:                               ; =>This Inner Loop Header: Depth=1
	v_add_co_u32 v17, vcc_lo, v17, 1
	s_delay_alu instid0(VALU_DEP_1) | instskip(SKIP_2) | instid1(VALU_DEP_1)
	v_cndmask_b32_e64 v4, 0, 1, vcc_lo
	v_add_co_ci_u32_e32 v18, vcc_lo, 0, v18, vcc_lo
	s_mov_b32 s11, exec_lo
	v_cmp_eq_u32_e32 vcc_lo, 0, v18
	s_delay_alu instid0(VALU_DEP_3) | instskip(NEXT) | instid1(VALU_DEP_1)
	v_cndmask_b32_e32 v4, 0, v4, vcc_lo
	v_add_nc_u32_e32 v38, v4, v38
	s_delay_alu instid0(VALU_DEP_1) | instskip(SKIP_2) | instid1(VALU_DEP_2)
	v_cmp_eq_u32_e32 vcc_lo, 0, v38
	v_mad_u64_u32 v[6:7], null, 0xcd9e8d57, v38, 0
	v_cndmask_b32_e32 v4, 0, v4, vcc_lo
	v_xor3_b32 v9, v7, v11, v18
	s_delay_alu instid0(VALU_DEP_2) | instskip(SKIP_1) | instid1(VALU_DEP_3)
	v_add_nc_u32_e32 v41, v4, v41
	v_mad_u64_u32 v[4:5], null, 0xd2511f53, v17, 0
	v_mad_u64_u32 v[7:8], null, 0xd2511f53, v9, 0
	s_delay_alu instid0(VALU_DEP_2) | instskip(NEXT) | instid1(VALU_DEP_2)
	v_xor_b32_e32 v5, v5, v12
	v_xor3_b32 v8, v19, v8, v4
	s_delay_alu instid0(VALU_DEP_2) | instskip(NEXT) | instid1(VALU_DEP_1)
	v_xor_b32_e32 v5, v41, v5
	v_mad_u64_u32 v[9:10], null, 0xcd9e8d57, v5, 0
	s_delay_alu instid0(VALU_DEP_3) | instskip(NEXT) | instid1(VALU_DEP_2)
	v_mad_u64_u32 v[4:5], null, 0xcd9e8d57, v8, 0
	v_xor3_b32 v6, v20, v10, v6
	s_delay_alu instid0(VALU_DEP_2) | instskip(NEXT) | instid1(VALU_DEP_2)
	v_xor3_b32 v8, v21, v5, v9
	v_mad_u64_u32 v[15:16], null, 0xd2511f53, v6, 0
	s_delay_alu instid0(VALU_DEP_2) | instskip(NEXT) | instid1(VALU_DEP_2)
	v_mad_u64_u32 v[5:6], null, 0xd2511f53, v8, 0
	v_xor3_b32 v9, v22, v16, v7
	s_delay_alu instid0(VALU_DEP_2) | instskip(NEXT) | instid1(VALU_DEP_2)
	v_xor3_b32 v6, v23, v6, v15
	v_mad_u64_u32 v[7:8], null, 0xcd9e8d57, v9, 0
	s_delay_alu instid0(VALU_DEP_1) | instskip(NEXT) | instid1(VALU_DEP_3)
	v_xor3_b32 v4, v24, v8, v4
	v_mad_u64_u32 v[8:9], null, 0xcd9e8d57, v6, 0
	s_delay_alu instid0(VALU_DEP_2) | instskip(NEXT) | instid1(VALU_DEP_2)
	v_mad_u64_u32 v[15:16], null, 0xd2511f53, v4, 0
	v_xor3_b32 v6, v25, v9, v7
	s_delay_alu instid0(VALU_DEP_2) | instskip(NEXT) | instid1(VALU_DEP_2)
	v_xor3_b32 v9, v26, v16, v5
	v_mad_u64_u32 v[4:5], null, 0xd2511f53, v6, 0
	s_delay_alu instid0(VALU_DEP_2) | instskip(NEXT) | instid1(VALU_DEP_2)
	v_mad_u64_u32 v[6:7], null, 0xcd9e8d57, v9, 0
	v_xor3_b32 v5, v27, v5, v15
	s_delay_alu instid0(VALU_DEP_2) | instskip(NEXT) | instid1(VALU_DEP_2)
	;; [unrolled: 6-line block ×6, first 2 shown]
	v_xor3_b32 v4, v6, v7, v34
	v_mov_b32_e32 v6, v10
	v_cmpx_lt_i32_e32 1, v33
	s_xor_b32 s11, exec_lo, s11
	s_cbranch_execnz .LBB62_14
; %bb.9:                                ;   in Loop: Header=BB62_8 Depth=1
	s_and_not1_saveexec_b32 s11, s11
	s_cbranch_execnz .LBB62_19
.LBB62_10:                              ;   in Loop: Header=BB62_8 Depth=1
	s_or_b32 exec_lo, exec_lo, s11
	s_delay_alu instid0(SALU_CYCLE_1)
	s_mov_b32 s11, exec_lo
	v_cmpx_gt_i64_e64 s[4:5], v[13:14]
	s_cbranch_execz .LBB62_12
.LBB62_11:                              ;   in Loop: Header=BB62_8 Depth=1
	v_cvt_f64_i32_e32 v[7:8], v0
	v_cvt_f64_u32_e32 v[0:1], v1
	s_delay_alu instid0(VALU_DEP_2) | instskip(NEXT) | instid1(VALU_DEP_1)
	v_ldexp_f64 v[7:8], v[7:8], 32
	v_add_f64 v[0:1], v[7:8], v[0:1]
	v_add_nc_u32_e32 v7, s10, v39
	s_delay_alu instid0(VALU_DEP_1) | instskip(SKIP_1) | instid1(VALU_DEP_2)
	v_ashrrev_i32_e32 v8, 31, v7
	v_add_co_u32 v7, vcc_lo, s6, v7
	v_add_co_ci_u32_e32 v8, vcc_lo, s7, v8, vcc_lo
	global_store_b64 v[7:8], v[0:1], off
.LBB62_12:                              ;   in Loop: Header=BB62_8 Depth=1
	s_or_b32 exec_lo, exec_lo, s11
	v_add_co_u32 v0, vcc_lo, s8, v13
	v_add_co_ci_u32_e32 v1, vcc_lo, 0, v14, vcc_lo
	s_mov_b32 s11, exec_lo
	s_delay_alu instid0(VALU_DEP_1)
	v_cmpx_gt_i64_e64 s[4:5], v[0:1]
	s_cbranch_execz .LBB62_7
; %bb.13:                               ;   in Loop: Header=BB62_8 Depth=1
	v_cvt_f64_i32_e32 v[0:1], v2
	v_cvt_f64_u32_e32 v[2:3], v3
	s_delay_alu instid0(VALU_DEP_2) | instskip(NEXT) | instid1(VALU_DEP_1)
	v_ldexp_f64 v[0:1], v[0:1], 32
	v_add_f64 v[0:1], v[0:1], v[2:3]
	v_add_nc_u32_e32 v2, s10, v40
	s_delay_alu instid0(VALU_DEP_1) | instskip(SKIP_1) | instid1(VALU_DEP_2)
	v_ashrrev_i32_e32 v3, 31, v2
	v_add_co_u32 v2, vcc_lo, s6, v2
	v_add_co_ci_u32_e32 v3, vcc_lo, s7, v3, vcc_lo
	global_store_b64 v[2:3], v[0:1], off
	s_branch .LBB62_7
.LBB62_14:                              ;   in Loop: Header=BB62_8 Depth=1
	s_mov_b32 s12, exec_lo
	v_cmpx_lt_i32_e32 2, v33
	s_xor_b32 s12, exec_lo, s12
; %bb.15:                               ;   in Loop: Header=BB62_8 Depth=1
	v_dual_mov_b32 v7, v3 :: v_dual_mov_b32 v8, v4
	v_mov_b32_e32 v9, v5
	s_delay_alu instid0(VALU_DEP_2) | instskip(NEXT) | instid1(VALU_DEP_2)
	v_dual_mov_b32 v0, v7 :: v_dual_mov_b32 v1, v8
	v_dual_mov_b32 v2, v9 :: v_dual_mov_b32 v3, v10
; %bb.16:                               ;   in Loop: Header=BB62_8 Depth=1
	s_and_not1_saveexec_b32 s12, s12
; %bb.17:                               ;   in Loop: Header=BB62_8 Depth=1
	s_delay_alu instid0(VALU_DEP_1)
	v_dual_mov_b32 v0, v2 :: v_dual_mov_b32 v1, v3
	v_dual_mov_b32 v2, v4 :: v_dual_mov_b32 v3, v5
; %bb.18:                               ;   in Loop: Header=BB62_8 Depth=1
	s_or_b32 exec_lo, exec_lo, s12
	s_and_not1_saveexec_b32 s11, s11
	s_cbranch_execz .LBB62_10
.LBB62_19:                              ;   in Loop: Header=BB62_8 Depth=1
	s_mov_b32 s12, exec_lo
	v_cmpx_eq_u32_e32 1, v33
; %bb.20:                               ;   in Loop: Header=BB62_8 Depth=1
	v_dual_mov_b32 v0, v1 :: v_dual_mov_b32 v1, v2
	v_dual_mov_b32 v2, v3 :: v_dual_mov_b32 v3, v4
; %bb.21:                               ;   in Loop: Header=BB62_8 Depth=1
	s_or_b32 exec_lo, exec_lo, s12
	s_delay_alu instid0(SALU_CYCLE_1) | instskip(NEXT) | instid1(SALU_CYCLE_1)
	s_or_b32 exec_lo, exec_lo, s11
	s_mov_b32 s11, exec_lo
	v_cmpx_gt_i64_e64 s[4:5], v[13:14]
	s_cbranch_execnz .LBB62_11
	s_branch .LBB62_12
.LBB62_22:
	s_endpgm
.LBB62_23:
                                        ; implicit-def: $sgpr2_sgpr3
	s_branch .LBB62_4
	.section	.rodata,"a",@progbits
	.p2align	6, 0x0
	.amdhsa_kernel _ZN2at6native12_GLOBAL__N_143distribution_elementwise_grid_stride_kernelImLi2EZZZNS0_9templates4cuda32random_full_64_bits_range_kernelIPNS_17CUDAGeneratorImplEEEvRNS_18TensorIteratorBaseET_ENKUlvE_clEvENKUlvE4_clEvEUlP25hiprandStatePhilox4_32_10E_ZNS1_27distribution_nullary_kernelIdm15HIP_vector_typeIyLj2EES7_SF_ZZZNS5_IS7_EEvS9_SA_ENKSB_clEvENKSC_clEvEUlmE_EEvS9_T2_RKT3_T4_EUlimE_EEvlNS_15PhiloxCudaStateET1_SK_
		.amdhsa_group_segment_fixed_size 0
		.amdhsa_private_segment_fixed_size 0
		.amdhsa_kernarg_size 320
		.amdhsa_user_sgpr_count 15
		.amdhsa_user_sgpr_dispatch_ptr 0
		.amdhsa_user_sgpr_queue_ptr 0
		.amdhsa_user_sgpr_kernarg_segment_ptr 1
		.amdhsa_user_sgpr_dispatch_id 0
		.amdhsa_user_sgpr_private_segment_size 0
		.amdhsa_wavefront_size32 1
		.amdhsa_uses_dynamic_stack 0
		.amdhsa_enable_private_segment 0
		.amdhsa_system_sgpr_workgroup_id_x 1
		.amdhsa_system_sgpr_workgroup_id_y 0
		.amdhsa_system_sgpr_workgroup_id_z 0
		.amdhsa_system_sgpr_workgroup_info 0
		.amdhsa_system_vgpr_workitem_id 0
		.amdhsa_next_free_vgpr 42
		.amdhsa_next_free_sgpr 23
		.amdhsa_reserve_vcc 1
		.amdhsa_float_round_mode_32 0
		.amdhsa_float_round_mode_16_64 0
		.amdhsa_float_denorm_mode_32 3
		.amdhsa_float_denorm_mode_16_64 3
		.amdhsa_dx10_clamp 1
		.amdhsa_ieee_mode 1
		.amdhsa_fp16_overflow 0
		.amdhsa_workgroup_processor_mode 1
		.amdhsa_memory_ordered 1
		.amdhsa_forward_progress 0
		.amdhsa_shared_vgpr_count 0
		.amdhsa_exception_fp_ieee_invalid_op 0
		.amdhsa_exception_fp_denorm_src 0
		.amdhsa_exception_fp_ieee_div_zero 0
		.amdhsa_exception_fp_ieee_overflow 0
		.amdhsa_exception_fp_ieee_underflow 0
		.amdhsa_exception_fp_ieee_inexact 0
		.amdhsa_exception_int_div_zero 0
	.end_amdhsa_kernel
	.section	.text._ZN2at6native12_GLOBAL__N_143distribution_elementwise_grid_stride_kernelImLi2EZZZNS0_9templates4cuda32random_full_64_bits_range_kernelIPNS_17CUDAGeneratorImplEEEvRNS_18TensorIteratorBaseET_ENKUlvE_clEvENKUlvE4_clEvEUlP25hiprandStatePhilox4_32_10E_ZNS1_27distribution_nullary_kernelIdm15HIP_vector_typeIyLj2EES7_SF_ZZZNS5_IS7_EEvS9_SA_ENKSB_clEvENKSC_clEvEUlmE_EEvS9_T2_RKT3_T4_EUlimE_EEvlNS_15PhiloxCudaStateET1_SK_,"axG",@progbits,_ZN2at6native12_GLOBAL__N_143distribution_elementwise_grid_stride_kernelImLi2EZZZNS0_9templates4cuda32random_full_64_bits_range_kernelIPNS_17CUDAGeneratorImplEEEvRNS_18TensorIteratorBaseET_ENKUlvE_clEvENKUlvE4_clEvEUlP25hiprandStatePhilox4_32_10E_ZNS1_27distribution_nullary_kernelIdm15HIP_vector_typeIyLj2EES7_SF_ZZZNS5_IS7_EEvS9_SA_ENKSB_clEvENKSC_clEvEUlmE_EEvS9_T2_RKT3_T4_EUlimE_EEvlNS_15PhiloxCudaStateET1_SK_,comdat
.Lfunc_end62:
	.size	_ZN2at6native12_GLOBAL__N_143distribution_elementwise_grid_stride_kernelImLi2EZZZNS0_9templates4cuda32random_full_64_bits_range_kernelIPNS_17CUDAGeneratorImplEEEvRNS_18TensorIteratorBaseET_ENKUlvE_clEvENKUlvE4_clEvEUlP25hiprandStatePhilox4_32_10E_ZNS1_27distribution_nullary_kernelIdm15HIP_vector_typeIyLj2EES7_SF_ZZZNS5_IS7_EEvS9_SA_ENKSB_clEvENKSC_clEvEUlmE_EEvS9_T2_RKT3_T4_EUlimE_EEvlNS_15PhiloxCudaStateET1_SK_, .Lfunc_end62-_ZN2at6native12_GLOBAL__N_143distribution_elementwise_grid_stride_kernelImLi2EZZZNS0_9templates4cuda32random_full_64_bits_range_kernelIPNS_17CUDAGeneratorImplEEEvRNS_18TensorIteratorBaseET_ENKUlvE_clEvENKUlvE4_clEvEUlP25hiprandStatePhilox4_32_10E_ZNS1_27distribution_nullary_kernelIdm15HIP_vector_typeIyLj2EES7_SF_ZZZNS5_IS7_EEvS9_SA_ENKSB_clEvENKSC_clEvEUlmE_EEvS9_T2_RKT3_T4_EUlimE_EEvlNS_15PhiloxCudaStateET1_SK_
                                        ; -- End function
	.section	.AMDGPU.csdata,"",@progbits
; Kernel info:
; codeLenInByte = 2668
; NumSgprs: 25
; NumVgprs: 42
; ScratchSize: 0
; MemoryBound: 0
; FloatMode: 240
; IeeeMode: 1
; LDSByteSize: 0 bytes/workgroup (compile time only)
; SGPRBlocks: 3
; VGPRBlocks: 5
; NumSGPRsForWavesPerEU: 25
; NumVGPRsForWavesPerEU: 42
; Occupancy: 16
; WaveLimiterHint : 0
; COMPUTE_PGM_RSRC2:SCRATCH_EN: 0
; COMPUTE_PGM_RSRC2:USER_SGPR: 15
; COMPUTE_PGM_RSRC2:TRAP_HANDLER: 0
; COMPUTE_PGM_RSRC2:TGID_X_EN: 1
; COMPUTE_PGM_RSRC2:TGID_Y_EN: 0
; COMPUTE_PGM_RSRC2:TGID_Z_EN: 0
; COMPUTE_PGM_RSRC2:TIDIG_COMP_CNT: 0
	.section	.text._ZN2at6native12_GLOBAL__N_143distribution_elementwise_grid_stride_kernelImLi2EZZZNS0_9templates4cuda32random_full_64_bits_range_kernelIPNS_17CUDAGeneratorImplEEEvRNS_18TensorIteratorBaseET_ENKUlvE_clEvENKUlvE4_clEvEUlP25hiprandStatePhilox4_32_10E_ZNS1_27distribution_nullary_kernelIdm15HIP_vector_typeIyLj2EES7_SF_ZZZNS5_IS7_EEvS9_SA_ENKSB_clEvENKSC_clEvEUlmE_EEvS9_T2_RKT3_T4_EUlimE0_EEvlNS_15PhiloxCudaStateET1_SK_,"axG",@progbits,_ZN2at6native12_GLOBAL__N_143distribution_elementwise_grid_stride_kernelImLi2EZZZNS0_9templates4cuda32random_full_64_bits_range_kernelIPNS_17CUDAGeneratorImplEEEvRNS_18TensorIteratorBaseET_ENKUlvE_clEvENKUlvE4_clEvEUlP25hiprandStatePhilox4_32_10E_ZNS1_27distribution_nullary_kernelIdm15HIP_vector_typeIyLj2EES7_SF_ZZZNS5_IS7_EEvS9_SA_ENKSB_clEvENKSC_clEvEUlmE_EEvS9_T2_RKT3_T4_EUlimE0_EEvlNS_15PhiloxCudaStateET1_SK_,comdat
	.globl	_ZN2at6native12_GLOBAL__N_143distribution_elementwise_grid_stride_kernelImLi2EZZZNS0_9templates4cuda32random_full_64_bits_range_kernelIPNS_17CUDAGeneratorImplEEEvRNS_18TensorIteratorBaseET_ENKUlvE_clEvENKUlvE4_clEvEUlP25hiprandStatePhilox4_32_10E_ZNS1_27distribution_nullary_kernelIdm15HIP_vector_typeIyLj2EES7_SF_ZZZNS5_IS7_EEvS9_SA_ENKSB_clEvENKSC_clEvEUlmE_EEvS9_T2_RKT3_T4_EUlimE0_EEvlNS_15PhiloxCudaStateET1_SK_ ; -- Begin function _ZN2at6native12_GLOBAL__N_143distribution_elementwise_grid_stride_kernelImLi2EZZZNS0_9templates4cuda32random_full_64_bits_range_kernelIPNS_17CUDAGeneratorImplEEEvRNS_18TensorIteratorBaseET_ENKUlvE_clEvENKUlvE4_clEvEUlP25hiprandStatePhilox4_32_10E_ZNS1_27distribution_nullary_kernelIdm15HIP_vector_typeIyLj2EES7_SF_ZZZNS5_IS7_EEvS9_SA_ENKSB_clEvENKSC_clEvEUlmE_EEvS9_T2_RKT3_T4_EUlimE0_EEvlNS_15PhiloxCudaStateET1_SK_
	.p2align	8
	.type	_ZN2at6native12_GLOBAL__N_143distribution_elementwise_grid_stride_kernelImLi2EZZZNS0_9templates4cuda32random_full_64_bits_range_kernelIPNS_17CUDAGeneratorImplEEEvRNS_18TensorIteratorBaseET_ENKUlvE_clEvENKUlvE4_clEvEUlP25hiprandStatePhilox4_32_10E_ZNS1_27distribution_nullary_kernelIdm15HIP_vector_typeIyLj2EES7_SF_ZZZNS5_IS7_EEvS9_SA_ENKSB_clEvENKSC_clEvEUlmE_EEvS9_T2_RKT3_T4_EUlimE0_EEvlNS_15PhiloxCudaStateET1_SK_,@function
_ZN2at6native12_GLOBAL__N_143distribution_elementwise_grid_stride_kernelImLi2EZZZNS0_9templates4cuda32random_full_64_bits_range_kernelIPNS_17CUDAGeneratorImplEEEvRNS_18TensorIteratorBaseET_ENKUlvE_clEvENKUlvE4_clEvEUlP25hiprandStatePhilox4_32_10E_ZNS1_27distribution_nullary_kernelIdm15HIP_vector_typeIyLj2EES7_SF_ZZZNS5_IS7_EEvS9_SA_ENKSB_clEvENKSC_clEvEUlmE_EEvS9_T2_RKT3_T4_EUlimE0_EEvlNS_15PhiloxCudaStateET1_SK_: ; @_ZN2at6native12_GLOBAL__N_143distribution_elementwise_grid_stride_kernelImLi2EZZZNS0_9templates4cuda32random_full_64_bits_range_kernelIPNS_17CUDAGeneratorImplEEEvRNS_18TensorIteratorBaseET_ENKUlvE_clEvENKUlvE4_clEvEUlP25hiprandStatePhilox4_32_10E_ZNS1_27distribution_nullary_kernelIdm15HIP_vector_typeIyLj2EES7_SF_ZZZNS5_IS7_EEvS9_SA_ENKSB_clEvENKSC_clEvEUlmE_EEvS9_T2_RKT3_T4_EUlimE0_EEvlNS_15PhiloxCudaStateET1_SK_
; %bb.0:
	s_clause 0x2
	s_load_b64 s[4:5], s[0:1], 0x10
	s_load_b128 s[16:19], s[0:1], 0x0
	s_load_b32 s2, s[0:1], 0x20
	s_waitcnt lgkmcnt(0)
	v_dual_mov_b32 v2, s4 :: v_dual_mov_b32 v3, s5
	v_dual_mov_b32 v11, s18 :: v_dual_mov_b32 v12, s19
	s_bitcmp0_b32 s2, 0
	s_mov_b32 s2, 0
	s_cbranch_scc1 .LBB63_2
; %bb.1:
	v_dual_mov_b32 v1, s4 :: v_dual_mov_b32 v2, s5
	v_dual_mov_b32 v4, s18 :: v_dual_mov_b32 v5, s19
	s_load_b64 s[4:5], s[0:1], 0x18
	flat_load_b64 v[2:3], v[1:2]
	flat_load_b64 v[11:12], v[4:5]
	s_waitcnt vmcnt(1) lgkmcnt(0)
	v_add_co_u32 v2, vcc_lo, v2, s4
	v_add_co_ci_u32_e32 v3, vcc_lo, s5, v3, vcc_lo
.LBB63_2:
	s_clause 0x1
	s_load_b32 s3, s[0:1], 0x154
	s_load_b32 s4, s[0:1], 0x148
	s_waitcnt lgkmcnt(0)
	s_and_b32 s5, s3, 0xffff
	s_add_u32 s6, s16, -1
	s_mul_i32 s24, s4, s5
	s_addc_u32 s3, s17, -1
	s_lshl_b32 s25, s24, 1
	s_cmp_lg_u64 s[2:3], 0
	s_cbranch_scc0 .LBB63_49
; %bb.3:
	v_cvt_f32_ubyte0_e32 v1, 0
	v_cvt_f32_u32_e32 v4, s25
	s_sub_u32 s8, 0, s25
	s_subb_u32 s9, 0, 0
	s_delay_alu instid0(VALU_DEP_1) | instskip(NEXT) | instid1(VALU_DEP_1)
	v_fmamk_f32 v1, v1, 0x4f800000, v4
	v_rcp_f32_e32 v1, v1
	s_waitcnt_depctr 0xfff
	v_mul_f32_e32 v1, 0x5f7ffffc, v1
	s_delay_alu instid0(VALU_DEP_1) | instskip(NEXT) | instid1(VALU_DEP_1)
	v_mul_f32_e32 v4, 0x2f800000, v1
	v_trunc_f32_e32 v4, v4
	s_delay_alu instid0(VALU_DEP_1) | instskip(SKIP_1) | instid1(VALU_DEP_2)
	v_fmamk_f32 v1, v4, 0xcf800000, v1
	v_cvt_u32_f32_e32 v4, v4
	v_cvt_u32_f32_e32 v1, v1
	s_delay_alu instid0(VALU_DEP_2) | instskip(NEXT) | instid1(VALU_DEP_2)
	v_readfirstlane_b32 s2, v4
	v_readfirstlane_b32 s7, v1
	s_delay_alu instid0(VALU_DEP_2) | instskip(NEXT) | instid1(VALU_DEP_1)
	s_mul_i32 s10, s8, s2
	s_mul_hi_u32 s12, s8, s7
	s_mul_i32 s11, s9, s7
	s_add_i32 s10, s12, s10
	s_mul_i32 s13, s8, s7
	s_add_i32 s10, s10, s11
	s_mul_hi_u32 s12, s7, s13
	s_mul_hi_u32 s14, s2, s13
	s_mul_i32 s11, s2, s13
	s_mul_hi_u32 s13, s7, s10
	s_mul_i32 s7, s7, s10
	s_mul_hi_u32 s18, s2, s10
	s_add_u32 s7, s12, s7
	s_addc_u32 s12, 0, s13
	s_add_u32 s7, s7, s11
	s_mul_i32 s10, s2, s10
	s_addc_u32 s7, s12, s14
	s_addc_u32 s11, s18, 0
	s_add_u32 s7, s7, s10
	s_addc_u32 s10, 0, s11
	v_add_co_u32 v1, s7, v1, s7
	s_delay_alu instid0(VALU_DEP_1) | instskip(SKIP_1) | instid1(VALU_DEP_1)
	s_cmp_lg_u32 s7, 0
	s_addc_u32 s2, s2, s10
	v_readfirstlane_b32 s7, v1
	s_mul_i32 s10, s8, s2
	s_delay_alu instid0(VALU_DEP_1)
	s_mul_hi_u32 s11, s8, s7
	s_mul_i32 s9, s9, s7
	s_add_i32 s10, s11, s10
	s_mul_i32 s8, s8, s7
	s_add_i32 s10, s10, s9
	s_mul_hi_u32 s11, s2, s8
	s_mul_i32 s12, s2, s8
	s_mul_hi_u32 s8, s7, s8
	s_mul_hi_u32 s13, s7, s10
	s_mul_i32 s7, s7, s10
	s_mul_hi_u32 s9, s2, s10
	s_add_u32 s7, s8, s7
	s_addc_u32 s8, 0, s13
	s_add_u32 s7, s7, s12
	s_mul_i32 s10, s2, s10
	s_addc_u32 s7, s8, s11
	s_addc_u32 s8, s9, 0
	s_add_u32 s7, s7, s10
	s_addc_u32 s8, 0, s8
	v_add_co_u32 v1, s7, v1, s7
	s_delay_alu instid0(VALU_DEP_1) | instskip(SKIP_2) | instid1(VALU_DEP_1)
	s_cmp_lg_u32 s7, 0
	s_addc_u32 s7, s2, s8
	s_ashr_i32 s8, s3, 31
	v_readfirstlane_b32 s10, v1
	s_add_u32 s2, s6, s8
	s_mov_b32 s9, s8
	s_addc_u32 s3, s3, s8
	s_delay_alu instid0(SALU_CYCLE_1) | instskip(NEXT) | instid1(SALU_CYCLE_1)
	s_xor_b64 s[2:3], s[2:3], s[8:9]
	s_mul_i32 s12, s2, s7
	s_mul_hi_u32 s13, s2, s10
	s_mul_hi_u32 s11, s2, s7
	s_mul_hi_u32 s18, s3, s10
	s_mul_i32 s10, s3, s10
	s_add_u32 s12, s13, s12
	s_addc_u32 s11, 0, s11
	s_mul_hi_u32 s14, s3, s7
	s_add_u32 s10, s12, s10
	s_mul_i32 s7, s3, s7
	s_addc_u32 s10, s11, s18
	s_addc_u32 s11, s14, 0
	s_add_u32 s7, s10, s7
	s_addc_u32 s10, 0, s11
	s_mul_i32 s12, s25, s7
	s_add_u32 s11, s7, 1
	v_sub_co_u32 v1, s2, s2, s12
	s_mul_hi_u32 s12, s25, s7
	s_addc_u32 s13, s10, 0
	s_mul_i32 s14, s25, s10
	s_delay_alu instid0(VALU_DEP_1)
	v_sub_co_u32 v4, s18, v1, s25
	s_add_u32 s19, s7, 2
	s_addc_u32 s20, s10, 0
	s_add_i32 s12, s12, s14
	s_cmp_lg_u32 s2, 0
	v_readfirstlane_b32 s2, v4
	s_subb_u32 s3, s3, s12
	s_cmp_lg_u32 s18, 0
	s_subb_u32 s12, s3, 0
	s_delay_alu instid0(VALU_DEP_1) | instskip(SKIP_4) | instid1(SALU_CYCLE_1)
	s_cmp_ge_u32 s2, s25
	s_cselect_b32 s2, -1, 0
	s_cmp_eq_u32 s12, 0
	v_readfirstlane_b32 s12, v1
	s_cselect_b32 s2, s2, -1
	s_cmp_lg_u32 s2, 0
	s_cselect_b32 s2, s19, s11
	s_cselect_b32 s11, s20, s13
	s_cmp_ge_u32 s12, s25
	s_cselect_b32 s12, -1, 0
	s_cmp_eq_u32 s3, 0
	s_cselect_b32 s3, s12, -1
	s_delay_alu instid0(SALU_CYCLE_1) | instskip(SKIP_2) | instid1(SALU_CYCLE_1)
	s_cmp_lg_u32 s3, 0
	s_cselect_b32 s3, s11, s10
	s_cselect_b32 s2, s2, s7
	s_xor_b64 s[2:3], s[2:3], s[8:9]
	s_delay_alu instid0(SALU_CYCLE_1)
	s_sub_u32 s2, s2, s8
	s_subb_u32 s3, s3, s8
	s_cbranch_execnz .LBB63_5
.LBB63_4:
	v_cvt_f32_u32_e32 v1, s25
	s_sub_i32 s3, 0, s25
	s_delay_alu instid0(VALU_DEP_1) | instskip(SKIP_2) | instid1(VALU_DEP_1)
	v_rcp_iflag_f32_e32 v1, v1
	s_waitcnt_depctr 0xfff
	v_mul_f32_e32 v1, 0x4f7ffffe, v1
	v_cvt_u32_f32_e32 v1, v1
	s_delay_alu instid0(VALU_DEP_1) | instskip(NEXT) | instid1(VALU_DEP_1)
	v_readfirstlane_b32 s2, v1
	s_mul_i32 s3, s3, s2
	s_delay_alu instid0(SALU_CYCLE_1) | instskip(NEXT) | instid1(SALU_CYCLE_1)
	s_mul_hi_u32 s3, s2, s3
	s_add_i32 s2, s2, s3
	s_delay_alu instid0(SALU_CYCLE_1) | instskip(NEXT) | instid1(SALU_CYCLE_1)
	s_mul_hi_u32 s2, s6, s2
	s_mul_i32 s3, s2, s25
	s_delay_alu instid0(SALU_CYCLE_1)
	s_sub_i32 s3, s6, s3
	s_add_i32 s6, s2, 1
	s_sub_i32 s7, s3, s25
	s_cmp_ge_u32 s3, s25
	s_cselect_b32 s2, s6, s2
	s_cselect_b32 s3, s7, s3
	s_add_i32 s6, s2, 1
	s_cmp_ge_u32 s3, s25
	s_mov_b32 s3, 0
	s_cselect_b32 s2, s6, s2
.LBB63_5:
	v_mov_b32_e32 v1, 0
	s_add_u32 s2, s2, 1
	s_addc_u32 s3, s3, 0
	s_mul_hi_u32 s6, s24, s2
	s_mul_i32 s3, s24, s3
	v_mad_u64_u32 v[13:14], null, s5, s15, v[0:1]
	s_mul_hi_u32 s4, s4, s5
	s_add_i32 s3, s6, s3
	s_mul_i32 s4, s4, s2
	s_mul_i32 s2, s24, s2
	s_add_i32 s3, s3, s4
	s_mov_b32 s4, exec_lo
	s_lshl_b64 s[2:3], s[2:3], 1
	s_delay_alu instid0(SALU_CYCLE_1)
	v_cmpx_gt_i64_e64 s[2:3], v[13:14]
	s_cbranch_execz .LBB63_48
; %bb.6:
	v_alignbit_b32 v17, v3, v2, 2
	v_mad_u64_u32 v[4:5], null, 0xcd9e8d57, v13, 0
	v_lshrrev_b32_e32 v18, 2, v3
	s_waitcnt vmcnt(0)
	v_dual_mov_b32 v9, v12 :: v_dual_add_nc_u32 v28, 0x8ff34781, v11
	v_mad_u64_u32 v[0:1], null, 0xd2511f53, v17, 0
	v_add_co_u32 v20, null, 0x9e3779b9, v11
	v_xor3_b32 v3, v11, v5, v18
	s_delay_alu instid0(VALU_DEP_4) | instskip(SKIP_2) | instid1(VALU_DEP_4)
	v_add_co_u32 v19, null, 0xbb67ae85, v9
	v_add_co_u32 v21, null, 0x3c6ef372, v11
	v_xor_b32_e32 v1, v1, v12
	v_mad_u64_u32 v[5:6], null, 0xd2511f53, v3, 0
	v_add_co_u32 v22, null, 0x76cf5d0a, v9
	s_delay_alu instid0(VALU_DEP_3) | instskip(SKIP_2) | instid1(VALU_DEP_3)
	v_xor_b32_e32 v1, v1, v14
	v_add_co_u32 v23, null, 0x32370b8f, v9
	v_add_co_u32 v24, null, 0xdaa66d2b, v11
	v_mad_u64_u32 v[7:8], null, 0xcd9e8d57, v1, 0
	v_xor3_b32 v3, v19, v6, v0
	v_add_co_u32 v25, null, 0x78dde6e4, v11
	v_add_co_u32 v26, null, 0xed9eba14, v9
	s_delay_alu instid0(VALU_DEP_3) | instskip(SKIP_3) | instid1(VALU_DEP_3)
	v_mad_u64_u32 v[0:1], null, 0xcd9e8d57, v3, 0
	v_xor3_b32 v6, v20, v8, v4
	v_dual_mov_b32 v38, v13 :: v_dual_and_b32 v27, 3, v2
	v_add_co_u32 v29, null, 0xa9066899, v9
	v_mad_u64_u32 v[3:4], null, 0xd2511f53, v6, 0
	v_xor3_b32 v1, v21, v1, v7
	v_add_co_u32 v30, null, 0x1715609d, v11
	v_add_co_u32 v32, null, 0xb54cda56, v11
	;; [unrolled: 1-line block ×3, first 2 shown]
	v_xor3_b32 v8, v22, v4, v5
	v_mad_u64_u32 v[4:5], null, 0xd2511f53, v1, 0
	s_load_b256 s[4:11], s[0:1], 0x30
	v_add_co_u32 v31, null, 0x5384540f, v11
	s_delay_alu instid0(VALU_DEP_3) | instskip(SKIP_1) | instid1(VALU_DEP_4)
	v_mad_u64_u32 v[6:7], null, 0xcd9e8d57, v8, 0
	v_add_co_u32 v35, null, 0x1fd5c5a3, v9
	v_xor3_b32 v3, v23, v5, v3
	v_add_co_u32 v34, null, 0xf1bbcdc8, v11
	v_add_co_u32 v36, null, 0xdb3d7428, v9
	v_xor3_b32 v5, v24, v7, v0
	s_delay_alu instid0(VALU_DEP_4)
	v_mad_u64_u32 v[0:1], null, 0xcd9e8d57, v3, 0
	s_add_u32 s12, s0, 48
	s_clause 0x1
	s_load_b64 s[14:15], s[0:1], 0xf4
	s_load_b64 s[18:19], s[0:1], 0x138
	v_mad_u64_u32 v[7:8], null, 0xd2511f53, v5, 0
	s_addc_u32 s13, s1, 0
	s_waitcnt lgkmcnt(0)
	s_add_i32 s20, s4, -1
	v_xor3_b32 v3, v25, v1, v6
	s_cmp_gt_u32 s20, 1
	v_add_nc_u32_e32 v37, 0x96a522ad, v12
	s_cselect_b32 s11, -1, 0
	v_xor3_b32 v5, v26, v8, v4
	v_mad_u64_u32 v[1:2], null, 0xd2511f53, v3, 0
	s_cmp_lg_u32 s4, 0
	v_mov_b32_e32 v39, v14
	s_delay_alu instid0(VALU_DEP_3) | instskip(SKIP_2) | instid1(VALU_DEP_3)
	v_mad_u64_u32 v[3:4], null, 0xcd9e8d57, v5, 0
	s_cselect_b32 s27, -1, 0
	s_add_u32 s0, s0, 0xf4
	v_xor3_b32 v2, v29, v2, v7
	s_addc_u32 s1, s1, 0
	s_min_u32 s21, s20, 15
	s_cmp_gt_u32 s4, 1
	s_delay_alu instid0(VALU_DEP_2) | instskip(SKIP_3) | instid1(VALU_DEP_2)
	v_xor3_b32 v0, v30, v4, v0
	v_mad_u64_u32 v[4:5], null, 0xcd9e8d57, v2, 0
	s_cselect_b32 s4, -1, 0
	s_add_i32 s21, s21, 1
	v_mad_u64_u32 v[6:7], null, 0xd2511f53, v0, 0
	s_and_b32 s28, s21, 3
	s_cmp_lg_u32 s20, 2
	s_delay_alu instid0(VALU_DEP_2) | instskip(SKIP_3) | instid1(VALU_DEP_2)
	v_xor3_b32 v2, v32, v5, v3
	s_cselect_b32 s29, -1, 0
	s_and_b32 s30, s21, 28
	s_cmp_lg_u32 s28, 0
	v_xor3_b32 v5, v33, v7, v1
	v_mad_u64_u32 v[0:1], null, 0xd2511f53, v2, 0
	s_mov_b32 s26, 0
	s_cselect_b32 s31, -1, 0
	s_delay_alu instid0(VALU_DEP_2) | instskip(NEXT) | instid1(VALU_DEP_2)
	v_mad_u64_u32 v[2:3], null, 0xcd9e8d57, v5, 0
	v_xor3_b32 v1, v35, v1, v6
	s_delay_alu instid0(VALU_DEP_2) | instskip(NEXT) | instid1(VALU_DEP_2)
	v_xor3_b32 v3, v31, v3, v4
	v_mad_u64_u32 v[4:5], null, 0xcd9e8d57, v1, 0
	s_delay_alu instid0(VALU_DEP_2) | instskip(NEXT) | instid1(VALU_DEP_2)
	v_mad_u64_u32 v[6:7], null, 0xd2511f53, v3, 0
	v_xor3_b32 v1, v34, v5, v2
	s_delay_alu instid0(VALU_DEP_2) | instskip(NEXT) | instid1(VALU_DEP_2)
	v_xor3_b32 v0, v36, v7, v0
	v_mad_u64_u32 v[7:8], null, 0xd2511f53, v1, 0
	s_delay_alu instid0(VALU_DEP_2) | instskip(NEXT) | instid1(VALU_DEP_2)
	v_mad_u64_u32 v[1:2], null, 0xcd9e8d57, v0, 0
	v_mov_b32_e32 v3, v7
	s_delay_alu instid0(VALU_DEP_2) | instskip(NEXT) | instid1(VALU_DEP_4)
	v_xor3_b32 v0, v2, v4, v28
	v_xor3_b32 v2, v8, v6, v37
	s_branch .LBB63_9
.LBB63_7:                               ;   in Loop: Header=BB63_9 Depth=1
	v_cvt_f64_i32_e32 v[7:8], v2
	v_cvt_f64_u32_e32 v[2:3], v3
	s_delay_alu instid0(VALU_DEP_2) | instskip(NEXT) | instid1(VALU_DEP_1)
	v_ldexp_f64 v[7:8], v[7:8], 32
	v_add_f64 v[2:3], v[7:8], v[2:3]
	global_store_b64 v1, v[2:3], s[18:19]
.LBB63_8:                               ;   in Loop: Header=BB63_9 Depth=1
	s_or_b32 exec_lo, exec_lo, s33
	v_add_co_u32 v13, vcc_lo, v13, s25
	v_add_co_ci_u32_e32 v14, vcc_lo, 0, v14, vcc_lo
	v_mov_b32_e32 v7, v15
	v_dual_mov_b32 v0, v4 :: v_dual_mov_b32 v1, v5
	s_delay_alu instid0(VALU_DEP_3) | instskip(NEXT) | instid1(VALU_DEP_3)
	v_cmp_le_i64_e32 vcc_lo, s[2:3], v[13:14]
	v_dual_mov_b32 v2, v6 :: v_dual_mov_b32 v3, v7
	s_waitcnt_vscnt null, 0x0
	s_barrier
	buffer_gl0_inv
	s_or_b32 s26, vcc_lo, s26
	s_delay_alu instid0(SALU_CYCLE_1)
	s_and_not1_b32 exec_lo, exec_lo, s26
	s_cbranch_execz .LBB63_48
.LBB63_9:                               ; =>This Loop Header: Depth=1
                                        ;     Child Loop BB63_24 Depth 2
                                        ;     Child Loop BB63_29 Depth 2
	;; [unrolled: 1-line block ×4, first 2 shown]
	v_add_co_u32 v17, vcc_lo, v17, 1
	s_delay_alu instid0(VALU_DEP_1) | instskip(SKIP_2) | instid1(VALU_DEP_1)
	v_cndmask_b32_e64 v4, 0, 1, vcc_lo
	v_add_co_ci_u32_e32 v18, vcc_lo, 0, v18, vcc_lo
	s_mov_b32 s20, exec_lo
	v_cmp_eq_u32_e32 vcc_lo, 0, v18
	s_delay_alu instid0(VALU_DEP_3) | instskip(NEXT) | instid1(VALU_DEP_1)
	v_cndmask_b32_e32 v4, 0, v4, vcc_lo
	v_add_nc_u32_e32 v38, v4, v38
	s_delay_alu instid0(VALU_DEP_1) | instskip(SKIP_2) | instid1(VALU_DEP_2)
	v_cmp_eq_u32_e32 vcc_lo, 0, v38
	v_mad_u64_u32 v[6:7], null, 0xcd9e8d57, v38, 0
	v_cndmask_b32_e32 v4, 0, v4, vcc_lo
	v_xor3_b32 v9, v7, v11, v18
	s_delay_alu instid0(VALU_DEP_2) | instskip(SKIP_1) | instid1(VALU_DEP_3)
	v_add_nc_u32_e32 v39, v4, v39
	v_mad_u64_u32 v[4:5], null, 0xd2511f53, v17, 0
	v_mad_u64_u32 v[7:8], null, 0xd2511f53, v9, 0
	s_delay_alu instid0(VALU_DEP_2) | instskip(NEXT) | instid1(VALU_DEP_2)
	v_xor_b32_e32 v5, v5, v12
	v_xor3_b32 v8, v19, v8, v4
	s_delay_alu instid0(VALU_DEP_2) | instskip(NEXT) | instid1(VALU_DEP_1)
	v_xor_b32_e32 v5, v39, v5
	v_mad_u64_u32 v[9:10], null, 0xcd9e8d57, v5, 0
	s_delay_alu instid0(VALU_DEP_3) | instskip(NEXT) | instid1(VALU_DEP_2)
	v_mad_u64_u32 v[4:5], null, 0xcd9e8d57, v8, 0
	v_xor3_b32 v6, v20, v10, v6
	s_delay_alu instid0(VALU_DEP_2) | instskip(NEXT) | instid1(VALU_DEP_2)
	v_xor3_b32 v8, v21, v5, v9
	v_mad_u64_u32 v[15:16], null, 0xd2511f53, v6, 0
	s_delay_alu instid0(VALU_DEP_2) | instskip(NEXT) | instid1(VALU_DEP_2)
	v_mad_u64_u32 v[5:6], null, 0xd2511f53, v8, 0
	v_xor3_b32 v9, v22, v16, v7
	s_delay_alu instid0(VALU_DEP_2) | instskip(NEXT) | instid1(VALU_DEP_2)
	v_xor3_b32 v6, v23, v6, v15
	v_mad_u64_u32 v[7:8], null, 0xcd9e8d57, v9, 0
	s_delay_alu instid0(VALU_DEP_1) | instskip(NEXT) | instid1(VALU_DEP_3)
	v_xor3_b32 v4, v24, v8, v4
	v_mad_u64_u32 v[8:9], null, 0xcd9e8d57, v6, 0
	s_delay_alu instid0(VALU_DEP_2) | instskip(NEXT) | instid1(VALU_DEP_2)
	v_mad_u64_u32 v[15:16], null, 0xd2511f53, v4, 0
	v_xor3_b32 v6, v25, v9, v7
	s_delay_alu instid0(VALU_DEP_2) | instskip(NEXT) | instid1(VALU_DEP_2)
	v_xor3_b32 v9, v26, v16, v5
	v_mad_u64_u32 v[4:5], null, 0xd2511f53, v6, 0
	s_delay_alu instid0(VALU_DEP_2) | instskip(NEXT) | instid1(VALU_DEP_2)
	v_mad_u64_u32 v[6:7], null, 0xcd9e8d57, v9, 0
	v_xor3_b32 v5, v29, v5, v15
	s_delay_alu instid0(VALU_DEP_2) | instskip(NEXT) | instid1(VALU_DEP_2)
	;; [unrolled: 6-line block ×6, first 2 shown]
	v_xor3_b32 v4, v6, v7, v28
	v_mov_b32_e32 v6, v10
	v_cmpx_lt_i32_e32 1, v27
	s_xor_b32 s20, exec_lo, s20
	s_cbranch_execnz .LBB63_12
; %bb.10:                               ;   in Loop: Header=BB63_9 Depth=1
	s_and_not1_saveexec_b32 s20, s20
	s_cbranch_execnz .LBB63_17
.LBB63_11:                              ;   in Loop: Header=BB63_9 Depth=1
	s_or_b32 exec_lo, exec_lo, s20
	s_delay_alu instid0(SALU_CYCLE_1)
	s_mov_b32 s33, exec_lo
	v_cmpx_gt_i64_e64 s[16:17], v[13:14]
	s_cbranch_execnz .LBB63_20
	s_branch .LBB63_34
.LBB63_12:                              ;   in Loop: Header=BB63_9 Depth=1
	s_mov_b32 s21, exec_lo
	v_cmpx_lt_i32_e32 2, v27
	s_xor_b32 s21, exec_lo, s21
; %bb.13:                               ;   in Loop: Header=BB63_9 Depth=1
	v_dual_mov_b32 v7, v3 :: v_dual_mov_b32 v8, v4
	v_mov_b32_e32 v9, v5
	s_delay_alu instid0(VALU_DEP_2) | instskip(NEXT) | instid1(VALU_DEP_2)
	v_dual_mov_b32 v0, v7 :: v_dual_mov_b32 v1, v8
	v_dual_mov_b32 v2, v9 :: v_dual_mov_b32 v3, v10
; %bb.14:                               ;   in Loop: Header=BB63_9 Depth=1
	s_and_not1_saveexec_b32 s21, s21
; %bb.15:                               ;   in Loop: Header=BB63_9 Depth=1
	s_delay_alu instid0(VALU_DEP_1)
	v_dual_mov_b32 v0, v2 :: v_dual_mov_b32 v1, v3
	v_dual_mov_b32 v2, v4 :: v_dual_mov_b32 v3, v5
; %bb.16:                               ;   in Loop: Header=BB63_9 Depth=1
	s_or_b32 exec_lo, exec_lo, s21
	s_and_not1_saveexec_b32 s20, s20
	s_cbranch_execz .LBB63_11
.LBB63_17:                              ;   in Loop: Header=BB63_9 Depth=1
	s_mov_b32 s21, exec_lo
	v_cmpx_eq_u32_e32 1, v27
; %bb.18:                               ;   in Loop: Header=BB63_9 Depth=1
	v_dual_mov_b32 v0, v1 :: v_dual_mov_b32 v1, v2
	v_dual_mov_b32 v2, v3 :: v_dual_mov_b32 v3, v4
; %bb.19:                               ;   in Loop: Header=BB63_9 Depth=1
	s_or_b32 exec_lo, exec_lo, s21
	s_delay_alu instid0(SALU_CYCLE_1) | instskip(NEXT) | instid1(SALU_CYCLE_1)
	s_or_b32 exec_lo, exec_lo, s20
	s_mov_b32 s33, exec_lo
	v_cmpx_gt_i64_e64 s[16:17], v[13:14]
	s_cbranch_execz .LBB63_34
.LBB63_20:                              ;   in Loop: Header=BB63_9 Depth=1
	s_and_not1_b32 vcc_lo, exec_lo, s11
	s_cbranch_vccnz .LBB63_26
; %bb.21:                               ;   in Loop: Header=BB63_9 Depth=1
	v_mov_b32_e32 v7, 0
	s_and_not1_b32 vcc_lo, exec_lo, s27
	s_cbranch_vccnz .LBB63_30
; %bb.22:                               ;   in Loop: Header=BB63_9 Depth=1
	s_and_not1_b32 vcc_lo, exec_lo, s29
	s_mov_b32 s20, 0
	s_cbranch_vccnz .LBB63_27
; %bb.23:                               ;   in Loop: Header=BB63_9 Depth=1
	v_dual_mov_b32 v7, 0 :: v_dual_mov_b32 v8, v13
	s_mov_b32 s34, 0
	s_mov_b64 s[20:21], s[12:13]
	s_mov_b64 s[22:23], s[0:1]
.LBB63_24:                              ;   Parent Loop BB63_9 Depth=1
                                        ; =>  This Inner Loop Header: Depth=2
	s_clause 0x1
	s_load_b256 s[36:43], s[20:21], 0x4
	s_load_b128 s[44:47], s[20:21], 0x24
	s_load_b128 s[48:51], s[22:23], 0x0
	s_add_u32 s20, s20, 48
	s_addc_u32 s21, s21, 0
	s_add_i32 s34, s34, 4
	s_add_u32 s22, s22, 16
	s_addc_u32 s23, s23, 0
	s_cmp_lg_u32 s30, s34
	s_waitcnt lgkmcnt(0)
	v_mul_hi_u32 v9, s37, v8
	s_delay_alu instid0(VALU_DEP_1) | instskip(NEXT) | instid1(VALU_DEP_1)
	v_add_nc_u32_e32 v9, v8, v9
	v_lshrrev_b32_e32 v9, s38, v9
	s_delay_alu instid0(VALU_DEP_1) | instskip(SKIP_1) | instid1(VALU_DEP_2)
	v_mul_hi_u32 v10, s40, v9
	v_mul_lo_u32 v41, v9, s36
	v_add_nc_u32_e32 v10, v9, v10
	s_delay_alu instid0(VALU_DEP_2) | instskip(NEXT) | instid1(VALU_DEP_2)
	v_sub_nc_u32_e32 v41, v8, v41
	v_lshrrev_b32_e32 v10, s41, v10
	s_delay_alu instid0(VALU_DEP_2) | instskip(NEXT) | instid1(VALU_DEP_2)
	v_mul_lo_u32 v41, v41, s48
	v_mul_hi_u32 v16, s43, v10
	v_mul_lo_u32 v42, v10, s39
	s_delay_alu instid0(VALU_DEP_2) | instskip(NEXT) | instid1(VALU_DEP_2)
	v_add_nc_u32_e32 v16, v10, v16
	v_sub_nc_u32_e32 v9, v9, v42
	s_delay_alu instid0(VALU_DEP_2) | instskip(NEXT) | instid1(VALU_DEP_2)
	v_lshrrev_b32_e32 v16, s44, v16
	v_mul_lo_u32 v9, v9, s49
	s_delay_alu instid0(VALU_DEP_2) | instskip(NEXT) | instid1(VALU_DEP_2)
	v_mul_hi_u32 v40, s46, v16
	v_add3_u32 v7, v41, v7, v9
	s_delay_alu instid0(VALU_DEP_2) | instskip(NEXT) | instid1(VALU_DEP_1)
	v_add_nc_u32_e32 v40, v16, v40
	v_lshrrev_b32_e32 v8, s47, v40
	v_mul_lo_u32 v40, v16, s42
	s_delay_alu instid0(VALU_DEP_2) | instskip(NEXT) | instid1(VALU_DEP_2)
	v_mul_lo_u32 v43, v8, s45
	v_sub_nc_u32_e32 v10, v10, v40
	s_delay_alu instid0(VALU_DEP_2) | instskip(NEXT) | instid1(VALU_DEP_2)
	v_sub_nc_u32_e32 v16, v16, v43
	v_mul_lo_u32 v10, v10, s50
	s_delay_alu instid0(VALU_DEP_2) | instskip(NEXT) | instid1(VALU_DEP_1)
	v_mul_lo_u32 v16, v16, s51
	v_add3_u32 v7, v10, v7, v16
	s_cbranch_scc1 .LBB63_24
; %bb.25:                               ;   in Loop: Header=BB63_9 Depth=1
	s_mov_b32 s20, s30
	s_and_not1_b32 vcc_lo, exec_lo, s31
	s_cbranch_vccz .LBB63_28
	s_branch .LBB63_30
.LBB63_26:                              ;   in Loop: Header=BB63_9 Depth=1
                                        ; implicit-def: $vgpr7
	s_branch .LBB63_31
.LBB63_27:                              ;   in Loop: Header=BB63_9 Depth=1
	v_mov_b32_e32 v8, v13
	s_and_not1_b32 vcc_lo, exec_lo, s31
	s_cbranch_vccnz .LBB63_30
.LBB63_28:                              ;   in Loop: Header=BB63_9 Depth=1
	s_lshl_b32 s21, s20, 2
	s_mul_i32 s22, s20, 12
	s_add_u32 s20, s0, s21
	s_addc_u32 s21, s1, 0
	s_add_u32 s22, s12, s22
	s_addc_u32 s23, s13, 0
	s_mov_b32 s34, s28
	.p2align	6
.LBB63_29:                              ;   Parent Loop BB63_9 Depth=1
                                        ; =>  This Inner Loop Header: Depth=2
	s_clause 0x1
	s_load_b64 s[36:37], s[22:23], 0x4
	s_load_b32 s35, s[22:23], 0xc
	s_add_u32 s22, s22, 12
	s_addc_u32 s23, s23, 0
	s_waitcnt lgkmcnt(0)
	v_mul_hi_u32 v9, s37, v8
	s_load_b32 s37, s[20:21], 0x0
	s_add_u32 s20, s20, 4
	s_addc_u32 s21, s21, 0
	s_add_i32 s34, s34, -1
	s_delay_alu instid0(SALU_CYCLE_1) | instskip(NEXT) | instid1(VALU_DEP_1)
	s_cmp_lg_u32 s34, 0
	v_add_nc_u32_e32 v9, v8, v9
	s_delay_alu instid0(VALU_DEP_1) | instskip(NEXT) | instid1(VALU_DEP_1)
	v_lshrrev_b32_e32 v16, s35, v9
	v_mul_lo_u32 v9, v16, s36
	s_delay_alu instid0(VALU_DEP_1) | instskip(SKIP_1) | instid1(VALU_DEP_1)
	v_sub_nc_u32_e32 v8, v8, v9
	s_waitcnt lgkmcnt(0)
	v_mad_u64_u32 v[9:10], null, v8, s37, v[7:8]
	s_delay_alu instid0(VALU_DEP_1)
	v_dual_mov_b32 v8, v16 :: v_dual_mov_b32 v7, v9
	s_cbranch_scc1 .LBB63_29
.LBB63_30:                              ;   in Loop: Header=BB63_9 Depth=1
	s_cbranch_execnz .LBB63_33
.LBB63_31:                              ;   in Loop: Header=BB63_9 Depth=1
	v_mul_hi_u32 v7, v13, s6
	s_and_not1_b32 vcc_lo, exec_lo, s4
	s_delay_alu instid0(VALU_DEP_1) | instskip(NEXT) | instid1(VALU_DEP_1)
	v_add_nc_u32_e32 v7, v7, v13
	v_lshrrev_b32_e32 v8, s7, v7
	s_delay_alu instid0(VALU_DEP_1) | instskip(NEXT) | instid1(VALU_DEP_1)
	v_mul_lo_u32 v7, v8, s5
	v_sub_nc_u32_e32 v7, v13, v7
	s_delay_alu instid0(VALU_DEP_1)
	v_mul_lo_u32 v7, v7, s14
	s_cbranch_vccnz .LBB63_33
; %bb.32:                               ;   in Loop: Header=BB63_9 Depth=1
	v_mul_hi_u32 v9, s9, v8
	s_delay_alu instid0(VALU_DEP_1) | instskip(NEXT) | instid1(VALU_DEP_1)
	v_add_nc_u32_e32 v9, v8, v9
	v_lshrrev_b32_e32 v9, s10, v9
	s_delay_alu instid0(VALU_DEP_1) | instskip(NEXT) | instid1(VALU_DEP_1)
	v_mul_lo_u32 v9, v9, s8
	v_sub_nc_u32_e32 v10, v8, v9
	s_delay_alu instid0(VALU_DEP_1) | instskip(NEXT) | instid1(VALU_DEP_1)
	v_mad_u64_u32 v[8:9], null, v10, s15, v[7:8]
	v_mov_b32_e32 v7, v8
.LBB63_33:                              ;   in Loop: Header=BB63_9 Depth=1
	v_cvt_f64_i32_e32 v[8:9], v0
	v_cvt_f64_u32_e32 v[0:1], v1
	s_delay_alu instid0(VALU_DEP_2) | instskip(NEXT) | instid1(VALU_DEP_1)
	v_ldexp_f64 v[8:9], v[8:9], 32
	v_add_f64 v[0:1], v[8:9], v[0:1]
	global_store_b64 v7, v[0:1], s[18:19]
.LBB63_34:                              ;   in Loop: Header=BB63_9 Depth=1
	s_or_b32 exec_lo, exec_lo, s33
	v_add_co_u32 v0, vcc_lo, v13, s24
	v_add_co_ci_u32_e32 v1, vcc_lo, 0, v14, vcc_lo
	s_mov_b32 s33, exec_lo
	s_delay_alu instid0(VALU_DEP_1)
	v_cmpx_gt_i64_e64 s[16:17], v[0:1]
	s_cbranch_execz .LBB63_8
; %bb.35:                               ;   in Loop: Header=BB63_9 Depth=1
	s_and_not1_b32 vcc_lo, exec_lo, s11
	s_cbranch_vccnz .LBB63_41
; %bb.36:                               ;   in Loop: Header=BB63_9 Depth=1
	v_mov_b32_e32 v1, 0
	s_and_not1_b32 vcc_lo, exec_lo, s27
	s_cbranch_vccnz .LBB63_45
; %bb.37:                               ;   in Loop: Header=BB63_9 Depth=1
	s_and_not1_b32 vcc_lo, exec_lo, s29
	s_mov_b32 s20, 0
	s_cbranch_vccnz .LBB63_42
; %bb.38:                               ;   in Loop: Header=BB63_9 Depth=1
	v_mov_b32_e32 v1, 0
	v_mov_b32_e32 v7, v0
	s_mov_b32 s34, 0
	s_mov_b64 s[20:21], s[12:13]
	s_mov_b64 s[22:23], s[0:1]
.LBB63_39:                              ;   Parent Loop BB63_9 Depth=1
                                        ; =>  This Inner Loop Header: Depth=2
	s_clause 0x1
	s_load_b256 s[36:43], s[20:21], 0x4
	s_load_b128 s[44:47], s[20:21], 0x24
	s_load_b128 s[48:51], s[22:23], 0x0
	s_add_u32 s20, s20, 48
	s_addc_u32 s21, s21, 0
	s_add_i32 s34, s34, 4
	s_add_u32 s22, s22, 16
	s_addc_u32 s23, s23, 0
	s_cmp_eq_u32 s30, s34
	s_waitcnt lgkmcnt(0)
	v_mul_hi_u32 v8, s37, v7
	s_delay_alu instid0(VALU_DEP_1) | instskip(NEXT) | instid1(VALU_DEP_1)
	v_add_nc_u32_e32 v8, v7, v8
	v_lshrrev_b32_e32 v8, s38, v8
	s_delay_alu instid0(VALU_DEP_1) | instskip(SKIP_1) | instid1(VALU_DEP_2)
	v_mul_hi_u32 v9, s40, v8
	v_mul_lo_u32 v40, v8, s36
	v_add_nc_u32_e32 v9, v8, v9
	s_delay_alu instid0(VALU_DEP_2) | instskip(NEXT) | instid1(VALU_DEP_2)
	v_sub_nc_u32_e32 v40, v7, v40
	v_lshrrev_b32_e32 v9, s41, v9
	s_delay_alu instid0(VALU_DEP_2) | instskip(NEXT) | instid1(VALU_DEP_2)
	v_mul_lo_u32 v40, v40, s48
	v_mul_hi_u32 v10, s43, v9
	v_mul_lo_u32 v41, v9, s39
	s_delay_alu instid0(VALU_DEP_2) | instskip(NEXT) | instid1(VALU_DEP_2)
	v_add_nc_u32_e32 v10, v9, v10
	v_sub_nc_u32_e32 v8, v8, v41
	s_delay_alu instid0(VALU_DEP_2) | instskip(NEXT) | instid1(VALU_DEP_2)
	v_lshrrev_b32_e32 v10, s44, v10
	v_mul_lo_u32 v8, v8, s49
	s_delay_alu instid0(VALU_DEP_2) | instskip(NEXT) | instid1(VALU_DEP_2)
	v_mul_hi_u32 v16, s46, v10
	v_add3_u32 v1, v40, v1, v8
	s_delay_alu instid0(VALU_DEP_2) | instskip(NEXT) | instid1(VALU_DEP_1)
	v_add_nc_u32_e32 v16, v10, v16
	v_lshrrev_b32_e32 v7, s47, v16
	v_mul_lo_u32 v16, v10, s42
	s_delay_alu instid0(VALU_DEP_2) | instskip(NEXT) | instid1(VALU_DEP_2)
	v_mul_lo_u32 v42, v7, s45
	v_sub_nc_u32_e32 v9, v9, v16
	s_delay_alu instid0(VALU_DEP_2) | instskip(NEXT) | instid1(VALU_DEP_2)
	v_sub_nc_u32_e32 v10, v10, v42
	v_mul_lo_u32 v9, v9, s50
	s_delay_alu instid0(VALU_DEP_2) | instskip(NEXT) | instid1(VALU_DEP_1)
	v_mul_lo_u32 v10, v10, s51
	v_add3_u32 v1, v9, v1, v10
	s_cbranch_scc0 .LBB63_39
; %bb.40:                               ;   in Loop: Header=BB63_9 Depth=1
	s_mov_b32 s20, s30
	s_and_not1_b32 vcc_lo, exec_lo, s31
	s_cbranch_vccz .LBB63_43
	s_branch .LBB63_45
.LBB63_41:                              ;   in Loop: Header=BB63_9 Depth=1
                                        ; implicit-def: $vgpr1
	s_branch .LBB63_46
.LBB63_42:                              ;   in Loop: Header=BB63_9 Depth=1
	v_mov_b32_e32 v7, v0
	s_and_not1_b32 vcc_lo, exec_lo, s31
	s_cbranch_vccnz .LBB63_45
.LBB63_43:                              ;   in Loop: Header=BB63_9 Depth=1
	s_lshl_b32 s21, s20, 2
	s_mul_i32 s22, s20, 12
	s_add_u32 s20, s0, s21
	s_addc_u32 s21, s1, 0
	s_add_u32 s22, s12, s22
	s_addc_u32 s23, s13, 0
	s_mov_b32 s34, s28
	.p2align	6
.LBB63_44:                              ;   Parent Loop BB63_9 Depth=1
                                        ; =>  This Inner Loop Header: Depth=2
	s_clause 0x1
	s_load_b64 s[36:37], s[22:23], 0x4
	s_load_b32 s35, s[22:23], 0xc
	s_add_u32 s22, s22, 12
	s_addc_u32 s23, s23, 0
	s_waitcnt lgkmcnt(0)
	v_mul_hi_u32 v8, s37, v7
	s_load_b32 s37, s[20:21], 0x0
	s_add_u32 s20, s20, 4
	s_addc_u32 s21, s21, 0
	s_add_i32 s34, s34, -1
	s_delay_alu instid0(SALU_CYCLE_1) | instskip(NEXT) | instid1(VALU_DEP_1)
	s_cmp_lg_u32 s34, 0
	v_add_nc_u32_e32 v8, v7, v8
	s_delay_alu instid0(VALU_DEP_1) | instskip(NEXT) | instid1(VALU_DEP_1)
	v_lshrrev_b32_e32 v10, s35, v8
	v_mul_lo_u32 v8, v10, s36
	s_delay_alu instid0(VALU_DEP_1) | instskip(SKIP_1) | instid1(VALU_DEP_1)
	v_sub_nc_u32_e32 v7, v7, v8
	s_waitcnt lgkmcnt(0)
	v_mad_u64_u32 v[8:9], null, v7, s37, v[1:2]
	v_mov_b32_e32 v7, v10
	s_delay_alu instid0(VALU_DEP_2)
	v_mov_b32_e32 v1, v8
	s_cbranch_scc1 .LBB63_44
.LBB63_45:                              ;   in Loop: Header=BB63_9 Depth=1
	s_cbranch_execnz .LBB63_7
.LBB63_46:                              ;   in Loop: Header=BB63_9 Depth=1
	v_mul_hi_u32 v1, v0, s6
	s_and_not1_b32 vcc_lo, exec_lo, s4
	s_delay_alu instid0(VALU_DEP_1) | instskip(NEXT) | instid1(VALU_DEP_1)
	v_add_nc_u32_e32 v1, v1, v0
	v_lshrrev_b32_e32 v7, s7, v1
	s_delay_alu instid0(VALU_DEP_1) | instskip(NEXT) | instid1(VALU_DEP_1)
	v_mul_lo_u32 v1, v7, s5
	v_sub_nc_u32_e32 v0, v0, v1
	s_delay_alu instid0(VALU_DEP_1)
	v_mul_lo_u32 v1, v0, s14
	s_cbranch_vccnz .LBB63_7
; %bb.47:                               ;   in Loop: Header=BB63_9 Depth=1
	v_mul_hi_u32 v0, s9, v7
	s_delay_alu instid0(VALU_DEP_1) | instskip(NEXT) | instid1(VALU_DEP_1)
	v_add_nc_u32_e32 v0, v7, v0
	v_lshrrev_b32_e32 v0, s10, v0
	s_delay_alu instid0(VALU_DEP_1) | instskip(NEXT) | instid1(VALU_DEP_1)
	v_mul_lo_u32 v0, v0, s8
	v_sub_nc_u32_e32 v0, v7, v0
	s_delay_alu instid0(VALU_DEP_1) | instskip(NEXT) | instid1(VALU_DEP_1)
	v_mad_u64_u32 v[7:8], null, v0, s15, v[1:2]
	v_mov_b32_e32 v1, v7
	s_branch .LBB63_7
.LBB63_48:
	s_endpgm
.LBB63_49:
                                        ; implicit-def: $sgpr2_sgpr3
	s_branch .LBB63_4
	.section	.rodata,"a",@progbits
	.p2align	6, 0x0
	.amdhsa_kernel _ZN2at6native12_GLOBAL__N_143distribution_elementwise_grid_stride_kernelImLi2EZZZNS0_9templates4cuda32random_full_64_bits_range_kernelIPNS_17CUDAGeneratorImplEEEvRNS_18TensorIteratorBaseET_ENKUlvE_clEvENKUlvE4_clEvEUlP25hiprandStatePhilox4_32_10E_ZNS1_27distribution_nullary_kernelIdm15HIP_vector_typeIyLj2EES7_SF_ZZZNS5_IS7_EEvS9_SA_ENKSB_clEvENKSC_clEvEUlmE_EEvS9_T2_RKT3_T4_EUlimE0_EEvlNS_15PhiloxCudaStateET1_SK_
		.amdhsa_group_segment_fixed_size 0
		.amdhsa_private_segment_fixed_size 0
		.amdhsa_kernarg_size 584
		.amdhsa_user_sgpr_count 15
		.amdhsa_user_sgpr_dispatch_ptr 0
		.amdhsa_user_sgpr_queue_ptr 0
		.amdhsa_user_sgpr_kernarg_segment_ptr 1
		.amdhsa_user_sgpr_dispatch_id 0
		.amdhsa_user_sgpr_private_segment_size 0
		.amdhsa_wavefront_size32 1
		.amdhsa_uses_dynamic_stack 0
		.amdhsa_enable_private_segment 0
		.amdhsa_system_sgpr_workgroup_id_x 1
		.amdhsa_system_sgpr_workgroup_id_y 0
		.amdhsa_system_sgpr_workgroup_id_z 0
		.amdhsa_system_sgpr_workgroup_info 0
		.amdhsa_system_vgpr_workitem_id 0
		.amdhsa_next_free_vgpr 44
		.amdhsa_next_free_sgpr 52
		.amdhsa_reserve_vcc 1
		.amdhsa_float_round_mode_32 0
		.amdhsa_float_round_mode_16_64 0
		.amdhsa_float_denorm_mode_32 3
		.amdhsa_float_denorm_mode_16_64 3
		.amdhsa_dx10_clamp 1
		.amdhsa_ieee_mode 1
		.amdhsa_fp16_overflow 0
		.amdhsa_workgroup_processor_mode 1
		.amdhsa_memory_ordered 1
		.amdhsa_forward_progress 0
		.amdhsa_shared_vgpr_count 0
		.amdhsa_exception_fp_ieee_invalid_op 0
		.amdhsa_exception_fp_denorm_src 0
		.amdhsa_exception_fp_ieee_div_zero 0
		.amdhsa_exception_fp_ieee_overflow 0
		.amdhsa_exception_fp_ieee_underflow 0
		.amdhsa_exception_fp_ieee_inexact 0
		.amdhsa_exception_int_div_zero 0
	.end_amdhsa_kernel
	.section	.text._ZN2at6native12_GLOBAL__N_143distribution_elementwise_grid_stride_kernelImLi2EZZZNS0_9templates4cuda32random_full_64_bits_range_kernelIPNS_17CUDAGeneratorImplEEEvRNS_18TensorIteratorBaseET_ENKUlvE_clEvENKUlvE4_clEvEUlP25hiprandStatePhilox4_32_10E_ZNS1_27distribution_nullary_kernelIdm15HIP_vector_typeIyLj2EES7_SF_ZZZNS5_IS7_EEvS9_SA_ENKSB_clEvENKSC_clEvEUlmE_EEvS9_T2_RKT3_T4_EUlimE0_EEvlNS_15PhiloxCudaStateET1_SK_,"axG",@progbits,_ZN2at6native12_GLOBAL__N_143distribution_elementwise_grid_stride_kernelImLi2EZZZNS0_9templates4cuda32random_full_64_bits_range_kernelIPNS_17CUDAGeneratorImplEEEvRNS_18TensorIteratorBaseET_ENKUlvE_clEvENKUlvE4_clEvEUlP25hiprandStatePhilox4_32_10E_ZNS1_27distribution_nullary_kernelIdm15HIP_vector_typeIyLj2EES7_SF_ZZZNS5_IS7_EEvS9_SA_ENKSB_clEvENKSC_clEvEUlmE_EEvS9_T2_RKT3_T4_EUlimE0_EEvlNS_15PhiloxCudaStateET1_SK_,comdat
.Lfunc_end63:
	.size	_ZN2at6native12_GLOBAL__N_143distribution_elementwise_grid_stride_kernelImLi2EZZZNS0_9templates4cuda32random_full_64_bits_range_kernelIPNS_17CUDAGeneratorImplEEEvRNS_18TensorIteratorBaseET_ENKUlvE_clEvENKUlvE4_clEvEUlP25hiprandStatePhilox4_32_10E_ZNS1_27distribution_nullary_kernelIdm15HIP_vector_typeIyLj2EES7_SF_ZZZNS5_IS7_EEvS9_SA_ENKSB_clEvENKSC_clEvEUlmE_EEvS9_T2_RKT3_T4_EUlimE0_EEvlNS_15PhiloxCudaStateET1_SK_, .Lfunc_end63-_ZN2at6native12_GLOBAL__N_143distribution_elementwise_grid_stride_kernelImLi2EZZZNS0_9templates4cuda32random_full_64_bits_range_kernelIPNS_17CUDAGeneratorImplEEEvRNS_18TensorIteratorBaseET_ENKUlvE_clEvENKUlvE4_clEvEUlP25hiprandStatePhilox4_32_10E_ZNS1_27distribution_nullary_kernelIdm15HIP_vector_typeIyLj2EES7_SF_ZZZNS5_IS7_EEvS9_SA_ENKSB_clEvENKSC_clEvEUlmE_EEvS9_T2_RKT3_T4_EUlimE0_EEvlNS_15PhiloxCudaStateET1_SK_
                                        ; -- End function
	.section	.AMDGPU.csdata,"",@progbits
; Kernel info:
; codeLenInByte = 3868
; NumSgprs: 54
; NumVgprs: 44
; ScratchSize: 0
; MemoryBound: 0
; FloatMode: 240
; IeeeMode: 1
; LDSByteSize: 0 bytes/workgroup (compile time only)
; SGPRBlocks: 6
; VGPRBlocks: 5
; NumSGPRsForWavesPerEU: 54
; NumVGPRsForWavesPerEU: 44
; Occupancy: 16
; WaveLimiterHint : 1
; COMPUTE_PGM_RSRC2:SCRATCH_EN: 0
; COMPUTE_PGM_RSRC2:USER_SGPR: 15
; COMPUTE_PGM_RSRC2:TRAP_HANDLER: 0
; COMPUTE_PGM_RSRC2:TGID_X_EN: 1
; COMPUTE_PGM_RSRC2:TGID_Y_EN: 0
; COMPUTE_PGM_RSRC2:TGID_Z_EN: 0
; COMPUTE_PGM_RSRC2:TIDIG_COMP_CNT: 0
	.section	.text._ZN2at6native12_GLOBAL__N_143distribution_elementwise_grid_stride_kernelImLi2EZZZNS0_9templates4cuda32random_full_64_bits_range_kernelIPNS_17CUDAGeneratorImplEEEvRNS_18TensorIteratorBaseET_ENKUlvE_clEvENKUlvE5_clEvEUlP25hiprandStatePhilox4_32_10E_ZNS1_27distribution_nullary_kernelIfm15HIP_vector_typeIyLj2EES7_SF_ZZZNS5_IS7_EEvS9_SA_ENKSB_clEvENKSC_clEvEUlmE_EEvS9_T2_RKT3_T4_EUlimE_EEvlNS_15PhiloxCudaStateET1_SK_,"axG",@progbits,_ZN2at6native12_GLOBAL__N_143distribution_elementwise_grid_stride_kernelImLi2EZZZNS0_9templates4cuda32random_full_64_bits_range_kernelIPNS_17CUDAGeneratorImplEEEvRNS_18TensorIteratorBaseET_ENKUlvE_clEvENKUlvE5_clEvEUlP25hiprandStatePhilox4_32_10E_ZNS1_27distribution_nullary_kernelIfm15HIP_vector_typeIyLj2EES7_SF_ZZZNS5_IS7_EEvS9_SA_ENKSB_clEvENKSC_clEvEUlmE_EEvS9_T2_RKT3_T4_EUlimE_EEvlNS_15PhiloxCudaStateET1_SK_,comdat
	.globl	_ZN2at6native12_GLOBAL__N_143distribution_elementwise_grid_stride_kernelImLi2EZZZNS0_9templates4cuda32random_full_64_bits_range_kernelIPNS_17CUDAGeneratorImplEEEvRNS_18TensorIteratorBaseET_ENKUlvE_clEvENKUlvE5_clEvEUlP25hiprandStatePhilox4_32_10E_ZNS1_27distribution_nullary_kernelIfm15HIP_vector_typeIyLj2EES7_SF_ZZZNS5_IS7_EEvS9_SA_ENKSB_clEvENKSC_clEvEUlmE_EEvS9_T2_RKT3_T4_EUlimE_EEvlNS_15PhiloxCudaStateET1_SK_ ; -- Begin function _ZN2at6native12_GLOBAL__N_143distribution_elementwise_grid_stride_kernelImLi2EZZZNS0_9templates4cuda32random_full_64_bits_range_kernelIPNS_17CUDAGeneratorImplEEEvRNS_18TensorIteratorBaseET_ENKUlvE_clEvENKUlvE5_clEvEUlP25hiprandStatePhilox4_32_10E_ZNS1_27distribution_nullary_kernelIfm15HIP_vector_typeIyLj2EES7_SF_ZZZNS5_IS7_EEvS9_SA_ENKSB_clEvENKSC_clEvEUlmE_EEvS9_T2_RKT3_T4_EUlimE_EEvlNS_15PhiloxCudaStateET1_SK_
	.p2align	8
	.type	_ZN2at6native12_GLOBAL__N_143distribution_elementwise_grid_stride_kernelImLi2EZZZNS0_9templates4cuda32random_full_64_bits_range_kernelIPNS_17CUDAGeneratorImplEEEvRNS_18TensorIteratorBaseET_ENKUlvE_clEvENKUlvE5_clEvEUlP25hiprandStatePhilox4_32_10E_ZNS1_27distribution_nullary_kernelIfm15HIP_vector_typeIyLj2EES7_SF_ZZZNS5_IS7_EEvS9_SA_ENKSB_clEvENKSC_clEvEUlmE_EEvS9_T2_RKT3_T4_EUlimE_EEvlNS_15PhiloxCudaStateET1_SK_,@function
_ZN2at6native12_GLOBAL__N_143distribution_elementwise_grid_stride_kernelImLi2EZZZNS0_9templates4cuda32random_full_64_bits_range_kernelIPNS_17CUDAGeneratorImplEEEvRNS_18TensorIteratorBaseET_ENKUlvE_clEvENKUlvE5_clEvEUlP25hiprandStatePhilox4_32_10E_ZNS1_27distribution_nullary_kernelIfm15HIP_vector_typeIyLj2EES7_SF_ZZZNS5_IS7_EEvS9_SA_ENKSB_clEvENKSC_clEvEUlmE_EEvS9_T2_RKT3_T4_EUlimE_EEvlNS_15PhiloxCudaStateET1_SK_: ; @_ZN2at6native12_GLOBAL__N_143distribution_elementwise_grid_stride_kernelImLi2EZZZNS0_9templates4cuda32random_full_64_bits_range_kernelIPNS_17CUDAGeneratorImplEEEvRNS_18TensorIteratorBaseET_ENKUlvE_clEvENKUlvE5_clEvEUlP25hiprandStatePhilox4_32_10E_ZNS1_27distribution_nullary_kernelIfm15HIP_vector_typeIyLj2EES7_SF_ZZZNS5_IS7_EEvS9_SA_ENKSB_clEvENKSC_clEvEUlmE_EEvS9_T2_RKT3_T4_EUlimE_EEvlNS_15PhiloxCudaStateET1_SK_
; %bb.0:
	s_clause 0x2
	s_load_b64 s[8:9], s[0:1], 0x10
	s_load_b128 s[4:7], s[0:1], 0x0
	s_load_b32 s2, s[0:1], 0x20
	s_waitcnt lgkmcnt(0)
	v_dual_mov_b32 v2, s8 :: v_dual_mov_b32 v3, s9
	v_dual_mov_b32 v12, s7 :: v_dual_mov_b32 v11, s6
	s_bitcmp0_b32 s2, 0
	s_mov_b32 s2, 0
	s_cbranch_scc1 .LBB64_2
; %bb.1:
	v_dual_mov_b32 v1, s8 :: v_dual_mov_b32 v2, s9
	v_dual_mov_b32 v4, s6 :: v_dual_mov_b32 v5, s7
	s_load_b64 s[6:7], s[0:1], 0x18
	flat_load_b64 v[2:3], v[1:2]
	flat_load_b64 v[11:12], v[4:5]
	s_waitcnt vmcnt(1) lgkmcnt(0)
	v_add_co_u32 v2, vcc_lo, v2, s6
	v_add_co_ci_u32_e32 v3, vcc_lo, s7, v3, vcc_lo
.LBB64_2:
	s_clause 0x1
	s_load_b32 s3, s[0:1], 0x4c
	s_load_b32 s11, s[0:1], 0x40
	s_waitcnt lgkmcnt(0)
	s_and_b32 s10, s3, 0xffff
	s_add_u32 s6, s4, -1
	s_mul_i32 s8, s11, s10
	s_addc_u32 s3, s5, -1
	s_lshl_b32 s9, s8, 1
	s_cmp_lg_u64 s[2:3], 0
	s_cbranch_scc0 .LBB64_23
; %bb.3:
	v_cvt_f32_ubyte0_e32 v1, 0
	v_cvt_f32_u32_e32 v4, s9
	s_sub_u32 s12, 0, s9
	s_subb_u32 s13, 0, 0
	s_delay_alu instid0(VALU_DEP_1) | instskip(NEXT) | instid1(VALU_DEP_1)
	v_fmamk_f32 v1, v1, 0x4f800000, v4
	v_rcp_f32_e32 v1, v1
	s_waitcnt_depctr 0xfff
	v_mul_f32_e32 v1, 0x5f7ffffc, v1
	s_delay_alu instid0(VALU_DEP_1) | instskip(NEXT) | instid1(VALU_DEP_1)
	v_mul_f32_e32 v4, 0x2f800000, v1
	v_trunc_f32_e32 v4, v4
	s_delay_alu instid0(VALU_DEP_1) | instskip(SKIP_1) | instid1(VALU_DEP_2)
	v_fmamk_f32 v1, v4, 0xcf800000, v1
	v_cvt_u32_f32_e32 v4, v4
	v_cvt_u32_f32_e32 v1, v1
	s_delay_alu instid0(VALU_DEP_2) | instskip(NEXT) | instid1(VALU_DEP_2)
	v_readfirstlane_b32 s2, v4
	v_readfirstlane_b32 s7, v1
	s_delay_alu instid0(VALU_DEP_2) | instskip(NEXT) | instid1(VALU_DEP_1)
	s_mul_i32 s14, s12, s2
	s_mul_hi_u32 s17, s12, s7
	s_mul_i32 s16, s13, s7
	s_add_i32 s14, s17, s14
	s_mul_i32 s18, s12, s7
	s_add_i32 s14, s14, s16
	s_mul_hi_u32 s17, s7, s18
	s_mul_hi_u32 s19, s2, s18
	s_mul_i32 s16, s2, s18
	s_mul_hi_u32 s18, s7, s14
	s_mul_i32 s7, s7, s14
	s_mul_hi_u32 s20, s2, s14
	s_add_u32 s7, s17, s7
	s_addc_u32 s17, 0, s18
	s_add_u32 s7, s7, s16
	s_mul_i32 s14, s2, s14
	s_addc_u32 s7, s17, s19
	s_addc_u32 s16, s20, 0
	s_add_u32 s7, s7, s14
	s_addc_u32 s14, 0, s16
	v_add_co_u32 v1, s7, v1, s7
	s_delay_alu instid0(VALU_DEP_1) | instskip(SKIP_1) | instid1(VALU_DEP_1)
	s_cmp_lg_u32 s7, 0
	s_addc_u32 s2, s2, s14
	v_readfirstlane_b32 s7, v1
	s_mul_i32 s14, s12, s2
	s_delay_alu instid0(VALU_DEP_1)
	s_mul_hi_u32 s16, s12, s7
	s_mul_i32 s13, s13, s7
	s_add_i32 s14, s16, s14
	s_mul_i32 s12, s12, s7
	s_add_i32 s14, s14, s13
	s_mul_hi_u32 s16, s2, s12
	s_mul_i32 s17, s2, s12
	s_mul_hi_u32 s12, s7, s12
	s_mul_hi_u32 s18, s7, s14
	s_mul_i32 s7, s7, s14
	s_mul_hi_u32 s13, s2, s14
	s_add_u32 s7, s12, s7
	s_addc_u32 s12, 0, s18
	s_add_u32 s7, s7, s17
	s_mul_i32 s14, s2, s14
	s_addc_u32 s7, s12, s16
	s_addc_u32 s12, s13, 0
	s_add_u32 s7, s7, s14
	s_addc_u32 s12, 0, s12
	v_add_co_u32 v1, s7, v1, s7
	s_delay_alu instid0(VALU_DEP_1) | instskip(SKIP_2) | instid1(VALU_DEP_1)
	s_cmp_lg_u32 s7, 0
	s_addc_u32 s7, s2, s12
	s_ashr_i32 s12, s3, 31
	v_readfirstlane_b32 s14, v1
	s_add_u32 s2, s6, s12
	s_mov_b32 s13, s12
	s_addc_u32 s3, s3, s12
	s_delay_alu instid0(SALU_CYCLE_1) | instskip(NEXT) | instid1(SALU_CYCLE_1)
	s_xor_b64 s[2:3], s[2:3], s[12:13]
	s_mul_i32 s17, s2, s7
	s_mul_hi_u32 s18, s2, s14
	s_mul_hi_u32 s16, s2, s7
	;; [unrolled: 1-line block ×3, first 2 shown]
	s_mul_i32 s14, s3, s14
	s_add_u32 s17, s18, s17
	s_addc_u32 s16, 0, s16
	s_mul_hi_u32 s19, s3, s7
	s_add_u32 s14, s17, s14
	s_mul_i32 s7, s3, s7
	s_addc_u32 s14, s16, s20
	s_addc_u32 s16, s19, 0
	s_add_u32 s7, s14, s7
	s_addc_u32 s14, 0, s16
	s_mul_i32 s17, s9, s7
	s_add_u32 s16, s7, 1
	v_sub_co_u32 v1, s2, s2, s17
	s_mul_hi_u32 s17, s9, s7
	s_addc_u32 s18, s14, 0
	s_mul_i32 s19, s9, s14
	s_delay_alu instid0(VALU_DEP_1)
	v_sub_co_u32 v4, s20, v1, s9
	s_add_u32 s21, s7, 2
	s_addc_u32 s22, s14, 0
	s_add_i32 s17, s17, s19
	s_cmp_lg_u32 s2, 0
	v_readfirstlane_b32 s2, v4
	s_subb_u32 s3, s3, s17
	s_cmp_lg_u32 s20, 0
	s_subb_u32 s17, s3, 0
	s_delay_alu instid0(VALU_DEP_1) | instskip(SKIP_4) | instid1(SALU_CYCLE_1)
	s_cmp_ge_u32 s2, s9
	s_cselect_b32 s2, -1, 0
	s_cmp_eq_u32 s17, 0
	v_readfirstlane_b32 s17, v1
	s_cselect_b32 s2, s2, -1
	s_cmp_lg_u32 s2, 0
	s_cselect_b32 s2, s21, s16
	s_cselect_b32 s16, s22, s18
	s_cmp_ge_u32 s17, s9
	s_cselect_b32 s17, -1, 0
	s_cmp_eq_u32 s3, 0
	s_cselect_b32 s3, s17, -1
	s_delay_alu instid0(SALU_CYCLE_1) | instskip(SKIP_2) | instid1(SALU_CYCLE_1)
	s_cmp_lg_u32 s3, 0
	s_cselect_b32 s3, s16, s14
	s_cselect_b32 s2, s2, s7
	s_xor_b64 s[2:3], s[2:3], s[12:13]
	s_delay_alu instid0(SALU_CYCLE_1)
	s_sub_u32 s2, s2, s12
	s_subb_u32 s3, s3, s12
	s_cbranch_execnz .LBB64_5
.LBB64_4:
	v_cvt_f32_u32_e32 v1, s9
	s_sub_i32 s3, 0, s9
	s_delay_alu instid0(VALU_DEP_1) | instskip(SKIP_2) | instid1(VALU_DEP_1)
	v_rcp_iflag_f32_e32 v1, v1
	s_waitcnt_depctr 0xfff
	v_mul_f32_e32 v1, 0x4f7ffffe, v1
	v_cvt_u32_f32_e32 v1, v1
	s_delay_alu instid0(VALU_DEP_1) | instskip(NEXT) | instid1(VALU_DEP_1)
	v_readfirstlane_b32 s2, v1
	s_mul_i32 s3, s3, s2
	s_delay_alu instid0(SALU_CYCLE_1) | instskip(NEXT) | instid1(SALU_CYCLE_1)
	s_mul_hi_u32 s3, s2, s3
	s_add_i32 s2, s2, s3
	s_delay_alu instid0(SALU_CYCLE_1) | instskip(NEXT) | instid1(SALU_CYCLE_1)
	s_mul_hi_u32 s2, s6, s2
	s_mul_i32 s3, s2, s9
	s_delay_alu instid0(SALU_CYCLE_1)
	s_sub_i32 s3, s6, s3
	s_add_i32 s6, s2, 1
	s_sub_i32 s7, s3, s9
	s_cmp_ge_u32 s3, s9
	s_cselect_b32 s2, s6, s2
	s_cselect_b32 s3, s7, s3
	s_add_i32 s6, s2, 1
	s_cmp_ge_u32 s3, s9
	s_mov_b32 s3, 0
	s_cselect_b32 s2, s6, s2
.LBB64_5:
	v_mov_b32_e32 v1, 0
	s_add_u32 s2, s2, 1
	s_addc_u32 s3, s3, 0
	s_mul_hi_u32 s6, s8, s2
	s_mul_i32 s3, s8, s3
	v_mad_u64_u32 v[13:14], null, s10, s15, v[0:1]
	s_mul_hi_u32 s7, s11, s10
	s_add_i32 s3, s6, s3
	s_mul_i32 s7, s7, s2
	s_mul_i32 s2, s8, s2
	s_add_i32 s3, s3, s7
	s_mov_b32 s6, exec_lo
	s_lshl_b64 s[2:3], s[2:3], 1
	s_delay_alu instid0(SALU_CYCLE_1)
	v_cmpx_gt_i64_e64 s[2:3], v[13:14]
	s_cbranch_execz .LBB64_22
; %bb.6:
	v_alignbit_b32 v17, v3, v2, 2
	v_mad_u64_u32 v[6:7], null, 0xcd9e8d57, v13, 0
	v_lshrrev_b32_e32 v18, 2, v3
	s_waitcnt vmcnt(0)
	v_dual_mov_b32 v15, v12 :: v_dual_add_nc_u32 v34, 0x8ff34781, v11
	v_mad_u64_u32 v[4:5], null, 0xd2511f53, v17, 0
	v_add_co_u32 v20, null, 0x9e3779b9, v11
	v_xor3_b32 v3, v11, v7, v18
	s_delay_alu instid0(VALU_DEP_4) | instskip(SKIP_2) | instid1(VALU_DEP_4)
	v_add_co_u32 v19, null, 0xbb67ae85, v15
	v_add_co_u32 v21, null, 0x3c6ef372, v11
	v_xor_b32_e32 v1, v5, v12
	v_mad_u64_u32 v[7:8], null, 0xd2511f53, v3, 0
	v_add_co_u32 v22, null, 0x76cf5d0a, v15
	s_delay_alu instid0(VALU_DEP_3) | instskip(SKIP_2) | instid1(VALU_DEP_3)
	v_xor_b32_e32 v1, v1, v14
	v_add_co_u32 v23, null, 0x32370b8f, v15
	v_add_co_u32 v24, null, 0xdaa66d2b, v11
	v_mad_u64_u32 v[9:10], null, 0xcd9e8d57, v1, 0
	v_xor3_b32 v1, v19, v8, v4
	v_add_co_u32 v25, null, 0x78dde6e4, v11
	v_add_co_u32 v26, null, 0xed9eba14, v15
	s_delay_alu instid0(VALU_DEP_3) | instskip(SKIP_3) | instid1(VALU_DEP_3)
	v_mad_u64_u32 v[3:4], null, 0xcd9e8d57, v1, 0
	v_xor3_b32 v8, v20, v10, v6
	v_add_co_u32 v27, null, 0xa9066899, v15
	v_add_co_u32 v28, null, 0x1715609d, v11
	v_mad_u64_u32 v[5:6], null, 0xd2511f53, v8, 0
	v_xor3_b32 v1, v21, v4, v9
	v_add_co_u32 v29, null, 0xb54cda56, v11
	v_add_co_u32 v30, null, 0x646e171e, v15
	;; [unrolled: 1-line block ×3, first 2 shown]
	v_xor3_b32 v4, v22, v6, v7
	v_mad_u64_u32 v[6:7], null, 0xd2511f53, v1, 0
	v_add_co_u32 v32, null, 0x5384540f, v11
	s_delay_alu instid0(VALU_DEP_3) | instskip(SKIP_1) | instid1(VALU_DEP_4)
	v_mad_u64_u32 v[8:9], null, 0xcd9e8d57, v4, 0
	v_dual_mov_b32 v38, v13 :: v_dual_and_b32 v33, 3, v2
	v_xor3_b32 v1, v23, v7, v5
	s_clause 0x1
	s_load_b64 s[6:7], s[0:1], 0x30
	s_load_b32 s0, s[0:1], 0x38
	v_add_co_u32 v35, null, 0xf1bbcdc8, v11
	s_delay_alu instid0(VALU_DEP_4) | instskip(SKIP_2) | instid1(VALU_DEP_3)
	v_xor3_b32 v5, v24, v9, v3
	v_mad_u64_u32 v[3:4], null, 0xcd9e8d57, v1, 0
	v_add_co_u32 v36, null, 0xdb3d7428, v15
	v_mad_u64_u32 v[9:10], null, 0xd2511f53, v5, 0
	v_add_nc_u32_e32 v37, 0x96a522ad, v12
	v_mov_b32_e32 v41, v14
	v_xor3_b32 v1, v25, v4, v8
	s_delay_alu instid0(VALU_DEP_4) | instskip(NEXT) | instid1(VALU_DEP_2)
	v_xor3_b32 v8, v26, v10, v6
	v_mad_u64_u32 v[4:5], null, 0xd2511f53, v1, 0
	s_waitcnt lgkmcnt(0)
	s_mul_i32 s1, s11, s0
	s_delay_alu instid0(VALU_DEP_2) | instskip(SKIP_1) | instid1(VALU_DEP_2)
	v_mad_u64_u32 v[6:7], null, 0xcd9e8d57, v8, 0
	s_mul_i32 s1, s1, s10
	v_xor3_b32 v1, v27, v5, v9
	s_lshl_b32 s1, s1, 1
	s_delay_alu instid0(VALU_DEP_2) | instskip(NEXT) | instid1(VALU_DEP_2)
	v_xor3_b32 v3, v28, v7, v3
	v_mad_u64_u32 v[7:8], null, 0xcd9e8d57, v1, 0
	s_delay_alu instid0(VALU_DEP_2) | instskip(NEXT) | instid1(VALU_DEP_2)
	v_mad_u64_u32 v[9:10], null, 0xd2511f53, v3, 0
	v_xor3_b32 v1, v29, v8, v6
	s_delay_alu instid0(VALU_DEP_2) | instskip(NEXT) | instid1(VALU_DEP_2)
	v_xor3_b32 v8, v30, v10, v4
	v_mad_u64_u32 v[3:4], null, 0xd2511f53, v1, 0
	s_delay_alu instid0(VALU_DEP_2) | instskip(NEXT) | instid1(VALU_DEP_2)
	v_mad_u64_u32 v[5:6], null, 0xcd9e8d57, v8, 0
	v_xor3_b32 v1, v31, v4, v9
	s_delay_alu instid0(VALU_DEP_2) | instskip(NEXT) | instid1(VALU_DEP_2)
	v_xor3_b32 v2, v32, v6, v7
	v_mad_u64_u32 v[6:7], null, 0xcd9e8d57, v1, 0
	v_mad_u64_u32 v[15:16], null, s15, s10, v[0:1]
	s_delay_alu instid0(VALU_DEP_3) | instskip(SKIP_1) | instid1(VALU_DEP_3)
	v_mad_u64_u32 v[8:9], null, 0xd2511f53, v2, 0
	s_add_i32 s15, s15, s11
	v_xor3_b32 v1, v35, v7, v5
	s_delay_alu instid0(VALU_DEP_3) | instskip(NEXT) | instid1(VALU_DEP_3)
	v_mul_lo_u32 v39, s0, v15
	v_xor3_b32 v7, v36, v9, v3
	s_delay_alu instid0(VALU_DEP_3) | instskip(SKIP_1) | instid1(VALU_DEP_3)
	v_mad_u64_u32 v[3:4], null, s15, s10, v[0:1]
	v_mad_u64_u32 v[4:5], null, 0xd2511f53, v1, 0
	;; [unrolled: 1-line block ×3, first 2 shown]
	s_mov_b32 s10, 0
	s_delay_alu instid0(VALU_DEP_3) | instskip(SKIP_1) | instid1(VALU_DEP_3)
	v_mul_lo_u32 v40, s0, v3
	s_mov_b32 s0, 0
	v_mov_b32_e32 v3, v4
	s_delay_alu instid0(VALU_DEP_3)
	v_xor3_b32 v0, v2, v6, v34
	v_xor3_b32 v2, v5, v8, v37
	s_branch .LBB64_8
.LBB64_7:                               ;   in Loop: Header=BB64_8 Depth=1
	s_or_b32 exec_lo, exec_lo, s11
	v_add_co_u32 v13, vcc_lo, v13, s9
	v_add_co_ci_u32_e32 v14, vcc_lo, 0, v14, vcc_lo
	v_mov_b32_e32 v7, v15
	v_dual_mov_b32 v0, v4 :: v_dual_mov_b32 v1, v5
	s_delay_alu instid0(VALU_DEP_3) | instskip(NEXT) | instid1(VALU_DEP_3)
	v_cmp_le_i64_e32 vcc_lo, s[2:3], v[13:14]
	v_dual_mov_b32 v2, v6 :: v_dual_mov_b32 v3, v7
	s_add_i32 s10, s10, s1
	s_waitcnt_vscnt null, 0x0
	s_barrier
	s_or_b32 s0, vcc_lo, s0
	buffer_gl0_inv
	s_and_not1_b32 exec_lo, exec_lo, s0
	s_cbranch_execz .LBB64_22
.LBB64_8:                               ; =>This Inner Loop Header: Depth=1
	v_add_co_u32 v17, vcc_lo, v17, 1
	s_delay_alu instid0(VALU_DEP_1) | instskip(SKIP_2) | instid1(VALU_DEP_1)
	v_cndmask_b32_e64 v4, 0, 1, vcc_lo
	v_add_co_ci_u32_e32 v18, vcc_lo, 0, v18, vcc_lo
	s_mov_b32 s11, exec_lo
	v_cmp_eq_u32_e32 vcc_lo, 0, v18
	s_delay_alu instid0(VALU_DEP_3) | instskip(NEXT) | instid1(VALU_DEP_1)
	v_cndmask_b32_e32 v4, 0, v4, vcc_lo
	v_add_nc_u32_e32 v38, v4, v38
	s_delay_alu instid0(VALU_DEP_1) | instskip(SKIP_2) | instid1(VALU_DEP_2)
	v_cmp_eq_u32_e32 vcc_lo, 0, v38
	v_mad_u64_u32 v[6:7], null, 0xcd9e8d57, v38, 0
	v_cndmask_b32_e32 v4, 0, v4, vcc_lo
	v_xor3_b32 v9, v7, v11, v18
	s_delay_alu instid0(VALU_DEP_2) | instskip(SKIP_1) | instid1(VALU_DEP_3)
	v_add_nc_u32_e32 v41, v4, v41
	v_mad_u64_u32 v[4:5], null, 0xd2511f53, v17, 0
	v_mad_u64_u32 v[7:8], null, 0xd2511f53, v9, 0
	s_delay_alu instid0(VALU_DEP_2) | instskip(NEXT) | instid1(VALU_DEP_2)
	v_xor_b32_e32 v5, v5, v12
	v_xor3_b32 v8, v19, v8, v4
	s_delay_alu instid0(VALU_DEP_2) | instskip(NEXT) | instid1(VALU_DEP_1)
	v_xor_b32_e32 v5, v41, v5
	v_mad_u64_u32 v[9:10], null, 0xcd9e8d57, v5, 0
	s_delay_alu instid0(VALU_DEP_3) | instskip(NEXT) | instid1(VALU_DEP_2)
	v_mad_u64_u32 v[4:5], null, 0xcd9e8d57, v8, 0
	v_xor3_b32 v6, v20, v10, v6
	s_delay_alu instid0(VALU_DEP_2) | instskip(NEXT) | instid1(VALU_DEP_2)
	v_xor3_b32 v8, v21, v5, v9
	v_mad_u64_u32 v[15:16], null, 0xd2511f53, v6, 0
	s_delay_alu instid0(VALU_DEP_2) | instskip(NEXT) | instid1(VALU_DEP_2)
	v_mad_u64_u32 v[5:6], null, 0xd2511f53, v8, 0
	v_xor3_b32 v9, v22, v16, v7
	s_delay_alu instid0(VALU_DEP_2) | instskip(NEXT) | instid1(VALU_DEP_2)
	v_xor3_b32 v6, v23, v6, v15
	v_mad_u64_u32 v[7:8], null, 0xcd9e8d57, v9, 0
	s_delay_alu instid0(VALU_DEP_1) | instskip(NEXT) | instid1(VALU_DEP_3)
	v_xor3_b32 v4, v24, v8, v4
	v_mad_u64_u32 v[8:9], null, 0xcd9e8d57, v6, 0
	s_delay_alu instid0(VALU_DEP_2) | instskip(NEXT) | instid1(VALU_DEP_2)
	v_mad_u64_u32 v[15:16], null, 0xd2511f53, v4, 0
	v_xor3_b32 v6, v25, v9, v7
	s_delay_alu instid0(VALU_DEP_2) | instskip(NEXT) | instid1(VALU_DEP_2)
	v_xor3_b32 v9, v26, v16, v5
	v_mad_u64_u32 v[4:5], null, 0xd2511f53, v6, 0
	s_delay_alu instid0(VALU_DEP_2) | instskip(NEXT) | instid1(VALU_DEP_2)
	v_mad_u64_u32 v[6:7], null, 0xcd9e8d57, v9, 0
	v_xor3_b32 v5, v27, v5, v15
	s_delay_alu instid0(VALU_DEP_2) | instskip(NEXT) | instid1(VALU_DEP_2)
	;; [unrolled: 6-line block ×6, first 2 shown]
	v_xor3_b32 v4, v6, v7, v34
	v_mov_b32_e32 v6, v10
	v_cmpx_lt_i32_e32 1, v33
	s_xor_b32 s11, exec_lo, s11
	s_cbranch_execnz .LBB64_14
; %bb.9:                                ;   in Loop: Header=BB64_8 Depth=1
	s_and_not1_saveexec_b32 s11, s11
	s_cbranch_execnz .LBB64_19
.LBB64_10:                              ;   in Loop: Header=BB64_8 Depth=1
	s_or_b32 exec_lo, exec_lo, s11
	s_delay_alu instid0(SALU_CYCLE_1)
	s_mov_b32 s11, exec_lo
	v_cmpx_gt_i64_e64 s[4:5], v[13:14]
	s_cbranch_execz .LBB64_12
.LBB64_11:                              ;   in Loop: Header=BB64_8 Depth=1
	v_xor_b32_e32 v7, v1, v0
	v_cls_i32_e32 v8, v0
	s_delay_alu instid0(VALU_DEP_2) | instskip(NEXT) | instid1(VALU_DEP_2)
	v_ashrrev_i32_e32 v7, 31, v7
	v_dual_mov_b32 v8, v0 :: v_dual_add_nc_u32 v9, -1, v8
	s_delay_alu instid0(VALU_DEP_2) | instskip(NEXT) | instid1(VALU_DEP_1)
	v_dual_mov_b32 v7, v1 :: v_dual_add_nc_u32 v10, 32, v7
	v_min_u32_e32 v9, v9, v10
	s_delay_alu instid0(VALU_DEP_1) | instskip(SKIP_2) | instid1(VALU_DEP_3)
	v_lshlrev_b64 v[0:1], v9, v[7:8]
	v_add_nc_u32_e32 v7, s10, v39
	v_sub_nc_u32_e32 v9, 32, v9
	v_min_u32_e32 v0, 1, v0
	s_delay_alu instid0(VALU_DEP_1) | instskip(NEXT) | instid1(VALU_DEP_4)
	v_or_b32_e32 v0, v1, v0
	v_ashrrev_i32_e32 v1, 31, v7
	s_delay_alu instid0(VALU_DEP_2) | instskip(SKIP_1) | instid1(VALU_DEP_3)
	v_cvt_f32_i32_e32 v8, v0
	v_add_co_u32 v0, vcc_lo, s6, v7
	v_add_co_ci_u32_e32 v1, vcc_lo, s7, v1, vcc_lo
	s_delay_alu instid0(VALU_DEP_3)
	v_ldexp_f32 v7, v8, v9
	global_store_b32 v[0:1], v7, off
.LBB64_12:                              ;   in Loop: Header=BB64_8 Depth=1
	s_or_b32 exec_lo, exec_lo, s11
	v_add_co_u32 v0, vcc_lo, s8, v13
	v_add_co_ci_u32_e32 v1, vcc_lo, 0, v14, vcc_lo
	s_mov_b32 s11, exec_lo
	s_delay_alu instid0(VALU_DEP_1)
	v_cmpx_gt_i64_e64 s[4:5], v[0:1]
	s_cbranch_execz .LBB64_7
; %bb.13:                               ;   in Loop: Header=BB64_8 Depth=1
	v_xor_b32_e32 v0, v3, v2
	v_cls_i32_e32 v1, v2
	s_delay_alu instid0(VALU_DEP_2) | instskip(NEXT) | instid1(VALU_DEP_2)
	v_ashrrev_i32_e32 v0, 31, v0
	v_add_nc_u32_e32 v7, -1, v1
	s_delay_alu instid0(VALU_DEP_2) | instskip(NEXT) | instid1(VALU_DEP_1)
	v_dual_mov_b32 v1, v3 :: v_dual_add_nc_u32 v0, 32, v0
	v_min_u32_e32 v3, v7, v0
	s_delay_alu instid0(VALU_DEP_1) | instskip(SKIP_2) | instid1(VALU_DEP_3)
	v_lshlrev_b64 v[0:1], v3, v[1:2]
	v_add_nc_u32_e32 v2, s10, v40
	v_sub_nc_u32_e32 v3, 32, v3
	v_min_u32_e32 v0, 1, v0
	s_delay_alu instid0(VALU_DEP_1) | instskip(NEXT) | instid1(VALU_DEP_4)
	v_or_b32_e32 v0, v1, v0
	v_ashrrev_i32_e32 v1, 31, v2
	s_delay_alu instid0(VALU_DEP_2) | instskip(SKIP_1) | instid1(VALU_DEP_3)
	v_cvt_f32_i32_e32 v7, v0
	v_add_co_u32 v0, vcc_lo, s6, v2
	v_add_co_ci_u32_e32 v1, vcc_lo, s7, v1, vcc_lo
	s_delay_alu instid0(VALU_DEP_3)
	v_ldexp_f32 v2, v7, v3
	global_store_b32 v[0:1], v2, off
	s_branch .LBB64_7
.LBB64_14:                              ;   in Loop: Header=BB64_8 Depth=1
	s_mov_b32 s12, exec_lo
	v_cmpx_lt_i32_e32 2, v33
	s_xor_b32 s12, exec_lo, s12
; %bb.15:                               ;   in Loop: Header=BB64_8 Depth=1
	v_dual_mov_b32 v7, v3 :: v_dual_mov_b32 v8, v4
	v_mov_b32_e32 v9, v5
	s_delay_alu instid0(VALU_DEP_2) | instskip(NEXT) | instid1(VALU_DEP_2)
	v_dual_mov_b32 v0, v7 :: v_dual_mov_b32 v1, v8
	v_dual_mov_b32 v2, v9 :: v_dual_mov_b32 v3, v10
; %bb.16:                               ;   in Loop: Header=BB64_8 Depth=1
	s_and_not1_saveexec_b32 s12, s12
; %bb.17:                               ;   in Loop: Header=BB64_8 Depth=1
	s_delay_alu instid0(VALU_DEP_1)
	v_dual_mov_b32 v0, v2 :: v_dual_mov_b32 v1, v3
	v_dual_mov_b32 v2, v4 :: v_dual_mov_b32 v3, v5
; %bb.18:                               ;   in Loop: Header=BB64_8 Depth=1
	s_or_b32 exec_lo, exec_lo, s12
	s_and_not1_saveexec_b32 s11, s11
	s_cbranch_execz .LBB64_10
.LBB64_19:                              ;   in Loop: Header=BB64_8 Depth=1
	s_mov_b32 s12, exec_lo
	v_cmpx_eq_u32_e32 1, v33
; %bb.20:                               ;   in Loop: Header=BB64_8 Depth=1
	v_dual_mov_b32 v0, v1 :: v_dual_mov_b32 v1, v2
	v_dual_mov_b32 v2, v3 :: v_dual_mov_b32 v3, v4
; %bb.21:                               ;   in Loop: Header=BB64_8 Depth=1
	s_or_b32 exec_lo, exec_lo, s12
	s_delay_alu instid0(SALU_CYCLE_1) | instskip(NEXT) | instid1(SALU_CYCLE_1)
	s_or_b32 exec_lo, exec_lo, s11
	s_mov_b32 s11, exec_lo
	v_cmpx_gt_i64_e64 s[4:5], v[13:14]
	s_cbranch_execnz .LBB64_11
	s_branch .LBB64_12
.LBB64_22:
	s_endpgm
.LBB64_23:
                                        ; implicit-def: $sgpr2_sgpr3
	s_branch .LBB64_4
	.section	.rodata,"a",@progbits
	.p2align	6, 0x0
	.amdhsa_kernel _ZN2at6native12_GLOBAL__N_143distribution_elementwise_grid_stride_kernelImLi2EZZZNS0_9templates4cuda32random_full_64_bits_range_kernelIPNS_17CUDAGeneratorImplEEEvRNS_18TensorIteratorBaseET_ENKUlvE_clEvENKUlvE5_clEvEUlP25hiprandStatePhilox4_32_10E_ZNS1_27distribution_nullary_kernelIfm15HIP_vector_typeIyLj2EES7_SF_ZZZNS5_IS7_EEvS9_SA_ENKSB_clEvENKSC_clEvEUlmE_EEvS9_T2_RKT3_T4_EUlimE_EEvlNS_15PhiloxCudaStateET1_SK_
		.amdhsa_group_segment_fixed_size 0
		.amdhsa_private_segment_fixed_size 0
		.amdhsa_kernarg_size 320
		.amdhsa_user_sgpr_count 15
		.amdhsa_user_sgpr_dispatch_ptr 0
		.amdhsa_user_sgpr_queue_ptr 0
		.amdhsa_user_sgpr_kernarg_segment_ptr 1
		.amdhsa_user_sgpr_dispatch_id 0
		.amdhsa_user_sgpr_private_segment_size 0
		.amdhsa_wavefront_size32 1
		.amdhsa_uses_dynamic_stack 0
		.amdhsa_enable_private_segment 0
		.amdhsa_system_sgpr_workgroup_id_x 1
		.amdhsa_system_sgpr_workgroup_id_y 0
		.amdhsa_system_sgpr_workgroup_id_z 0
		.amdhsa_system_sgpr_workgroup_info 0
		.amdhsa_system_vgpr_workitem_id 0
		.amdhsa_next_free_vgpr 42
		.amdhsa_next_free_sgpr 23
		.amdhsa_reserve_vcc 1
		.amdhsa_float_round_mode_32 0
		.amdhsa_float_round_mode_16_64 0
		.amdhsa_float_denorm_mode_32 3
		.amdhsa_float_denorm_mode_16_64 3
		.amdhsa_dx10_clamp 1
		.amdhsa_ieee_mode 1
		.amdhsa_fp16_overflow 0
		.amdhsa_workgroup_processor_mode 1
		.amdhsa_memory_ordered 1
		.amdhsa_forward_progress 0
		.amdhsa_shared_vgpr_count 0
		.amdhsa_exception_fp_ieee_invalid_op 0
		.amdhsa_exception_fp_denorm_src 0
		.amdhsa_exception_fp_ieee_div_zero 0
		.amdhsa_exception_fp_ieee_overflow 0
		.amdhsa_exception_fp_ieee_underflow 0
		.amdhsa_exception_fp_ieee_inexact 0
		.amdhsa_exception_int_div_zero 0
	.end_amdhsa_kernel
	.section	.text._ZN2at6native12_GLOBAL__N_143distribution_elementwise_grid_stride_kernelImLi2EZZZNS0_9templates4cuda32random_full_64_bits_range_kernelIPNS_17CUDAGeneratorImplEEEvRNS_18TensorIteratorBaseET_ENKUlvE_clEvENKUlvE5_clEvEUlP25hiprandStatePhilox4_32_10E_ZNS1_27distribution_nullary_kernelIfm15HIP_vector_typeIyLj2EES7_SF_ZZZNS5_IS7_EEvS9_SA_ENKSB_clEvENKSC_clEvEUlmE_EEvS9_T2_RKT3_T4_EUlimE_EEvlNS_15PhiloxCudaStateET1_SK_,"axG",@progbits,_ZN2at6native12_GLOBAL__N_143distribution_elementwise_grid_stride_kernelImLi2EZZZNS0_9templates4cuda32random_full_64_bits_range_kernelIPNS_17CUDAGeneratorImplEEEvRNS_18TensorIteratorBaseET_ENKUlvE_clEvENKUlvE5_clEvEUlP25hiprandStatePhilox4_32_10E_ZNS1_27distribution_nullary_kernelIfm15HIP_vector_typeIyLj2EES7_SF_ZZZNS5_IS7_EEvS9_SA_ENKSB_clEvENKSC_clEvEUlmE_EEvS9_T2_RKT3_T4_EUlimE_EEvlNS_15PhiloxCudaStateET1_SK_,comdat
.Lfunc_end64:
	.size	_ZN2at6native12_GLOBAL__N_143distribution_elementwise_grid_stride_kernelImLi2EZZZNS0_9templates4cuda32random_full_64_bits_range_kernelIPNS_17CUDAGeneratorImplEEEvRNS_18TensorIteratorBaseET_ENKUlvE_clEvENKUlvE5_clEvEUlP25hiprandStatePhilox4_32_10E_ZNS1_27distribution_nullary_kernelIfm15HIP_vector_typeIyLj2EES7_SF_ZZZNS5_IS7_EEvS9_SA_ENKSB_clEvENKSC_clEvEUlmE_EEvS9_T2_RKT3_T4_EUlimE_EEvlNS_15PhiloxCudaStateET1_SK_, .Lfunc_end64-_ZN2at6native12_GLOBAL__N_143distribution_elementwise_grid_stride_kernelImLi2EZZZNS0_9templates4cuda32random_full_64_bits_range_kernelIPNS_17CUDAGeneratorImplEEEvRNS_18TensorIteratorBaseET_ENKUlvE_clEvENKUlvE5_clEvEUlP25hiprandStatePhilox4_32_10E_ZNS1_27distribution_nullary_kernelIfm15HIP_vector_typeIyLj2EES7_SF_ZZZNS5_IS7_EEvS9_SA_ENKSB_clEvENKSC_clEvEUlmE_EEvS9_T2_RKT3_T4_EUlimE_EEvlNS_15PhiloxCudaStateET1_SK_
                                        ; -- End function
	.section	.AMDGPU.csdata,"",@progbits
; Kernel info:
; codeLenInByte = 2776
; NumSgprs: 25
; NumVgprs: 42
; ScratchSize: 0
; MemoryBound: 0
; FloatMode: 240
; IeeeMode: 1
; LDSByteSize: 0 bytes/workgroup (compile time only)
; SGPRBlocks: 3
; VGPRBlocks: 5
; NumSGPRsForWavesPerEU: 25
; NumVGPRsForWavesPerEU: 42
; Occupancy: 16
; WaveLimiterHint : 0
; COMPUTE_PGM_RSRC2:SCRATCH_EN: 0
; COMPUTE_PGM_RSRC2:USER_SGPR: 15
; COMPUTE_PGM_RSRC2:TRAP_HANDLER: 0
; COMPUTE_PGM_RSRC2:TGID_X_EN: 1
; COMPUTE_PGM_RSRC2:TGID_Y_EN: 0
; COMPUTE_PGM_RSRC2:TGID_Z_EN: 0
; COMPUTE_PGM_RSRC2:TIDIG_COMP_CNT: 0
	.section	.text._ZN2at6native12_GLOBAL__N_143distribution_elementwise_grid_stride_kernelImLi2EZZZNS0_9templates4cuda32random_full_64_bits_range_kernelIPNS_17CUDAGeneratorImplEEEvRNS_18TensorIteratorBaseET_ENKUlvE_clEvENKUlvE5_clEvEUlP25hiprandStatePhilox4_32_10E_ZNS1_27distribution_nullary_kernelIfm15HIP_vector_typeIyLj2EES7_SF_ZZZNS5_IS7_EEvS9_SA_ENKSB_clEvENKSC_clEvEUlmE_EEvS9_T2_RKT3_T4_EUlimE0_EEvlNS_15PhiloxCudaStateET1_SK_,"axG",@progbits,_ZN2at6native12_GLOBAL__N_143distribution_elementwise_grid_stride_kernelImLi2EZZZNS0_9templates4cuda32random_full_64_bits_range_kernelIPNS_17CUDAGeneratorImplEEEvRNS_18TensorIteratorBaseET_ENKUlvE_clEvENKUlvE5_clEvEUlP25hiprandStatePhilox4_32_10E_ZNS1_27distribution_nullary_kernelIfm15HIP_vector_typeIyLj2EES7_SF_ZZZNS5_IS7_EEvS9_SA_ENKSB_clEvENKSC_clEvEUlmE_EEvS9_T2_RKT3_T4_EUlimE0_EEvlNS_15PhiloxCudaStateET1_SK_,comdat
	.globl	_ZN2at6native12_GLOBAL__N_143distribution_elementwise_grid_stride_kernelImLi2EZZZNS0_9templates4cuda32random_full_64_bits_range_kernelIPNS_17CUDAGeneratorImplEEEvRNS_18TensorIteratorBaseET_ENKUlvE_clEvENKUlvE5_clEvEUlP25hiprandStatePhilox4_32_10E_ZNS1_27distribution_nullary_kernelIfm15HIP_vector_typeIyLj2EES7_SF_ZZZNS5_IS7_EEvS9_SA_ENKSB_clEvENKSC_clEvEUlmE_EEvS9_T2_RKT3_T4_EUlimE0_EEvlNS_15PhiloxCudaStateET1_SK_ ; -- Begin function _ZN2at6native12_GLOBAL__N_143distribution_elementwise_grid_stride_kernelImLi2EZZZNS0_9templates4cuda32random_full_64_bits_range_kernelIPNS_17CUDAGeneratorImplEEEvRNS_18TensorIteratorBaseET_ENKUlvE_clEvENKUlvE5_clEvEUlP25hiprandStatePhilox4_32_10E_ZNS1_27distribution_nullary_kernelIfm15HIP_vector_typeIyLj2EES7_SF_ZZZNS5_IS7_EEvS9_SA_ENKSB_clEvENKSC_clEvEUlmE_EEvS9_T2_RKT3_T4_EUlimE0_EEvlNS_15PhiloxCudaStateET1_SK_
	.p2align	8
	.type	_ZN2at6native12_GLOBAL__N_143distribution_elementwise_grid_stride_kernelImLi2EZZZNS0_9templates4cuda32random_full_64_bits_range_kernelIPNS_17CUDAGeneratorImplEEEvRNS_18TensorIteratorBaseET_ENKUlvE_clEvENKUlvE5_clEvEUlP25hiprandStatePhilox4_32_10E_ZNS1_27distribution_nullary_kernelIfm15HIP_vector_typeIyLj2EES7_SF_ZZZNS5_IS7_EEvS9_SA_ENKSB_clEvENKSC_clEvEUlmE_EEvS9_T2_RKT3_T4_EUlimE0_EEvlNS_15PhiloxCudaStateET1_SK_,@function
_ZN2at6native12_GLOBAL__N_143distribution_elementwise_grid_stride_kernelImLi2EZZZNS0_9templates4cuda32random_full_64_bits_range_kernelIPNS_17CUDAGeneratorImplEEEvRNS_18TensorIteratorBaseET_ENKUlvE_clEvENKUlvE5_clEvEUlP25hiprandStatePhilox4_32_10E_ZNS1_27distribution_nullary_kernelIfm15HIP_vector_typeIyLj2EES7_SF_ZZZNS5_IS7_EEvS9_SA_ENKSB_clEvENKSC_clEvEUlmE_EEvS9_T2_RKT3_T4_EUlimE0_EEvlNS_15PhiloxCudaStateET1_SK_: ; @_ZN2at6native12_GLOBAL__N_143distribution_elementwise_grid_stride_kernelImLi2EZZZNS0_9templates4cuda32random_full_64_bits_range_kernelIPNS_17CUDAGeneratorImplEEEvRNS_18TensorIteratorBaseET_ENKUlvE_clEvENKUlvE5_clEvEUlP25hiprandStatePhilox4_32_10E_ZNS1_27distribution_nullary_kernelIfm15HIP_vector_typeIyLj2EES7_SF_ZZZNS5_IS7_EEvS9_SA_ENKSB_clEvENKSC_clEvEUlmE_EEvS9_T2_RKT3_T4_EUlimE0_EEvlNS_15PhiloxCudaStateET1_SK_
; %bb.0:
	s_clause 0x2
	s_load_b64 s[4:5], s[0:1], 0x10
	s_load_b128 s[16:19], s[0:1], 0x0
	s_load_b32 s2, s[0:1], 0x20
	s_waitcnt lgkmcnt(0)
	v_dual_mov_b32 v2, s4 :: v_dual_mov_b32 v3, s5
	v_dual_mov_b32 v11, s18 :: v_dual_mov_b32 v12, s19
	s_bitcmp0_b32 s2, 0
	s_mov_b32 s2, 0
	s_cbranch_scc1 .LBB65_2
; %bb.1:
	v_dual_mov_b32 v1, s4 :: v_dual_mov_b32 v2, s5
	v_dual_mov_b32 v4, s18 :: v_dual_mov_b32 v5, s19
	s_load_b64 s[4:5], s[0:1], 0x18
	flat_load_b64 v[2:3], v[1:2]
	flat_load_b64 v[11:12], v[4:5]
	s_waitcnt vmcnt(1) lgkmcnt(0)
	v_add_co_u32 v2, vcc_lo, v2, s4
	v_add_co_ci_u32_e32 v3, vcc_lo, s5, v3, vcc_lo
.LBB65_2:
	s_clause 0x1
	s_load_b32 s3, s[0:1], 0x154
	s_load_b32 s4, s[0:1], 0x148
	s_waitcnt lgkmcnt(0)
	s_and_b32 s5, s3, 0xffff
	s_add_u32 s6, s16, -1
	s_mul_i32 s24, s4, s5
	s_addc_u32 s3, s17, -1
	s_lshl_b32 s25, s24, 1
	s_cmp_lg_u64 s[2:3], 0
	s_cbranch_scc0 .LBB65_49
; %bb.3:
	v_cvt_f32_ubyte0_e32 v1, 0
	v_cvt_f32_u32_e32 v4, s25
	s_sub_u32 s8, 0, s25
	s_subb_u32 s9, 0, 0
	s_delay_alu instid0(VALU_DEP_1) | instskip(NEXT) | instid1(VALU_DEP_1)
	v_fmamk_f32 v1, v1, 0x4f800000, v4
	v_rcp_f32_e32 v1, v1
	s_waitcnt_depctr 0xfff
	v_mul_f32_e32 v1, 0x5f7ffffc, v1
	s_delay_alu instid0(VALU_DEP_1) | instskip(NEXT) | instid1(VALU_DEP_1)
	v_mul_f32_e32 v4, 0x2f800000, v1
	v_trunc_f32_e32 v4, v4
	s_delay_alu instid0(VALU_DEP_1) | instskip(SKIP_1) | instid1(VALU_DEP_2)
	v_fmamk_f32 v1, v4, 0xcf800000, v1
	v_cvt_u32_f32_e32 v4, v4
	v_cvt_u32_f32_e32 v1, v1
	s_delay_alu instid0(VALU_DEP_2) | instskip(NEXT) | instid1(VALU_DEP_2)
	v_readfirstlane_b32 s2, v4
	v_readfirstlane_b32 s7, v1
	s_delay_alu instid0(VALU_DEP_2) | instskip(NEXT) | instid1(VALU_DEP_1)
	s_mul_i32 s10, s8, s2
	s_mul_hi_u32 s12, s8, s7
	s_mul_i32 s11, s9, s7
	s_add_i32 s10, s12, s10
	s_mul_i32 s13, s8, s7
	s_add_i32 s10, s10, s11
	s_mul_hi_u32 s12, s7, s13
	s_mul_hi_u32 s14, s2, s13
	s_mul_i32 s11, s2, s13
	s_mul_hi_u32 s13, s7, s10
	s_mul_i32 s7, s7, s10
	s_mul_hi_u32 s18, s2, s10
	s_add_u32 s7, s12, s7
	s_addc_u32 s12, 0, s13
	s_add_u32 s7, s7, s11
	s_mul_i32 s10, s2, s10
	s_addc_u32 s7, s12, s14
	s_addc_u32 s11, s18, 0
	s_add_u32 s7, s7, s10
	s_addc_u32 s10, 0, s11
	v_add_co_u32 v1, s7, v1, s7
	s_delay_alu instid0(VALU_DEP_1) | instskip(SKIP_1) | instid1(VALU_DEP_1)
	s_cmp_lg_u32 s7, 0
	s_addc_u32 s2, s2, s10
	v_readfirstlane_b32 s7, v1
	s_mul_i32 s10, s8, s2
	s_delay_alu instid0(VALU_DEP_1)
	s_mul_hi_u32 s11, s8, s7
	s_mul_i32 s9, s9, s7
	s_add_i32 s10, s11, s10
	s_mul_i32 s8, s8, s7
	s_add_i32 s10, s10, s9
	s_mul_hi_u32 s11, s2, s8
	s_mul_i32 s12, s2, s8
	s_mul_hi_u32 s8, s7, s8
	s_mul_hi_u32 s13, s7, s10
	s_mul_i32 s7, s7, s10
	s_mul_hi_u32 s9, s2, s10
	s_add_u32 s7, s8, s7
	s_addc_u32 s8, 0, s13
	s_add_u32 s7, s7, s12
	s_mul_i32 s10, s2, s10
	s_addc_u32 s7, s8, s11
	s_addc_u32 s8, s9, 0
	s_add_u32 s7, s7, s10
	s_addc_u32 s8, 0, s8
	v_add_co_u32 v1, s7, v1, s7
	s_delay_alu instid0(VALU_DEP_1) | instskip(SKIP_2) | instid1(VALU_DEP_1)
	s_cmp_lg_u32 s7, 0
	s_addc_u32 s7, s2, s8
	s_ashr_i32 s8, s3, 31
	v_readfirstlane_b32 s10, v1
	s_add_u32 s2, s6, s8
	s_mov_b32 s9, s8
	s_addc_u32 s3, s3, s8
	s_delay_alu instid0(SALU_CYCLE_1) | instskip(NEXT) | instid1(SALU_CYCLE_1)
	s_xor_b64 s[2:3], s[2:3], s[8:9]
	s_mul_i32 s12, s2, s7
	s_mul_hi_u32 s13, s2, s10
	s_mul_hi_u32 s11, s2, s7
	;; [unrolled: 1-line block ×3, first 2 shown]
	s_mul_i32 s10, s3, s10
	s_add_u32 s12, s13, s12
	s_addc_u32 s11, 0, s11
	s_mul_hi_u32 s14, s3, s7
	s_add_u32 s10, s12, s10
	s_mul_i32 s7, s3, s7
	s_addc_u32 s10, s11, s18
	s_addc_u32 s11, s14, 0
	s_add_u32 s7, s10, s7
	s_addc_u32 s10, 0, s11
	s_mul_i32 s12, s25, s7
	s_add_u32 s11, s7, 1
	v_sub_co_u32 v1, s2, s2, s12
	s_mul_hi_u32 s12, s25, s7
	s_addc_u32 s13, s10, 0
	s_mul_i32 s14, s25, s10
	s_delay_alu instid0(VALU_DEP_1)
	v_sub_co_u32 v4, s18, v1, s25
	s_add_u32 s19, s7, 2
	s_addc_u32 s20, s10, 0
	s_add_i32 s12, s12, s14
	s_cmp_lg_u32 s2, 0
	v_readfirstlane_b32 s2, v4
	s_subb_u32 s3, s3, s12
	s_cmp_lg_u32 s18, 0
	s_subb_u32 s12, s3, 0
	s_delay_alu instid0(VALU_DEP_1) | instskip(SKIP_4) | instid1(SALU_CYCLE_1)
	s_cmp_ge_u32 s2, s25
	s_cselect_b32 s2, -1, 0
	s_cmp_eq_u32 s12, 0
	v_readfirstlane_b32 s12, v1
	s_cselect_b32 s2, s2, -1
	s_cmp_lg_u32 s2, 0
	s_cselect_b32 s2, s19, s11
	s_cselect_b32 s11, s20, s13
	s_cmp_ge_u32 s12, s25
	s_cselect_b32 s12, -1, 0
	s_cmp_eq_u32 s3, 0
	s_cselect_b32 s3, s12, -1
	s_delay_alu instid0(SALU_CYCLE_1) | instskip(SKIP_2) | instid1(SALU_CYCLE_1)
	s_cmp_lg_u32 s3, 0
	s_cselect_b32 s3, s11, s10
	s_cselect_b32 s2, s2, s7
	s_xor_b64 s[2:3], s[2:3], s[8:9]
	s_delay_alu instid0(SALU_CYCLE_1)
	s_sub_u32 s2, s2, s8
	s_subb_u32 s3, s3, s8
	s_cbranch_execnz .LBB65_5
.LBB65_4:
	v_cvt_f32_u32_e32 v1, s25
	s_sub_i32 s3, 0, s25
	s_delay_alu instid0(VALU_DEP_1) | instskip(SKIP_2) | instid1(VALU_DEP_1)
	v_rcp_iflag_f32_e32 v1, v1
	s_waitcnt_depctr 0xfff
	v_mul_f32_e32 v1, 0x4f7ffffe, v1
	v_cvt_u32_f32_e32 v1, v1
	s_delay_alu instid0(VALU_DEP_1) | instskip(NEXT) | instid1(VALU_DEP_1)
	v_readfirstlane_b32 s2, v1
	s_mul_i32 s3, s3, s2
	s_delay_alu instid0(SALU_CYCLE_1) | instskip(NEXT) | instid1(SALU_CYCLE_1)
	s_mul_hi_u32 s3, s2, s3
	s_add_i32 s2, s2, s3
	s_delay_alu instid0(SALU_CYCLE_1) | instskip(NEXT) | instid1(SALU_CYCLE_1)
	s_mul_hi_u32 s2, s6, s2
	s_mul_i32 s3, s2, s25
	s_delay_alu instid0(SALU_CYCLE_1)
	s_sub_i32 s3, s6, s3
	s_add_i32 s6, s2, 1
	s_sub_i32 s7, s3, s25
	s_cmp_ge_u32 s3, s25
	s_cselect_b32 s2, s6, s2
	s_cselect_b32 s3, s7, s3
	s_add_i32 s6, s2, 1
	s_cmp_ge_u32 s3, s25
	s_mov_b32 s3, 0
	s_cselect_b32 s2, s6, s2
.LBB65_5:
	v_mov_b32_e32 v1, 0
	s_add_u32 s2, s2, 1
	s_addc_u32 s3, s3, 0
	s_mul_hi_u32 s6, s24, s2
	s_mul_i32 s3, s24, s3
	v_mad_u64_u32 v[13:14], null, s5, s15, v[0:1]
	s_mul_hi_u32 s4, s4, s5
	s_add_i32 s3, s6, s3
	s_mul_i32 s4, s4, s2
	s_mul_i32 s2, s24, s2
	s_add_i32 s3, s3, s4
	s_mov_b32 s4, exec_lo
	s_lshl_b64 s[2:3], s[2:3], 1
	s_delay_alu instid0(SALU_CYCLE_1)
	v_cmpx_gt_i64_e64 s[2:3], v[13:14]
	s_cbranch_execz .LBB65_48
; %bb.6:
	v_alignbit_b32 v17, v3, v2, 2
	v_mad_u64_u32 v[4:5], null, 0xcd9e8d57, v13, 0
	v_lshrrev_b32_e32 v18, 2, v3
	s_waitcnt vmcnt(0)
	v_dual_mov_b32 v9, v12 :: v_dual_add_nc_u32 v28, 0x8ff34781, v11
	v_mad_u64_u32 v[0:1], null, 0xd2511f53, v17, 0
	v_add_co_u32 v20, null, 0x9e3779b9, v11
	v_xor3_b32 v3, v11, v5, v18
	s_delay_alu instid0(VALU_DEP_4) | instskip(SKIP_2) | instid1(VALU_DEP_4)
	v_add_co_u32 v19, null, 0xbb67ae85, v9
	v_add_co_u32 v21, null, 0x3c6ef372, v11
	v_xor_b32_e32 v1, v1, v12
	v_mad_u64_u32 v[5:6], null, 0xd2511f53, v3, 0
	v_add_co_u32 v22, null, 0x76cf5d0a, v9
	s_delay_alu instid0(VALU_DEP_3) | instskip(SKIP_2) | instid1(VALU_DEP_3)
	v_xor_b32_e32 v1, v1, v14
	v_add_co_u32 v23, null, 0x32370b8f, v9
	v_add_co_u32 v24, null, 0xdaa66d2b, v11
	v_mad_u64_u32 v[7:8], null, 0xcd9e8d57, v1, 0
	v_xor3_b32 v3, v19, v6, v0
	v_add_co_u32 v25, null, 0x78dde6e4, v11
	v_add_co_u32 v26, null, 0xed9eba14, v9
	s_delay_alu instid0(VALU_DEP_3) | instskip(SKIP_3) | instid1(VALU_DEP_3)
	v_mad_u64_u32 v[0:1], null, 0xcd9e8d57, v3, 0
	v_xor3_b32 v6, v20, v8, v4
	v_dual_mov_b32 v38, v13 :: v_dual_and_b32 v27, 3, v2
	v_add_co_u32 v29, null, 0xa9066899, v9
	v_mad_u64_u32 v[3:4], null, 0xd2511f53, v6, 0
	v_xor3_b32 v1, v21, v1, v7
	v_add_co_u32 v30, null, 0x1715609d, v11
	v_add_co_u32 v32, null, 0xb54cda56, v11
	;; [unrolled: 1-line block ×3, first 2 shown]
	v_xor3_b32 v8, v22, v4, v5
	v_mad_u64_u32 v[4:5], null, 0xd2511f53, v1, 0
	s_load_b256 s[4:11], s[0:1], 0x30
	v_add_co_u32 v31, null, 0x5384540f, v11
	s_delay_alu instid0(VALU_DEP_3) | instskip(SKIP_1) | instid1(VALU_DEP_4)
	v_mad_u64_u32 v[6:7], null, 0xcd9e8d57, v8, 0
	v_add_co_u32 v35, null, 0x1fd5c5a3, v9
	v_xor3_b32 v3, v23, v5, v3
	v_add_co_u32 v34, null, 0xf1bbcdc8, v11
	v_add_co_u32 v36, null, 0xdb3d7428, v9
	v_xor3_b32 v5, v24, v7, v0
	s_delay_alu instid0(VALU_DEP_4)
	v_mad_u64_u32 v[0:1], null, 0xcd9e8d57, v3, 0
	s_add_u32 s12, s0, 48
	s_clause 0x1
	s_load_b64 s[14:15], s[0:1], 0xf4
	s_load_b64 s[18:19], s[0:1], 0x138
	v_mad_u64_u32 v[7:8], null, 0xd2511f53, v5, 0
	s_addc_u32 s13, s1, 0
	s_waitcnt lgkmcnt(0)
	s_add_i32 s20, s4, -1
	v_xor3_b32 v3, v25, v1, v6
	s_cmp_gt_u32 s20, 1
	v_add_nc_u32_e32 v37, 0x96a522ad, v12
	s_cselect_b32 s11, -1, 0
	v_xor3_b32 v5, v26, v8, v4
	v_mad_u64_u32 v[1:2], null, 0xd2511f53, v3, 0
	s_cmp_lg_u32 s4, 0
	v_mov_b32_e32 v39, v14
	s_delay_alu instid0(VALU_DEP_3) | instskip(SKIP_2) | instid1(VALU_DEP_3)
	v_mad_u64_u32 v[3:4], null, 0xcd9e8d57, v5, 0
	s_cselect_b32 s27, -1, 0
	s_add_u32 s0, s0, 0xf4
	v_xor3_b32 v2, v29, v2, v7
	s_addc_u32 s1, s1, 0
	s_min_u32 s21, s20, 15
	s_cmp_gt_u32 s4, 1
	s_delay_alu instid0(VALU_DEP_2) | instskip(SKIP_3) | instid1(VALU_DEP_2)
	v_xor3_b32 v0, v30, v4, v0
	v_mad_u64_u32 v[4:5], null, 0xcd9e8d57, v2, 0
	s_cselect_b32 s4, -1, 0
	s_add_i32 s21, s21, 1
	v_mad_u64_u32 v[6:7], null, 0xd2511f53, v0, 0
	s_and_b32 s28, s21, 3
	s_cmp_lg_u32 s20, 2
	s_delay_alu instid0(VALU_DEP_2) | instskip(SKIP_3) | instid1(VALU_DEP_2)
	v_xor3_b32 v2, v32, v5, v3
	s_cselect_b32 s29, -1, 0
	s_and_b32 s30, s21, 28
	s_cmp_lg_u32 s28, 0
	v_xor3_b32 v5, v33, v7, v1
	v_mad_u64_u32 v[0:1], null, 0xd2511f53, v2, 0
	s_mov_b32 s26, 0
	s_cselect_b32 s31, -1, 0
	s_delay_alu instid0(VALU_DEP_2) | instskip(NEXT) | instid1(VALU_DEP_2)
	v_mad_u64_u32 v[2:3], null, 0xcd9e8d57, v5, 0
	v_xor3_b32 v1, v35, v1, v6
	s_delay_alu instid0(VALU_DEP_2) | instskip(NEXT) | instid1(VALU_DEP_2)
	v_xor3_b32 v3, v31, v3, v4
	v_mad_u64_u32 v[4:5], null, 0xcd9e8d57, v1, 0
	s_delay_alu instid0(VALU_DEP_2) | instskip(NEXT) | instid1(VALU_DEP_2)
	v_mad_u64_u32 v[6:7], null, 0xd2511f53, v3, 0
	v_xor3_b32 v1, v34, v5, v2
	s_delay_alu instid0(VALU_DEP_2) | instskip(NEXT) | instid1(VALU_DEP_2)
	v_xor3_b32 v0, v36, v7, v0
	v_mad_u64_u32 v[7:8], null, 0xd2511f53, v1, 0
	s_delay_alu instid0(VALU_DEP_2) | instskip(NEXT) | instid1(VALU_DEP_2)
	v_mad_u64_u32 v[1:2], null, 0xcd9e8d57, v0, 0
	v_mov_b32_e32 v3, v7
	s_delay_alu instid0(VALU_DEP_2) | instskip(NEXT) | instid1(VALU_DEP_4)
	v_xor3_b32 v0, v2, v4, v28
	v_xor3_b32 v2, v8, v6, v37
	s_branch .LBB65_9
.LBB65_7:                               ;   in Loop: Header=BB65_9 Depth=1
	v_xor_b32_e32 v0, v3, v2
	v_cls_i32_e32 v1, v2
	s_delay_alu instid0(VALU_DEP_2) | instskip(NEXT) | instid1(VALU_DEP_2)
	v_ashrrev_i32_e32 v0, 31, v0
	v_dual_mov_b32 v1, v3 :: v_dual_add_nc_u32 v8, -1, v1
	s_delay_alu instid0(VALU_DEP_2) | instskip(NEXT) | instid1(VALU_DEP_1)
	v_add_nc_u32_e32 v0, 32, v0
	v_min_u32_e32 v3, v8, v0
	s_delay_alu instid0(VALU_DEP_1) | instskip(NEXT) | instid1(VALU_DEP_1)
	v_lshlrev_b64 v[0:1], v3, v[1:2]
	v_min_u32_e32 v0, 1, v0
	s_delay_alu instid0(VALU_DEP_1) | instskip(SKIP_1) | instid1(VALU_DEP_2)
	v_or_b32_e32 v0, v1, v0
	v_sub_nc_u32_e32 v1, 32, v3
	v_cvt_f32_i32_e32 v0, v0
	s_delay_alu instid0(VALU_DEP_1)
	v_ldexp_f32 v0, v0, v1
	global_store_b32 v7, v0, s[18:19]
.LBB65_8:                               ;   in Loop: Header=BB65_9 Depth=1
	s_or_b32 exec_lo, exec_lo, s33
	v_add_co_u32 v13, vcc_lo, v13, s25
	v_add_co_ci_u32_e32 v14, vcc_lo, 0, v14, vcc_lo
	v_mov_b32_e32 v7, v15
	v_dual_mov_b32 v0, v4 :: v_dual_mov_b32 v1, v5
	s_delay_alu instid0(VALU_DEP_3) | instskip(NEXT) | instid1(VALU_DEP_3)
	v_cmp_le_i64_e32 vcc_lo, s[2:3], v[13:14]
	v_dual_mov_b32 v2, v6 :: v_dual_mov_b32 v3, v7
	s_waitcnt_vscnt null, 0x0
	s_barrier
	buffer_gl0_inv
	s_or_b32 s26, vcc_lo, s26
	s_delay_alu instid0(SALU_CYCLE_1)
	s_and_not1_b32 exec_lo, exec_lo, s26
	s_cbranch_execz .LBB65_48
.LBB65_9:                               ; =>This Loop Header: Depth=1
                                        ;     Child Loop BB65_24 Depth 2
                                        ;     Child Loop BB65_29 Depth 2
	;; [unrolled: 1-line block ×4, first 2 shown]
	v_add_co_u32 v17, vcc_lo, v17, 1
	s_delay_alu instid0(VALU_DEP_1) | instskip(SKIP_2) | instid1(VALU_DEP_1)
	v_cndmask_b32_e64 v4, 0, 1, vcc_lo
	v_add_co_ci_u32_e32 v18, vcc_lo, 0, v18, vcc_lo
	s_mov_b32 s20, exec_lo
	v_cmp_eq_u32_e32 vcc_lo, 0, v18
	s_delay_alu instid0(VALU_DEP_3) | instskip(NEXT) | instid1(VALU_DEP_1)
	v_cndmask_b32_e32 v4, 0, v4, vcc_lo
	v_add_nc_u32_e32 v38, v4, v38
	s_delay_alu instid0(VALU_DEP_1) | instskip(SKIP_2) | instid1(VALU_DEP_2)
	v_cmp_eq_u32_e32 vcc_lo, 0, v38
	v_mad_u64_u32 v[6:7], null, 0xcd9e8d57, v38, 0
	v_cndmask_b32_e32 v4, 0, v4, vcc_lo
	v_xor3_b32 v9, v7, v11, v18
	s_delay_alu instid0(VALU_DEP_2) | instskip(SKIP_1) | instid1(VALU_DEP_3)
	v_add_nc_u32_e32 v39, v4, v39
	v_mad_u64_u32 v[4:5], null, 0xd2511f53, v17, 0
	v_mad_u64_u32 v[7:8], null, 0xd2511f53, v9, 0
	s_delay_alu instid0(VALU_DEP_2) | instskip(NEXT) | instid1(VALU_DEP_2)
	v_xor_b32_e32 v5, v5, v12
	v_xor3_b32 v8, v19, v8, v4
	s_delay_alu instid0(VALU_DEP_2) | instskip(NEXT) | instid1(VALU_DEP_1)
	v_xor_b32_e32 v5, v39, v5
	v_mad_u64_u32 v[9:10], null, 0xcd9e8d57, v5, 0
	s_delay_alu instid0(VALU_DEP_3) | instskip(NEXT) | instid1(VALU_DEP_2)
	v_mad_u64_u32 v[4:5], null, 0xcd9e8d57, v8, 0
	v_xor3_b32 v6, v20, v10, v6
	s_delay_alu instid0(VALU_DEP_2) | instskip(NEXT) | instid1(VALU_DEP_2)
	v_xor3_b32 v8, v21, v5, v9
	v_mad_u64_u32 v[15:16], null, 0xd2511f53, v6, 0
	s_delay_alu instid0(VALU_DEP_2) | instskip(NEXT) | instid1(VALU_DEP_2)
	v_mad_u64_u32 v[5:6], null, 0xd2511f53, v8, 0
	v_xor3_b32 v9, v22, v16, v7
	s_delay_alu instid0(VALU_DEP_2) | instskip(NEXT) | instid1(VALU_DEP_2)
	v_xor3_b32 v6, v23, v6, v15
	v_mad_u64_u32 v[7:8], null, 0xcd9e8d57, v9, 0
	s_delay_alu instid0(VALU_DEP_1) | instskip(NEXT) | instid1(VALU_DEP_3)
	v_xor3_b32 v4, v24, v8, v4
	v_mad_u64_u32 v[8:9], null, 0xcd9e8d57, v6, 0
	s_delay_alu instid0(VALU_DEP_2) | instskip(NEXT) | instid1(VALU_DEP_2)
	v_mad_u64_u32 v[15:16], null, 0xd2511f53, v4, 0
	v_xor3_b32 v6, v25, v9, v7
	s_delay_alu instid0(VALU_DEP_2) | instskip(NEXT) | instid1(VALU_DEP_2)
	v_xor3_b32 v9, v26, v16, v5
	v_mad_u64_u32 v[4:5], null, 0xd2511f53, v6, 0
	s_delay_alu instid0(VALU_DEP_2) | instskip(NEXT) | instid1(VALU_DEP_2)
	v_mad_u64_u32 v[6:7], null, 0xcd9e8d57, v9, 0
	v_xor3_b32 v5, v29, v5, v15
	s_delay_alu instid0(VALU_DEP_2) | instskip(NEXT) | instid1(VALU_DEP_2)
	;; [unrolled: 6-line block ×6, first 2 shown]
	v_xor3_b32 v4, v6, v7, v28
	v_mov_b32_e32 v6, v10
	v_cmpx_lt_i32_e32 1, v27
	s_xor_b32 s20, exec_lo, s20
	s_cbranch_execnz .LBB65_12
; %bb.10:                               ;   in Loop: Header=BB65_9 Depth=1
	s_and_not1_saveexec_b32 s20, s20
	s_cbranch_execnz .LBB65_17
.LBB65_11:                              ;   in Loop: Header=BB65_9 Depth=1
	s_or_b32 exec_lo, exec_lo, s20
	s_delay_alu instid0(SALU_CYCLE_1)
	s_mov_b32 s33, exec_lo
	v_cmpx_gt_i64_e64 s[16:17], v[13:14]
	s_cbranch_execnz .LBB65_20
	s_branch .LBB65_34
.LBB65_12:                              ;   in Loop: Header=BB65_9 Depth=1
	s_mov_b32 s21, exec_lo
	v_cmpx_lt_i32_e32 2, v27
	s_xor_b32 s21, exec_lo, s21
; %bb.13:                               ;   in Loop: Header=BB65_9 Depth=1
	v_dual_mov_b32 v7, v3 :: v_dual_mov_b32 v8, v4
	v_mov_b32_e32 v9, v5
	s_delay_alu instid0(VALU_DEP_2) | instskip(NEXT) | instid1(VALU_DEP_2)
	v_dual_mov_b32 v0, v7 :: v_dual_mov_b32 v1, v8
	v_dual_mov_b32 v2, v9 :: v_dual_mov_b32 v3, v10
; %bb.14:                               ;   in Loop: Header=BB65_9 Depth=1
	s_and_not1_saveexec_b32 s21, s21
; %bb.15:                               ;   in Loop: Header=BB65_9 Depth=1
	s_delay_alu instid0(VALU_DEP_1)
	v_dual_mov_b32 v0, v2 :: v_dual_mov_b32 v1, v3
	v_dual_mov_b32 v2, v4 :: v_dual_mov_b32 v3, v5
; %bb.16:                               ;   in Loop: Header=BB65_9 Depth=1
	s_or_b32 exec_lo, exec_lo, s21
	s_and_not1_saveexec_b32 s20, s20
	s_cbranch_execz .LBB65_11
.LBB65_17:                              ;   in Loop: Header=BB65_9 Depth=1
	s_mov_b32 s21, exec_lo
	v_cmpx_eq_u32_e32 1, v27
; %bb.18:                               ;   in Loop: Header=BB65_9 Depth=1
	v_dual_mov_b32 v0, v1 :: v_dual_mov_b32 v1, v2
	v_dual_mov_b32 v2, v3 :: v_dual_mov_b32 v3, v4
; %bb.19:                               ;   in Loop: Header=BB65_9 Depth=1
	s_or_b32 exec_lo, exec_lo, s21
	s_delay_alu instid0(SALU_CYCLE_1) | instskip(NEXT) | instid1(SALU_CYCLE_1)
	s_or_b32 exec_lo, exec_lo, s20
	s_mov_b32 s33, exec_lo
	v_cmpx_gt_i64_e64 s[16:17], v[13:14]
	s_cbranch_execz .LBB65_34
.LBB65_20:                              ;   in Loop: Header=BB65_9 Depth=1
	s_and_not1_b32 vcc_lo, exec_lo, s11
	s_cbranch_vccnz .LBB65_26
; %bb.21:                               ;   in Loop: Header=BB65_9 Depth=1
	v_mov_b32_e32 v7, 0
	s_and_not1_b32 vcc_lo, exec_lo, s27
	s_cbranch_vccnz .LBB65_30
; %bb.22:                               ;   in Loop: Header=BB65_9 Depth=1
	s_and_not1_b32 vcc_lo, exec_lo, s29
	s_mov_b32 s20, 0
	s_cbranch_vccnz .LBB65_27
; %bb.23:                               ;   in Loop: Header=BB65_9 Depth=1
	v_dual_mov_b32 v7, 0 :: v_dual_mov_b32 v8, v13
	s_mov_b32 s34, 0
	s_mov_b64 s[20:21], s[12:13]
	s_mov_b64 s[22:23], s[0:1]
.LBB65_24:                              ;   Parent Loop BB65_9 Depth=1
                                        ; =>  This Inner Loop Header: Depth=2
	s_clause 0x1
	s_load_b256 s[36:43], s[20:21], 0x4
	s_load_b128 s[44:47], s[20:21], 0x24
	s_load_b128 s[48:51], s[22:23], 0x0
	s_add_u32 s20, s20, 48
	s_addc_u32 s21, s21, 0
	s_add_i32 s34, s34, 4
	s_add_u32 s22, s22, 16
	s_addc_u32 s23, s23, 0
	s_cmp_lg_u32 s30, s34
	s_waitcnt lgkmcnt(0)
	v_mul_hi_u32 v9, s37, v8
	s_delay_alu instid0(VALU_DEP_1) | instskip(NEXT) | instid1(VALU_DEP_1)
	v_add_nc_u32_e32 v9, v8, v9
	v_lshrrev_b32_e32 v9, s38, v9
	s_delay_alu instid0(VALU_DEP_1) | instskip(SKIP_1) | instid1(VALU_DEP_2)
	v_mul_hi_u32 v10, s40, v9
	v_mul_lo_u32 v41, v9, s36
	v_add_nc_u32_e32 v10, v9, v10
	s_delay_alu instid0(VALU_DEP_2) | instskip(NEXT) | instid1(VALU_DEP_2)
	v_sub_nc_u32_e32 v41, v8, v41
	v_lshrrev_b32_e32 v10, s41, v10
	s_delay_alu instid0(VALU_DEP_2) | instskip(NEXT) | instid1(VALU_DEP_2)
	v_mul_lo_u32 v41, v41, s48
	v_mul_hi_u32 v16, s43, v10
	v_mul_lo_u32 v42, v10, s39
	s_delay_alu instid0(VALU_DEP_2) | instskip(NEXT) | instid1(VALU_DEP_2)
	v_add_nc_u32_e32 v16, v10, v16
	v_sub_nc_u32_e32 v9, v9, v42
	s_delay_alu instid0(VALU_DEP_2) | instskip(NEXT) | instid1(VALU_DEP_2)
	v_lshrrev_b32_e32 v16, s44, v16
	v_mul_lo_u32 v9, v9, s49
	s_delay_alu instid0(VALU_DEP_2) | instskip(NEXT) | instid1(VALU_DEP_2)
	v_mul_hi_u32 v40, s46, v16
	v_add3_u32 v7, v41, v7, v9
	s_delay_alu instid0(VALU_DEP_2) | instskip(NEXT) | instid1(VALU_DEP_1)
	v_add_nc_u32_e32 v40, v16, v40
	v_lshrrev_b32_e32 v8, s47, v40
	v_mul_lo_u32 v40, v16, s42
	s_delay_alu instid0(VALU_DEP_2) | instskip(NEXT) | instid1(VALU_DEP_2)
	v_mul_lo_u32 v43, v8, s45
	v_sub_nc_u32_e32 v10, v10, v40
	s_delay_alu instid0(VALU_DEP_2) | instskip(NEXT) | instid1(VALU_DEP_2)
	v_sub_nc_u32_e32 v16, v16, v43
	v_mul_lo_u32 v10, v10, s50
	s_delay_alu instid0(VALU_DEP_2) | instskip(NEXT) | instid1(VALU_DEP_1)
	v_mul_lo_u32 v16, v16, s51
	v_add3_u32 v7, v10, v7, v16
	s_cbranch_scc1 .LBB65_24
; %bb.25:                               ;   in Loop: Header=BB65_9 Depth=1
	s_mov_b32 s20, s30
	s_and_not1_b32 vcc_lo, exec_lo, s31
	s_cbranch_vccz .LBB65_28
	s_branch .LBB65_30
.LBB65_26:                              ;   in Loop: Header=BB65_9 Depth=1
                                        ; implicit-def: $vgpr7
	s_branch .LBB65_31
.LBB65_27:                              ;   in Loop: Header=BB65_9 Depth=1
	v_mov_b32_e32 v8, v13
	s_and_not1_b32 vcc_lo, exec_lo, s31
	s_cbranch_vccnz .LBB65_30
.LBB65_28:                              ;   in Loop: Header=BB65_9 Depth=1
	s_lshl_b32 s21, s20, 2
	s_mul_i32 s22, s20, 12
	s_add_u32 s20, s0, s21
	s_addc_u32 s21, s1, 0
	s_add_u32 s22, s12, s22
	s_addc_u32 s23, s13, 0
	s_mov_b32 s34, s28
	.p2align	6
.LBB65_29:                              ;   Parent Loop BB65_9 Depth=1
                                        ; =>  This Inner Loop Header: Depth=2
	s_clause 0x1
	s_load_b64 s[36:37], s[22:23], 0x4
	s_load_b32 s35, s[22:23], 0xc
	s_add_u32 s22, s22, 12
	s_addc_u32 s23, s23, 0
	s_waitcnt lgkmcnt(0)
	v_mul_hi_u32 v9, s37, v8
	s_load_b32 s37, s[20:21], 0x0
	s_add_u32 s20, s20, 4
	s_addc_u32 s21, s21, 0
	s_add_i32 s34, s34, -1
	s_delay_alu instid0(SALU_CYCLE_1) | instskip(NEXT) | instid1(VALU_DEP_1)
	s_cmp_lg_u32 s34, 0
	v_add_nc_u32_e32 v9, v8, v9
	s_delay_alu instid0(VALU_DEP_1) | instskip(NEXT) | instid1(VALU_DEP_1)
	v_lshrrev_b32_e32 v16, s35, v9
	v_mul_lo_u32 v9, v16, s36
	s_delay_alu instid0(VALU_DEP_1) | instskip(SKIP_1) | instid1(VALU_DEP_1)
	v_sub_nc_u32_e32 v8, v8, v9
	s_waitcnt lgkmcnt(0)
	v_mad_u64_u32 v[9:10], null, v8, s37, v[7:8]
	s_delay_alu instid0(VALU_DEP_1)
	v_dual_mov_b32 v8, v16 :: v_dual_mov_b32 v7, v9
	s_cbranch_scc1 .LBB65_29
.LBB65_30:                              ;   in Loop: Header=BB65_9 Depth=1
	s_cbranch_execnz .LBB65_33
.LBB65_31:                              ;   in Loop: Header=BB65_9 Depth=1
	v_mul_hi_u32 v7, v13, s6
	s_and_not1_b32 vcc_lo, exec_lo, s4
	s_delay_alu instid0(VALU_DEP_1) | instskip(NEXT) | instid1(VALU_DEP_1)
	v_add_nc_u32_e32 v7, v7, v13
	v_lshrrev_b32_e32 v8, s7, v7
	s_delay_alu instid0(VALU_DEP_1) | instskip(NEXT) | instid1(VALU_DEP_1)
	v_mul_lo_u32 v7, v8, s5
	v_sub_nc_u32_e32 v7, v13, v7
	s_delay_alu instid0(VALU_DEP_1)
	v_mul_lo_u32 v7, v7, s14
	s_cbranch_vccnz .LBB65_33
; %bb.32:                               ;   in Loop: Header=BB65_9 Depth=1
	v_mul_hi_u32 v9, s9, v8
	s_delay_alu instid0(VALU_DEP_1) | instskip(NEXT) | instid1(VALU_DEP_1)
	v_add_nc_u32_e32 v9, v8, v9
	v_lshrrev_b32_e32 v9, s10, v9
	s_delay_alu instid0(VALU_DEP_1) | instskip(NEXT) | instid1(VALU_DEP_1)
	v_mul_lo_u32 v9, v9, s8
	v_sub_nc_u32_e32 v10, v8, v9
	s_delay_alu instid0(VALU_DEP_1) | instskip(NEXT) | instid1(VALU_DEP_1)
	v_mad_u64_u32 v[8:9], null, v10, s15, v[7:8]
	v_mov_b32_e32 v7, v8
.LBB65_33:                              ;   in Loop: Header=BB65_9 Depth=1
	v_xor_b32_e32 v8, v1, v0
	v_cls_i32_e32 v9, v0
	s_delay_alu instid0(VALU_DEP_2) | instskip(NEXT) | instid1(VALU_DEP_2)
	v_ashrrev_i32_e32 v8, 31, v8
	v_dual_mov_b32 v9, v0 :: v_dual_add_nc_u32 v10, -1, v9
	s_delay_alu instid0(VALU_DEP_2) | instskip(SKIP_1) | instid1(VALU_DEP_2)
	v_add_nc_u32_e32 v16, 32, v8
	v_mov_b32_e32 v8, v1
	v_min_u32_e32 v10, v10, v16
	s_delay_alu instid0(VALU_DEP_1) | instskip(NEXT) | instid1(VALU_DEP_1)
	v_lshlrev_b64 v[0:1], v10, v[8:9]
	v_min_u32_e32 v0, 1, v0
	s_delay_alu instid0(VALU_DEP_1) | instskip(SKIP_1) | instid1(VALU_DEP_2)
	v_or_b32_e32 v0, v1, v0
	v_sub_nc_u32_e32 v1, 32, v10
	v_cvt_f32_i32_e32 v0, v0
	s_delay_alu instid0(VALU_DEP_1)
	v_ldexp_f32 v0, v0, v1
	global_store_b32 v7, v0, s[18:19]
.LBB65_34:                              ;   in Loop: Header=BB65_9 Depth=1
	s_or_b32 exec_lo, exec_lo, s33
	v_add_co_u32 v0, vcc_lo, v13, s24
	v_add_co_ci_u32_e32 v1, vcc_lo, 0, v14, vcc_lo
	s_mov_b32 s33, exec_lo
	s_delay_alu instid0(VALU_DEP_1)
	v_cmpx_gt_i64_e64 s[16:17], v[0:1]
	s_cbranch_execz .LBB65_8
; %bb.35:                               ;   in Loop: Header=BB65_9 Depth=1
	s_and_not1_b32 vcc_lo, exec_lo, s11
	s_cbranch_vccnz .LBB65_41
; %bb.36:                               ;   in Loop: Header=BB65_9 Depth=1
	v_mov_b32_e32 v7, 0
	s_and_not1_b32 vcc_lo, exec_lo, s27
	s_cbranch_vccnz .LBB65_45
; %bb.37:                               ;   in Loop: Header=BB65_9 Depth=1
	s_and_not1_b32 vcc_lo, exec_lo, s29
	s_mov_b32 s20, 0
	s_cbranch_vccnz .LBB65_42
; %bb.38:                               ;   in Loop: Header=BB65_9 Depth=1
	v_mov_b32_e32 v7, 0
	v_mov_b32_e32 v1, v0
	s_mov_b32 s34, 0
	s_mov_b64 s[20:21], s[12:13]
	s_mov_b64 s[22:23], s[0:1]
.LBB65_39:                              ;   Parent Loop BB65_9 Depth=1
                                        ; =>  This Inner Loop Header: Depth=2
	s_clause 0x1
	s_load_b256 s[36:43], s[20:21], 0x4
	s_load_b128 s[44:47], s[20:21], 0x24
	s_load_b128 s[48:51], s[22:23], 0x0
	s_add_u32 s20, s20, 48
	s_addc_u32 s21, s21, 0
	s_add_i32 s34, s34, 4
	s_add_u32 s22, s22, 16
	s_addc_u32 s23, s23, 0
	s_cmp_eq_u32 s30, s34
	s_waitcnt lgkmcnt(0)
	v_mul_hi_u32 v8, s37, v1
	s_delay_alu instid0(VALU_DEP_1) | instskip(NEXT) | instid1(VALU_DEP_1)
	v_add_nc_u32_e32 v8, v1, v8
	v_lshrrev_b32_e32 v8, s38, v8
	s_delay_alu instid0(VALU_DEP_1) | instskip(SKIP_1) | instid1(VALU_DEP_2)
	v_mul_hi_u32 v9, s40, v8
	v_mul_lo_u32 v40, v8, s36
	v_add_nc_u32_e32 v9, v8, v9
	s_delay_alu instid0(VALU_DEP_2) | instskip(NEXT) | instid1(VALU_DEP_2)
	v_sub_nc_u32_e32 v40, v1, v40
	v_lshrrev_b32_e32 v9, s41, v9
	s_delay_alu instid0(VALU_DEP_2) | instskip(NEXT) | instid1(VALU_DEP_2)
	v_mul_lo_u32 v40, v40, s48
	v_mul_hi_u32 v10, s43, v9
	v_mul_lo_u32 v41, v9, s39
	s_delay_alu instid0(VALU_DEP_2) | instskip(NEXT) | instid1(VALU_DEP_2)
	v_add_nc_u32_e32 v10, v9, v10
	v_sub_nc_u32_e32 v8, v8, v41
	s_delay_alu instid0(VALU_DEP_2) | instskip(NEXT) | instid1(VALU_DEP_2)
	v_lshrrev_b32_e32 v10, s44, v10
	v_mul_lo_u32 v8, v8, s49
	s_delay_alu instid0(VALU_DEP_2) | instskip(NEXT) | instid1(VALU_DEP_2)
	v_mul_hi_u32 v16, s46, v10
	v_add3_u32 v7, v40, v7, v8
	s_delay_alu instid0(VALU_DEP_2) | instskip(NEXT) | instid1(VALU_DEP_1)
	v_add_nc_u32_e32 v16, v10, v16
	v_lshrrev_b32_e32 v1, s47, v16
	v_mul_lo_u32 v16, v10, s42
	s_delay_alu instid0(VALU_DEP_2) | instskip(NEXT) | instid1(VALU_DEP_2)
	v_mul_lo_u32 v42, v1, s45
	v_sub_nc_u32_e32 v9, v9, v16
	s_delay_alu instid0(VALU_DEP_2) | instskip(NEXT) | instid1(VALU_DEP_2)
	v_sub_nc_u32_e32 v10, v10, v42
	v_mul_lo_u32 v9, v9, s50
	s_delay_alu instid0(VALU_DEP_2) | instskip(NEXT) | instid1(VALU_DEP_1)
	v_mul_lo_u32 v10, v10, s51
	v_add3_u32 v7, v9, v7, v10
	s_cbranch_scc0 .LBB65_39
; %bb.40:                               ;   in Loop: Header=BB65_9 Depth=1
	s_mov_b32 s20, s30
	s_and_not1_b32 vcc_lo, exec_lo, s31
	s_cbranch_vccz .LBB65_43
	s_branch .LBB65_45
.LBB65_41:                              ;   in Loop: Header=BB65_9 Depth=1
                                        ; implicit-def: $vgpr7
	s_branch .LBB65_46
.LBB65_42:                              ;   in Loop: Header=BB65_9 Depth=1
	v_mov_b32_e32 v1, v0
	s_and_not1_b32 vcc_lo, exec_lo, s31
	s_cbranch_vccnz .LBB65_45
.LBB65_43:                              ;   in Loop: Header=BB65_9 Depth=1
	s_lshl_b32 s21, s20, 2
	s_mul_i32 s22, s20, 12
	s_add_u32 s20, s0, s21
	s_addc_u32 s21, s1, 0
	s_add_u32 s22, s12, s22
	s_addc_u32 s23, s13, 0
	s_mov_b32 s34, s28
	.p2align	6
.LBB65_44:                              ;   Parent Loop BB65_9 Depth=1
                                        ; =>  This Inner Loop Header: Depth=2
	s_clause 0x1
	s_load_b64 s[36:37], s[22:23], 0x4
	s_load_b32 s35, s[22:23], 0xc
	s_add_u32 s22, s22, 12
	s_addc_u32 s23, s23, 0
	s_waitcnt lgkmcnt(0)
	v_mul_hi_u32 v8, s37, v1
	s_load_b32 s37, s[20:21], 0x0
	s_add_u32 s20, s20, 4
	s_addc_u32 s21, s21, 0
	s_add_i32 s34, s34, -1
	s_delay_alu instid0(SALU_CYCLE_1) | instskip(NEXT) | instid1(VALU_DEP_1)
	s_cmp_lg_u32 s34, 0
	v_add_nc_u32_e32 v8, v1, v8
	s_delay_alu instid0(VALU_DEP_1) | instskip(NEXT) | instid1(VALU_DEP_1)
	v_lshrrev_b32_e32 v10, s35, v8
	v_mul_lo_u32 v8, v10, s36
	s_delay_alu instid0(VALU_DEP_1) | instskip(SKIP_1) | instid1(VALU_DEP_1)
	v_sub_nc_u32_e32 v1, v1, v8
	s_waitcnt lgkmcnt(0)
	v_mad_u64_u32 v[8:9], null, v1, s37, v[7:8]
	v_mov_b32_e32 v1, v10
	s_delay_alu instid0(VALU_DEP_2)
	v_mov_b32_e32 v7, v8
	s_cbranch_scc1 .LBB65_44
.LBB65_45:                              ;   in Loop: Header=BB65_9 Depth=1
	s_cbranch_execnz .LBB65_7
.LBB65_46:                              ;   in Loop: Header=BB65_9 Depth=1
	v_mul_hi_u32 v1, v0, s6
	s_and_not1_b32 vcc_lo, exec_lo, s4
	s_delay_alu instid0(VALU_DEP_1) | instskip(NEXT) | instid1(VALU_DEP_1)
	v_add_nc_u32_e32 v1, v1, v0
	v_lshrrev_b32_e32 v1, s7, v1
	s_delay_alu instid0(VALU_DEP_1) | instskip(NEXT) | instid1(VALU_DEP_1)
	v_mul_lo_u32 v7, v1, s5
	v_sub_nc_u32_e32 v0, v0, v7
	s_delay_alu instid0(VALU_DEP_1)
	v_mul_lo_u32 v7, v0, s14
	s_cbranch_vccnz .LBB65_7
; %bb.47:                               ;   in Loop: Header=BB65_9 Depth=1
	v_mul_hi_u32 v0, s9, v1
	s_delay_alu instid0(VALU_DEP_1) | instskip(NEXT) | instid1(VALU_DEP_1)
	v_add_nc_u32_e32 v0, v1, v0
	v_lshrrev_b32_e32 v0, s10, v0
	s_delay_alu instid0(VALU_DEP_1) | instskip(NEXT) | instid1(VALU_DEP_1)
	v_mul_lo_u32 v0, v0, s8
	v_sub_nc_u32_e32 v8, v1, v0
	s_delay_alu instid0(VALU_DEP_1) | instskip(NEXT) | instid1(VALU_DEP_1)
	v_mad_u64_u32 v[0:1], null, v8, s15, v[7:8]
	v_mov_b32_e32 v7, v0
	s_branch .LBB65_7
.LBB65_48:
	s_endpgm
.LBB65_49:
                                        ; implicit-def: $sgpr2_sgpr3
	s_branch .LBB65_4
	.section	.rodata,"a",@progbits
	.p2align	6, 0x0
	.amdhsa_kernel _ZN2at6native12_GLOBAL__N_143distribution_elementwise_grid_stride_kernelImLi2EZZZNS0_9templates4cuda32random_full_64_bits_range_kernelIPNS_17CUDAGeneratorImplEEEvRNS_18TensorIteratorBaseET_ENKUlvE_clEvENKUlvE5_clEvEUlP25hiprandStatePhilox4_32_10E_ZNS1_27distribution_nullary_kernelIfm15HIP_vector_typeIyLj2EES7_SF_ZZZNS5_IS7_EEvS9_SA_ENKSB_clEvENKSC_clEvEUlmE_EEvS9_T2_RKT3_T4_EUlimE0_EEvlNS_15PhiloxCudaStateET1_SK_
		.amdhsa_group_segment_fixed_size 0
		.amdhsa_private_segment_fixed_size 0
		.amdhsa_kernarg_size 584
		.amdhsa_user_sgpr_count 15
		.amdhsa_user_sgpr_dispatch_ptr 0
		.amdhsa_user_sgpr_queue_ptr 0
		.amdhsa_user_sgpr_kernarg_segment_ptr 1
		.amdhsa_user_sgpr_dispatch_id 0
		.amdhsa_user_sgpr_private_segment_size 0
		.amdhsa_wavefront_size32 1
		.amdhsa_uses_dynamic_stack 0
		.amdhsa_enable_private_segment 0
		.amdhsa_system_sgpr_workgroup_id_x 1
		.amdhsa_system_sgpr_workgroup_id_y 0
		.amdhsa_system_sgpr_workgroup_id_z 0
		.amdhsa_system_sgpr_workgroup_info 0
		.amdhsa_system_vgpr_workitem_id 0
		.amdhsa_next_free_vgpr 44
		.amdhsa_next_free_sgpr 52
		.amdhsa_reserve_vcc 1
		.amdhsa_float_round_mode_32 0
		.amdhsa_float_round_mode_16_64 0
		.amdhsa_float_denorm_mode_32 3
		.amdhsa_float_denorm_mode_16_64 3
		.amdhsa_dx10_clamp 1
		.amdhsa_ieee_mode 1
		.amdhsa_fp16_overflow 0
		.amdhsa_workgroup_processor_mode 1
		.amdhsa_memory_ordered 1
		.amdhsa_forward_progress 0
		.amdhsa_shared_vgpr_count 0
		.amdhsa_exception_fp_ieee_invalid_op 0
		.amdhsa_exception_fp_denorm_src 0
		.amdhsa_exception_fp_ieee_div_zero 0
		.amdhsa_exception_fp_ieee_overflow 0
		.amdhsa_exception_fp_ieee_underflow 0
		.amdhsa_exception_fp_ieee_inexact 0
		.amdhsa_exception_int_div_zero 0
	.end_amdhsa_kernel
	.section	.text._ZN2at6native12_GLOBAL__N_143distribution_elementwise_grid_stride_kernelImLi2EZZZNS0_9templates4cuda32random_full_64_bits_range_kernelIPNS_17CUDAGeneratorImplEEEvRNS_18TensorIteratorBaseET_ENKUlvE_clEvENKUlvE5_clEvEUlP25hiprandStatePhilox4_32_10E_ZNS1_27distribution_nullary_kernelIfm15HIP_vector_typeIyLj2EES7_SF_ZZZNS5_IS7_EEvS9_SA_ENKSB_clEvENKSC_clEvEUlmE_EEvS9_T2_RKT3_T4_EUlimE0_EEvlNS_15PhiloxCudaStateET1_SK_,"axG",@progbits,_ZN2at6native12_GLOBAL__N_143distribution_elementwise_grid_stride_kernelImLi2EZZZNS0_9templates4cuda32random_full_64_bits_range_kernelIPNS_17CUDAGeneratorImplEEEvRNS_18TensorIteratorBaseET_ENKUlvE_clEvENKUlvE5_clEvEUlP25hiprandStatePhilox4_32_10E_ZNS1_27distribution_nullary_kernelIfm15HIP_vector_typeIyLj2EES7_SF_ZZZNS5_IS7_EEvS9_SA_ENKSB_clEvENKSC_clEvEUlmE_EEvS9_T2_RKT3_T4_EUlimE0_EEvlNS_15PhiloxCudaStateET1_SK_,comdat
.Lfunc_end65:
	.size	_ZN2at6native12_GLOBAL__N_143distribution_elementwise_grid_stride_kernelImLi2EZZZNS0_9templates4cuda32random_full_64_bits_range_kernelIPNS_17CUDAGeneratorImplEEEvRNS_18TensorIteratorBaseET_ENKUlvE_clEvENKUlvE5_clEvEUlP25hiprandStatePhilox4_32_10E_ZNS1_27distribution_nullary_kernelIfm15HIP_vector_typeIyLj2EES7_SF_ZZZNS5_IS7_EEvS9_SA_ENKSB_clEvENKSC_clEvEUlmE_EEvS9_T2_RKT3_T4_EUlimE0_EEvlNS_15PhiloxCudaStateET1_SK_, .Lfunc_end65-_ZN2at6native12_GLOBAL__N_143distribution_elementwise_grid_stride_kernelImLi2EZZZNS0_9templates4cuda32random_full_64_bits_range_kernelIPNS_17CUDAGeneratorImplEEEvRNS_18TensorIteratorBaseET_ENKUlvE_clEvENKUlvE5_clEvEUlP25hiprandStatePhilox4_32_10E_ZNS1_27distribution_nullary_kernelIfm15HIP_vector_typeIyLj2EES7_SF_ZZZNS5_IS7_EEvS9_SA_ENKSB_clEvENKSC_clEvEUlmE_EEvS9_T2_RKT3_T4_EUlimE0_EEvlNS_15PhiloxCudaStateET1_SK_
                                        ; -- End function
	.section	.AMDGPU.csdata,"",@progbits
; Kernel info:
; codeLenInByte = 3976
; NumSgprs: 54
; NumVgprs: 44
; ScratchSize: 0
; MemoryBound: 0
; FloatMode: 240
; IeeeMode: 1
; LDSByteSize: 0 bytes/workgroup (compile time only)
; SGPRBlocks: 6
; VGPRBlocks: 5
; NumSGPRsForWavesPerEU: 54
; NumVGPRsForWavesPerEU: 44
; Occupancy: 16
; WaveLimiterHint : 1
; COMPUTE_PGM_RSRC2:SCRATCH_EN: 0
; COMPUTE_PGM_RSRC2:USER_SGPR: 15
; COMPUTE_PGM_RSRC2:TRAP_HANDLER: 0
; COMPUTE_PGM_RSRC2:TGID_X_EN: 1
; COMPUTE_PGM_RSRC2:TGID_Y_EN: 0
; COMPUTE_PGM_RSRC2:TGID_Z_EN: 0
; COMPUTE_PGM_RSRC2:TIDIG_COMP_CNT: 0
	.section	.text._ZN2at6native12_GLOBAL__N_143distribution_elementwise_grid_stride_kernelImLi2EZZZNS0_9templates4cuda32random_full_64_bits_range_kernelIPNS_17CUDAGeneratorImplEEEvRNS_18TensorIteratorBaseET_ENKUlvE_clEvENKUlvE6_clEvEUlP25hiprandStatePhilox4_32_10E_ZNS1_27distribution_nullary_kernelIN3c108BFloat16Em15HIP_vector_typeIyLj2EES7_SF_ZZZNS5_IS7_EEvS9_SA_ENKSB_clEvENKSC_clEvEUlmE_EEvS9_T2_RKT3_T4_EUlimE_EEvlNS_15PhiloxCudaStateET1_SM_,"axG",@progbits,_ZN2at6native12_GLOBAL__N_143distribution_elementwise_grid_stride_kernelImLi2EZZZNS0_9templates4cuda32random_full_64_bits_range_kernelIPNS_17CUDAGeneratorImplEEEvRNS_18TensorIteratorBaseET_ENKUlvE_clEvENKUlvE6_clEvEUlP25hiprandStatePhilox4_32_10E_ZNS1_27distribution_nullary_kernelIN3c108BFloat16Em15HIP_vector_typeIyLj2EES7_SF_ZZZNS5_IS7_EEvS9_SA_ENKSB_clEvENKSC_clEvEUlmE_EEvS9_T2_RKT3_T4_EUlimE_EEvlNS_15PhiloxCudaStateET1_SM_,comdat
	.globl	_ZN2at6native12_GLOBAL__N_143distribution_elementwise_grid_stride_kernelImLi2EZZZNS0_9templates4cuda32random_full_64_bits_range_kernelIPNS_17CUDAGeneratorImplEEEvRNS_18TensorIteratorBaseET_ENKUlvE_clEvENKUlvE6_clEvEUlP25hiprandStatePhilox4_32_10E_ZNS1_27distribution_nullary_kernelIN3c108BFloat16Em15HIP_vector_typeIyLj2EES7_SF_ZZZNS5_IS7_EEvS9_SA_ENKSB_clEvENKSC_clEvEUlmE_EEvS9_T2_RKT3_T4_EUlimE_EEvlNS_15PhiloxCudaStateET1_SM_ ; -- Begin function _ZN2at6native12_GLOBAL__N_143distribution_elementwise_grid_stride_kernelImLi2EZZZNS0_9templates4cuda32random_full_64_bits_range_kernelIPNS_17CUDAGeneratorImplEEEvRNS_18TensorIteratorBaseET_ENKUlvE_clEvENKUlvE6_clEvEUlP25hiprandStatePhilox4_32_10E_ZNS1_27distribution_nullary_kernelIN3c108BFloat16Em15HIP_vector_typeIyLj2EES7_SF_ZZZNS5_IS7_EEvS9_SA_ENKSB_clEvENKSC_clEvEUlmE_EEvS9_T2_RKT3_T4_EUlimE_EEvlNS_15PhiloxCudaStateET1_SM_
	.p2align	8
	.type	_ZN2at6native12_GLOBAL__N_143distribution_elementwise_grid_stride_kernelImLi2EZZZNS0_9templates4cuda32random_full_64_bits_range_kernelIPNS_17CUDAGeneratorImplEEEvRNS_18TensorIteratorBaseET_ENKUlvE_clEvENKUlvE6_clEvEUlP25hiprandStatePhilox4_32_10E_ZNS1_27distribution_nullary_kernelIN3c108BFloat16Em15HIP_vector_typeIyLj2EES7_SF_ZZZNS5_IS7_EEvS9_SA_ENKSB_clEvENKSC_clEvEUlmE_EEvS9_T2_RKT3_T4_EUlimE_EEvlNS_15PhiloxCudaStateET1_SM_,@function
_ZN2at6native12_GLOBAL__N_143distribution_elementwise_grid_stride_kernelImLi2EZZZNS0_9templates4cuda32random_full_64_bits_range_kernelIPNS_17CUDAGeneratorImplEEEvRNS_18TensorIteratorBaseET_ENKUlvE_clEvENKUlvE6_clEvEUlP25hiprandStatePhilox4_32_10E_ZNS1_27distribution_nullary_kernelIN3c108BFloat16Em15HIP_vector_typeIyLj2EES7_SF_ZZZNS5_IS7_EEvS9_SA_ENKSB_clEvENKSC_clEvEUlmE_EEvS9_T2_RKT3_T4_EUlimE_EEvlNS_15PhiloxCudaStateET1_SM_: ; @_ZN2at6native12_GLOBAL__N_143distribution_elementwise_grid_stride_kernelImLi2EZZZNS0_9templates4cuda32random_full_64_bits_range_kernelIPNS_17CUDAGeneratorImplEEEvRNS_18TensorIteratorBaseET_ENKUlvE_clEvENKUlvE6_clEvEUlP25hiprandStatePhilox4_32_10E_ZNS1_27distribution_nullary_kernelIN3c108BFloat16Em15HIP_vector_typeIyLj2EES7_SF_ZZZNS5_IS7_EEvS9_SA_ENKSB_clEvENKSC_clEvEUlmE_EEvS9_T2_RKT3_T4_EUlimE_EEvlNS_15PhiloxCudaStateET1_SM_
; %bb.0:
	s_clause 0x2
	s_load_b64 s[8:9], s[0:1], 0x10
	s_load_b128 s[4:7], s[0:1], 0x0
	s_load_b32 s2, s[0:1], 0x20
	s_waitcnt lgkmcnt(0)
	v_dual_mov_b32 v2, s8 :: v_dual_mov_b32 v3, s9
	v_dual_mov_b32 v12, s7 :: v_dual_mov_b32 v11, s6
	s_bitcmp0_b32 s2, 0
	s_mov_b32 s2, 0
	s_cbranch_scc1 .LBB66_2
; %bb.1:
	v_dual_mov_b32 v1, s8 :: v_dual_mov_b32 v2, s9
	v_dual_mov_b32 v4, s6 :: v_dual_mov_b32 v5, s7
	s_load_b64 s[6:7], s[0:1], 0x18
	flat_load_b64 v[2:3], v[1:2]
	flat_load_b64 v[11:12], v[4:5]
	s_waitcnt vmcnt(1) lgkmcnt(0)
	v_add_co_u32 v2, vcc_lo, v2, s6
	v_add_co_ci_u32_e32 v3, vcc_lo, s7, v3, vcc_lo
.LBB66_2:
	s_clause 0x1
	s_load_b32 s3, s[0:1], 0x4c
	s_load_b32 s11, s[0:1], 0x40
	s_waitcnt lgkmcnt(0)
	s_and_b32 s10, s3, 0xffff
	s_add_u32 s6, s4, -1
	s_mul_i32 s8, s11, s10
	s_addc_u32 s3, s5, -1
	s_lshl_b32 s9, s8, 1
	s_cmp_lg_u64 s[2:3], 0
	s_cbranch_scc0 .LBB66_23
; %bb.3:
	v_cvt_f32_ubyte0_e32 v1, 0
	v_cvt_f32_u32_e32 v4, s9
	s_sub_u32 s12, 0, s9
	s_subb_u32 s13, 0, 0
	s_delay_alu instid0(VALU_DEP_1) | instskip(NEXT) | instid1(VALU_DEP_1)
	v_fmamk_f32 v1, v1, 0x4f800000, v4
	v_rcp_f32_e32 v1, v1
	s_waitcnt_depctr 0xfff
	v_mul_f32_e32 v1, 0x5f7ffffc, v1
	s_delay_alu instid0(VALU_DEP_1) | instskip(NEXT) | instid1(VALU_DEP_1)
	v_mul_f32_e32 v4, 0x2f800000, v1
	v_trunc_f32_e32 v4, v4
	s_delay_alu instid0(VALU_DEP_1) | instskip(SKIP_1) | instid1(VALU_DEP_2)
	v_fmamk_f32 v1, v4, 0xcf800000, v1
	v_cvt_u32_f32_e32 v4, v4
	v_cvt_u32_f32_e32 v1, v1
	s_delay_alu instid0(VALU_DEP_2) | instskip(NEXT) | instid1(VALU_DEP_2)
	v_readfirstlane_b32 s2, v4
	v_readfirstlane_b32 s7, v1
	s_delay_alu instid0(VALU_DEP_2) | instskip(NEXT) | instid1(VALU_DEP_1)
	s_mul_i32 s14, s12, s2
	s_mul_hi_u32 s17, s12, s7
	s_mul_i32 s16, s13, s7
	s_add_i32 s14, s17, s14
	s_mul_i32 s18, s12, s7
	s_add_i32 s14, s14, s16
	s_mul_hi_u32 s17, s7, s18
	s_mul_hi_u32 s19, s2, s18
	s_mul_i32 s16, s2, s18
	s_mul_hi_u32 s18, s7, s14
	s_mul_i32 s7, s7, s14
	s_mul_hi_u32 s20, s2, s14
	s_add_u32 s7, s17, s7
	s_addc_u32 s17, 0, s18
	s_add_u32 s7, s7, s16
	s_mul_i32 s14, s2, s14
	s_addc_u32 s7, s17, s19
	s_addc_u32 s16, s20, 0
	s_add_u32 s7, s7, s14
	s_addc_u32 s14, 0, s16
	v_add_co_u32 v1, s7, v1, s7
	s_delay_alu instid0(VALU_DEP_1) | instskip(SKIP_1) | instid1(VALU_DEP_1)
	s_cmp_lg_u32 s7, 0
	s_addc_u32 s2, s2, s14
	v_readfirstlane_b32 s7, v1
	s_mul_i32 s14, s12, s2
	s_delay_alu instid0(VALU_DEP_1)
	s_mul_hi_u32 s16, s12, s7
	s_mul_i32 s13, s13, s7
	s_add_i32 s14, s16, s14
	s_mul_i32 s12, s12, s7
	s_add_i32 s14, s14, s13
	s_mul_hi_u32 s16, s2, s12
	s_mul_i32 s17, s2, s12
	s_mul_hi_u32 s12, s7, s12
	s_mul_hi_u32 s18, s7, s14
	s_mul_i32 s7, s7, s14
	s_mul_hi_u32 s13, s2, s14
	s_add_u32 s7, s12, s7
	s_addc_u32 s12, 0, s18
	s_add_u32 s7, s7, s17
	s_mul_i32 s14, s2, s14
	s_addc_u32 s7, s12, s16
	s_addc_u32 s12, s13, 0
	s_add_u32 s7, s7, s14
	s_addc_u32 s12, 0, s12
	v_add_co_u32 v1, s7, v1, s7
	s_delay_alu instid0(VALU_DEP_1) | instskip(SKIP_2) | instid1(VALU_DEP_1)
	s_cmp_lg_u32 s7, 0
	s_addc_u32 s7, s2, s12
	s_ashr_i32 s12, s3, 31
	v_readfirstlane_b32 s14, v1
	s_add_u32 s2, s6, s12
	s_mov_b32 s13, s12
	s_addc_u32 s3, s3, s12
	s_delay_alu instid0(SALU_CYCLE_1) | instskip(NEXT) | instid1(SALU_CYCLE_1)
	s_xor_b64 s[2:3], s[2:3], s[12:13]
	s_mul_i32 s17, s2, s7
	s_mul_hi_u32 s18, s2, s14
	s_mul_hi_u32 s16, s2, s7
	;; [unrolled: 1-line block ×3, first 2 shown]
	s_mul_i32 s14, s3, s14
	s_add_u32 s17, s18, s17
	s_addc_u32 s16, 0, s16
	s_mul_hi_u32 s19, s3, s7
	s_add_u32 s14, s17, s14
	s_mul_i32 s7, s3, s7
	s_addc_u32 s14, s16, s20
	s_addc_u32 s16, s19, 0
	s_add_u32 s7, s14, s7
	s_addc_u32 s14, 0, s16
	s_mul_i32 s17, s9, s7
	s_add_u32 s16, s7, 1
	v_sub_co_u32 v1, s2, s2, s17
	s_mul_hi_u32 s17, s9, s7
	s_addc_u32 s18, s14, 0
	s_mul_i32 s19, s9, s14
	s_delay_alu instid0(VALU_DEP_1)
	v_sub_co_u32 v4, s20, v1, s9
	s_add_u32 s21, s7, 2
	s_addc_u32 s22, s14, 0
	s_add_i32 s17, s17, s19
	s_cmp_lg_u32 s2, 0
	v_readfirstlane_b32 s2, v4
	s_subb_u32 s3, s3, s17
	s_cmp_lg_u32 s20, 0
	s_subb_u32 s17, s3, 0
	s_delay_alu instid0(VALU_DEP_1) | instskip(SKIP_4) | instid1(SALU_CYCLE_1)
	s_cmp_ge_u32 s2, s9
	s_cselect_b32 s2, -1, 0
	s_cmp_eq_u32 s17, 0
	v_readfirstlane_b32 s17, v1
	s_cselect_b32 s2, s2, -1
	s_cmp_lg_u32 s2, 0
	s_cselect_b32 s2, s21, s16
	s_cselect_b32 s16, s22, s18
	s_cmp_ge_u32 s17, s9
	s_cselect_b32 s17, -1, 0
	s_cmp_eq_u32 s3, 0
	s_cselect_b32 s3, s17, -1
	s_delay_alu instid0(SALU_CYCLE_1) | instskip(SKIP_2) | instid1(SALU_CYCLE_1)
	s_cmp_lg_u32 s3, 0
	s_cselect_b32 s3, s16, s14
	s_cselect_b32 s2, s2, s7
	s_xor_b64 s[2:3], s[2:3], s[12:13]
	s_delay_alu instid0(SALU_CYCLE_1)
	s_sub_u32 s2, s2, s12
	s_subb_u32 s3, s3, s12
	s_cbranch_execnz .LBB66_5
.LBB66_4:
	v_cvt_f32_u32_e32 v1, s9
	s_sub_i32 s3, 0, s9
	s_delay_alu instid0(VALU_DEP_1) | instskip(SKIP_2) | instid1(VALU_DEP_1)
	v_rcp_iflag_f32_e32 v1, v1
	s_waitcnt_depctr 0xfff
	v_mul_f32_e32 v1, 0x4f7ffffe, v1
	v_cvt_u32_f32_e32 v1, v1
	s_delay_alu instid0(VALU_DEP_1) | instskip(NEXT) | instid1(VALU_DEP_1)
	v_readfirstlane_b32 s2, v1
	s_mul_i32 s3, s3, s2
	s_delay_alu instid0(SALU_CYCLE_1) | instskip(NEXT) | instid1(SALU_CYCLE_1)
	s_mul_hi_u32 s3, s2, s3
	s_add_i32 s2, s2, s3
	s_delay_alu instid0(SALU_CYCLE_1) | instskip(NEXT) | instid1(SALU_CYCLE_1)
	s_mul_hi_u32 s2, s6, s2
	s_mul_i32 s3, s2, s9
	s_delay_alu instid0(SALU_CYCLE_1)
	s_sub_i32 s3, s6, s3
	s_add_i32 s6, s2, 1
	s_sub_i32 s7, s3, s9
	s_cmp_ge_u32 s3, s9
	s_cselect_b32 s2, s6, s2
	s_cselect_b32 s3, s7, s3
	s_add_i32 s6, s2, 1
	s_cmp_ge_u32 s3, s9
	s_mov_b32 s3, 0
	s_cselect_b32 s2, s6, s2
.LBB66_5:
	v_mov_b32_e32 v1, 0
	s_add_u32 s2, s2, 1
	s_addc_u32 s3, s3, 0
	s_mul_hi_u32 s6, s8, s2
	s_mul_i32 s3, s8, s3
	v_mad_u64_u32 v[13:14], null, s10, s15, v[0:1]
	s_mul_hi_u32 s7, s11, s10
	s_add_i32 s3, s6, s3
	s_mul_i32 s7, s7, s2
	s_mul_i32 s2, s8, s2
	s_add_i32 s3, s3, s7
	s_mov_b32 s6, exec_lo
	s_lshl_b64 s[2:3], s[2:3], 1
	s_delay_alu instid0(SALU_CYCLE_1)
	v_cmpx_gt_i64_e64 s[2:3], v[13:14]
	s_cbranch_execz .LBB66_22
; %bb.6:
	v_alignbit_b32 v17, v3, v2, 2
	v_mad_u64_u32 v[6:7], null, 0xcd9e8d57, v13, 0
	v_lshrrev_b32_e32 v18, 2, v3
	s_waitcnt vmcnt(0)
	v_dual_mov_b32 v15, v12 :: v_dual_add_nc_u32 v34, 0x8ff34781, v11
	v_mad_u64_u32 v[4:5], null, 0xd2511f53, v17, 0
	v_add_co_u32 v20, null, 0x9e3779b9, v11
	v_xor3_b32 v3, v11, v7, v18
	s_delay_alu instid0(VALU_DEP_4) | instskip(SKIP_2) | instid1(VALU_DEP_4)
	v_add_co_u32 v19, null, 0xbb67ae85, v15
	v_add_co_u32 v21, null, 0x3c6ef372, v11
	v_xor_b32_e32 v1, v5, v12
	v_mad_u64_u32 v[7:8], null, 0xd2511f53, v3, 0
	v_add_co_u32 v22, null, 0x76cf5d0a, v15
	s_delay_alu instid0(VALU_DEP_3) | instskip(SKIP_2) | instid1(VALU_DEP_3)
	v_xor_b32_e32 v1, v1, v14
	v_add_co_u32 v23, null, 0x32370b8f, v15
	v_add_co_u32 v24, null, 0xdaa66d2b, v11
	v_mad_u64_u32 v[9:10], null, 0xcd9e8d57, v1, 0
	v_xor3_b32 v1, v19, v8, v4
	v_add_co_u32 v25, null, 0x78dde6e4, v11
	v_add_co_u32 v26, null, 0xed9eba14, v15
	s_delay_alu instid0(VALU_DEP_3) | instskip(SKIP_3) | instid1(VALU_DEP_3)
	v_mad_u64_u32 v[3:4], null, 0xcd9e8d57, v1, 0
	v_xor3_b32 v8, v20, v10, v6
	v_add_co_u32 v27, null, 0xa9066899, v15
	v_add_co_u32 v28, null, 0x1715609d, v11
	v_mad_u64_u32 v[5:6], null, 0xd2511f53, v8, 0
	v_xor3_b32 v1, v21, v4, v9
	v_add_co_u32 v29, null, 0xb54cda56, v11
	v_add_co_u32 v30, null, 0x646e171e, v15
	;; [unrolled: 1-line block ×3, first 2 shown]
	v_xor3_b32 v4, v22, v6, v7
	v_mad_u64_u32 v[6:7], null, 0xd2511f53, v1, 0
	v_add_co_u32 v32, null, 0x5384540f, v11
	s_delay_alu instid0(VALU_DEP_3) | instskip(SKIP_1) | instid1(VALU_DEP_4)
	v_mad_u64_u32 v[8:9], null, 0xcd9e8d57, v4, 0
	v_dual_mov_b32 v38, v13 :: v_dual_and_b32 v33, 3, v2
	v_xor3_b32 v1, v23, v7, v5
	s_clause 0x1
	s_load_b64 s[6:7], s[0:1], 0x30
	s_load_b32 s0, s[0:1], 0x38
	v_add_co_u32 v35, null, 0xf1bbcdc8, v11
	s_delay_alu instid0(VALU_DEP_4) | instskip(SKIP_2) | instid1(VALU_DEP_3)
	v_xor3_b32 v5, v24, v9, v3
	v_mad_u64_u32 v[3:4], null, 0xcd9e8d57, v1, 0
	v_add_co_u32 v36, null, 0xdb3d7428, v15
	v_mad_u64_u32 v[9:10], null, 0xd2511f53, v5, 0
	v_add_nc_u32_e32 v37, 0x96a522ad, v12
	v_mov_b32_e32 v41, v14
	v_xor3_b32 v1, v25, v4, v8
	s_delay_alu instid0(VALU_DEP_4) | instskip(NEXT) | instid1(VALU_DEP_2)
	v_xor3_b32 v8, v26, v10, v6
	v_mad_u64_u32 v[4:5], null, 0xd2511f53, v1, 0
	s_waitcnt lgkmcnt(0)
	s_mul_i32 s1, s11, s0
	s_delay_alu instid0(VALU_DEP_2) | instskip(SKIP_1) | instid1(VALU_DEP_2)
	v_mad_u64_u32 v[6:7], null, 0xcd9e8d57, v8, 0
	s_mul_i32 s1, s1, s10
	v_xor3_b32 v1, v27, v5, v9
	s_lshl_b32 s1, s1, 1
	s_delay_alu instid0(VALU_DEP_2) | instskip(NEXT) | instid1(VALU_DEP_2)
	v_xor3_b32 v3, v28, v7, v3
	v_mad_u64_u32 v[7:8], null, 0xcd9e8d57, v1, 0
	s_delay_alu instid0(VALU_DEP_2) | instskip(NEXT) | instid1(VALU_DEP_2)
	v_mad_u64_u32 v[9:10], null, 0xd2511f53, v3, 0
	v_xor3_b32 v1, v29, v8, v6
	s_delay_alu instid0(VALU_DEP_2) | instskip(NEXT) | instid1(VALU_DEP_2)
	v_xor3_b32 v8, v30, v10, v4
	v_mad_u64_u32 v[3:4], null, 0xd2511f53, v1, 0
	s_delay_alu instid0(VALU_DEP_2) | instskip(NEXT) | instid1(VALU_DEP_2)
	v_mad_u64_u32 v[5:6], null, 0xcd9e8d57, v8, 0
	v_xor3_b32 v1, v31, v4, v9
	s_delay_alu instid0(VALU_DEP_2) | instskip(NEXT) | instid1(VALU_DEP_2)
	v_xor3_b32 v2, v32, v6, v7
	v_mad_u64_u32 v[6:7], null, 0xcd9e8d57, v1, 0
	v_mad_u64_u32 v[15:16], null, s15, s10, v[0:1]
	s_delay_alu instid0(VALU_DEP_3) | instskip(SKIP_1) | instid1(VALU_DEP_3)
	v_mad_u64_u32 v[8:9], null, 0xd2511f53, v2, 0
	s_add_i32 s15, s15, s11
	v_xor3_b32 v1, v35, v7, v5
	s_delay_alu instid0(VALU_DEP_3) | instskip(NEXT) | instid1(VALU_DEP_3)
	v_mul_lo_u32 v39, s0, v15
	v_xor3_b32 v7, v36, v9, v3
	s_delay_alu instid0(VALU_DEP_3) | instskip(SKIP_1) | instid1(VALU_DEP_3)
	v_mad_u64_u32 v[3:4], null, s15, s10, v[0:1]
	v_mad_u64_u32 v[4:5], null, 0xd2511f53, v1, 0
	;; [unrolled: 1-line block ×3, first 2 shown]
	s_mov_b32 s10, 0
	s_delay_alu instid0(VALU_DEP_3) | instskip(SKIP_1) | instid1(VALU_DEP_3)
	v_mul_lo_u32 v40, s0, v3
	s_mov_b32 s0, 0
	v_mov_b32_e32 v3, v4
	s_delay_alu instid0(VALU_DEP_3)
	v_xor3_b32 v0, v2, v6, v34
	v_xor3_b32 v2, v5, v8, v37
	s_branch .LBB66_8
.LBB66_7:                               ;   in Loop: Header=BB66_8 Depth=1
	s_or_b32 exec_lo, exec_lo, s11
	v_add_co_u32 v13, vcc_lo, v13, s9
	v_add_co_ci_u32_e32 v14, vcc_lo, 0, v14, vcc_lo
	v_mov_b32_e32 v7, v15
	v_dual_mov_b32 v0, v4 :: v_dual_mov_b32 v1, v5
	s_delay_alu instid0(VALU_DEP_3) | instskip(NEXT) | instid1(VALU_DEP_3)
	v_cmp_le_i64_e32 vcc_lo, s[2:3], v[13:14]
	v_dual_mov_b32 v2, v6 :: v_dual_mov_b32 v3, v7
	s_add_i32 s10, s10, s1
	s_waitcnt_vscnt null, 0x0
	s_barrier
	s_or_b32 s0, vcc_lo, s0
	buffer_gl0_inv
	s_and_not1_b32 exec_lo, exec_lo, s0
	s_cbranch_execz .LBB66_22
.LBB66_8:                               ; =>This Inner Loop Header: Depth=1
	v_add_co_u32 v17, vcc_lo, v17, 1
	s_delay_alu instid0(VALU_DEP_1) | instskip(SKIP_2) | instid1(VALU_DEP_1)
	v_cndmask_b32_e64 v4, 0, 1, vcc_lo
	v_add_co_ci_u32_e32 v18, vcc_lo, 0, v18, vcc_lo
	s_mov_b32 s11, exec_lo
	v_cmp_eq_u32_e32 vcc_lo, 0, v18
	s_delay_alu instid0(VALU_DEP_3) | instskip(NEXT) | instid1(VALU_DEP_1)
	v_cndmask_b32_e32 v4, 0, v4, vcc_lo
	v_add_nc_u32_e32 v38, v4, v38
	s_delay_alu instid0(VALU_DEP_1) | instskip(SKIP_2) | instid1(VALU_DEP_2)
	v_cmp_eq_u32_e32 vcc_lo, 0, v38
	v_mad_u64_u32 v[6:7], null, 0xcd9e8d57, v38, 0
	v_cndmask_b32_e32 v4, 0, v4, vcc_lo
	v_xor3_b32 v9, v7, v11, v18
	s_delay_alu instid0(VALU_DEP_2) | instskip(SKIP_1) | instid1(VALU_DEP_3)
	v_add_nc_u32_e32 v41, v4, v41
	v_mad_u64_u32 v[4:5], null, 0xd2511f53, v17, 0
	v_mad_u64_u32 v[7:8], null, 0xd2511f53, v9, 0
	s_delay_alu instid0(VALU_DEP_2) | instskip(NEXT) | instid1(VALU_DEP_2)
	v_xor_b32_e32 v5, v5, v12
	v_xor3_b32 v8, v19, v8, v4
	s_delay_alu instid0(VALU_DEP_2) | instskip(NEXT) | instid1(VALU_DEP_1)
	v_xor_b32_e32 v5, v41, v5
	v_mad_u64_u32 v[9:10], null, 0xcd9e8d57, v5, 0
	s_delay_alu instid0(VALU_DEP_3) | instskip(NEXT) | instid1(VALU_DEP_2)
	v_mad_u64_u32 v[4:5], null, 0xcd9e8d57, v8, 0
	v_xor3_b32 v6, v20, v10, v6
	s_delay_alu instid0(VALU_DEP_2) | instskip(NEXT) | instid1(VALU_DEP_2)
	v_xor3_b32 v8, v21, v5, v9
	v_mad_u64_u32 v[15:16], null, 0xd2511f53, v6, 0
	s_delay_alu instid0(VALU_DEP_2) | instskip(NEXT) | instid1(VALU_DEP_2)
	v_mad_u64_u32 v[5:6], null, 0xd2511f53, v8, 0
	v_xor3_b32 v9, v22, v16, v7
	s_delay_alu instid0(VALU_DEP_2) | instskip(NEXT) | instid1(VALU_DEP_2)
	v_xor3_b32 v6, v23, v6, v15
	v_mad_u64_u32 v[7:8], null, 0xcd9e8d57, v9, 0
	s_delay_alu instid0(VALU_DEP_1) | instskip(NEXT) | instid1(VALU_DEP_3)
	v_xor3_b32 v4, v24, v8, v4
	v_mad_u64_u32 v[8:9], null, 0xcd9e8d57, v6, 0
	s_delay_alu instid0(VALU_DEP_2) | instskip(NEXT) | instid1(VALU_DEP_2)
	v_mad_u64_u32 v[15:16], null, 0xd2511f53, v4, 0
	v_xor3_b32 v6, v25, v9, v7
	s_delay_alu instid0(VALU_DEP_2) | instskip(NEXT) | instid1(VALU_DEP_2)
	v_xor3_b32 v9, v26, v16, v5
	v_mad_u64_u32 v[4:5], null, 0xd2511f53, v6, 0
	s_delay_alu instid0(VALU_DEP_2) | instskip(NEXT) | instid1(VALU_DEP_2)
	v_mad_u64_u32 v[6:7], null, 0xcd9e8d57, v9, 0
	v_xor3_b32 v5, v27, v5, v15
	s_delay_alu instid0(VALU_DEP_2) | instskip(NEXT) | instid1(VALU_DEP_2)
	;; [unrolled: 6-line block ×6, first 2 shown]
	v_xor3_b32 v4, v6, v7, v34
	v_mov_b32_e32 v6, v10
	v_cmpx_lt_i32_e32 1, v33
	s_xor_b32 s11, exec_lo, s11
	s_cbranch_execnz .LBB66_14
; %bb.9:                                ;   in Loop: Header=BB66_8 Depth=1
	s_and_not1_saveexec_b32 s11, s11
	s_cbranch_execnz .LBB66_19
.LBB66_10:                              ;   in Loop: Header=BB66_8 Depth=1
	s_or_b32 exec_lo, exec_lo, s11
	s_delay_alu instid0(SALU_CYCLE_1)
	s_mov_b32 s11, exec_lo
	v_cmpx_gt_i64_e64 s[4:5], v[13:14]
	s_cbranch_execz .LBB66_12
.LBB66_11:                              ;   in Loop: Header=BB66_8 Depth=1
	v_xor_b32_e32 v7, v1, v0
	v_cls_i32_e32 v8, v0
	s_delay_alu instid0(VALU_DEP_2) | instskip(NEXT) | instid1(VALU_DEP_2)
	v_ashrrev_i32_e32 v7, 31, v7
	v_dual_mov_b32 v8, v0 :: v_dual_add_nc_u32 v9, -1, v8
	s_delay_alu instid0(VALU_DEP_2) | instskip(NEXT) | instid1(VALU_DEP_1)
	v_dual_mov_b32 v7, v1 :: v_dual_add_nc_u32 v10, 32, v7
	v_min_u32_e32 v9, v9, v10
	s_delay_alu instid0(VALU_DEP_1) | instskip(SKIP_1) | instid1(VALU_DEP_2)
	v_lshlrev_b64 v[0:1], v9, v[7:8]
	v_add_nc_u32_e32 v7, s10, v39
	v_min_u32_e32 v0, 1, v0
	s_delay_alu instid0(VALU_DEP_1) | instskip(SKIP_1) | instid1(VALU_DEP_2)
	v_or_b32_e32 v0, v1, v0
	v_sub_nc_u32_e32 v1, 32, v9
	v_cvt_f32_i32_e32 v0, v0
	s_delay_alu instid0(VALU_DEP_1) | instskip(SKIP_2) | instid1(VALU_DEP_3)
	v_ldexp_f32 v8, v0, v1
	v_ashrrev_i32_e32 v1, 31, v7
	v_add_co_u32 v0, vcc_lo, s6, v7
	v_bfe_u32 v9, v8, 16, 1
	s_delay_alu instid0(VALU_DEP_3) | instskip(NEXT) | instid1(VALU_DEP_2)
	v_add_co_ci_u32_e32 v1, vcc_lo, s7, v1, vcc_lo
	v_add3_u32 v7, v8, v9, 0x7fff
	global_store_d16_hi_b16 v[0:1], v7, off
.LBB66_12:                              ;   in Loop: Header=BB66_8 Depth=1
	s_or_b32 exec_lo, exec_lo, s11
	v_add_co_u32 v0, vcc_lo, s8, v13
	v_add_co_ci_u32_e32 v1, vcc_lo, 0, v14, vcc_lo
	s_mov_b32 s11, exec_lo
	s_delay_alu instid0(VALU_DEP_1)
	v_cmpx_gt_i64_e64 s[4:5], v[0:1]
	s_cbranch_execz .LBB66_7
; %bb.13:                               ;   in Loop: Header=BB66_8 Depth=1
	v_xor_b32_e32 v0, v3, v2
	v_cls_i32_e32 v1, v2
	s_delay_alu instid0(VALU_DEP_2) | instskip(NEXT) | instid1(VALU_DEP_2)
	v_ashrrev_i32_e32 v0, 31, v0
	v_add_nc_u32_e32 v7, -1, v1
	s_delay_alu instid0(VALU_DEP_2) | instskip(NEXT) | instid1(VALU_DEP_1)
	v_dual_mov_b32 v1, v3 :: v_dual_add_nc_u32 v0, 32, v0
	v_min_u32_e32 v3, v7, v0
	s_delay_alu instid0(VALU_DEP_1) | instskip(SKIP_1) | instid1(VALU_DEP_2)
	v_lshlrev_b64 v[0:1], v3, v[1:2]
	v_add_nc_u32_e32 v2, s10, v40
	v_min_u32_e32 v0, 1, v0
	s_delay_alu instid0(VALU_DEP_1) | instskip(SKIP_1) | instid1(VALU_DEP_2)
	v_or_b32_e32 v0, v1, v0
	v_sub_nc_u32_e32 v1, 32, v3
	v_cvt_f32_i32_e32 v0, v0
	s_delay_alu instid0(VALU_DEP_1) | instskip(SKIP_2) | instid1(VALU_DEP_3)
	v_ldexp_f32 v3, v0, v1
	v_ashrrev_i32_e32 v1, 31, v2
	v_add_co_u32 v0, vcc_lo, s6, v2
	v_bfe_u32 v7, v3, 16, 1
	s_delay_alu instid0(VALU_DEP_3) | instskip(NEXT) | instid1(VALU_DEP_2)
	v_add_co_ci_u32_e32 v1, vcc_lo, s7, v1, vcc_lo
	v_add3_u32 v2, v3, v7, 0x7fff
	global_store_d16_hi_b16 v[0:1], v2, off
	s_branch .LBB66_7
.LBB66_14:                              ;   in Loop: Header=BB66_8 Depth=1
	s_mov_b32 s12, exec_lo
	v_cmpx_lt_i32_e32 2, v33
	s_xor_b32 s12, exec_lo, s12
; %bb.15:                               ;   in Loop: Header=BB66_8 Depth=1
	v_dual_mov_b32 v7, v3 :: v_dual_mov_b32 v8, v4
	v_mov_b32_e32 v9, v5
	s_delay_alu instid0(VALU_DEP_2) | instskip(NEXT) | instid1(VALU_DEP_2)
	v_dual_mov_b32 v0, v7 :: v_dual_mov_b32 v1, v8
	v_dual_mov_b32 v2, v9 :: v_dual_mov_b32 v3, v10
; %bb.16:                               ;   in Loop: Header=BB66_8 Depth=1
	s_and_not1_saveexec_b32 s12, s12
; %bb.17:                               ;   in Loop: Header=BB66_8 Depth=1
	s_delay_alu instid0(VALU_DEP_1)
	v_dual_mov_b32 v0, v2 :: v_dual_mov_b32 v1, v3
	v_dual_mov_b32 v2, v4 :: v_dual_mov_b32 v3, v5
; %bb.18:                               ;   in Loop: Header=BB66_8 Depth=1
	s_or_b32 exec_lo, exec_lo, s12
	s_and_not1_saveexec_b32 s11, s11
	s_cbranch_execz .LBB66_10
.LBB66_19:                              ;   in Loop: Header=BB66_8 Depth=1
	s_mov_b32 s12, exec_lo
	v_cmpx_eq_u32_e32 1, v33
; %bb.20:                               ;   in Loop: Header=BB66_8 Depth=1
	v_dual_mov_b32 v0, v1 :: v_dual_mov_b32 v1, v2
	v_dual_mov_b32 v2, v3 :: v_dual_mov_b32 v3, v4
; %bb.21:                               ;   in Loop: Header=BB66_8 Depth=1
	s_or_b32 exec_lo, exec_lo, s12
	s_delay_alu instid0(SALU_CYCLE_1) | instskip(NEXT) | instid1(SALU_CYCLE_1)
	s_or_b32 exec_lo, exec_lo, s11
	s_mov_b32 s11, exec_lo
	v_cmpx_gt_i64_e64 s[4:5], v[13:14]
	s_cbranch_execnz .LBB66_11
	s_branch .LBB66_12
.LBB66_22:
	s_endpgm
.LBB66_23:
                                        ; implicit-def: $sgpr2_sgpr3
	s_branch .LBB66_4
	.section	.rodata,"a",@progbits
	.p2align	6, 0x0
	.amdhsa_kernel _ZN2at6native12_GLOBAL__N_143distribution_elementwise_grid_stride_kernelImLi2EZZZNS0_9templates4cuda32random_full_64_bits_range_kernelIPNS_17CUDAGeneratorImplEEEvRNS_18TensorIteratorBaseET_ENKUlvE_clEvENKUlvE6_clEvEUlP25hiprandStatePhilox4_32_10E_ZNS1_27distribution_nullary_kernelIN3c108BFloat16Em15HIP_vector_typeIyLj2EES7_SF_ZZZNS5_IS7_EEvS9_SA_ENKSB_clEvENKSC_clEvEUlmE_EEvS9_T2_RKT3_T4_EUlimE_EEvlNS_15PhiloxCudaStateET1_SM_
		.amdhsa_group_segment_fixed_size 0
		.amdhsa_private_segment_fixed_size 0
		.amdhsa_kernarg_size 320
		.amdhsa_user_sgpr_count 15
		.amdhsa_user_sgpr_dispatch_ptr 0
		.amdhsa_user_sgpr_queue_ptr 0
		.amdhsa_user_sgpr_kernarg_segment_ptr 1
		.amdhsa_user_sgpr_dispatch_id 0
		.amdhsa_user_sgpr_private_segment_size 0
		.amdhsa_wavefront_size32 1
		.amdhsa_uses_dynamic_stack 0
		.amdhsa_enable_private_segment 0
		.amdhsa_system_sgpr_workgroup_id_x 1
		.amdhsa_system_sgpr_workgroup_id_y 0
		.amdhsa_system_sgpr_workgroup_id_z 0
		.amdhsa_system_sgpr_workgroup_info 0
		.amdhsa_system_vgpr_workitem_id 0
		.amdhsa_next_free_vgpr 42
		.amdhsa_next_free_sgpr 23
		.amdhsa_reserve_vcc 1
		.amdhsa_float_round_mode_32 0
		.amdhsa_float_round_mode_16_64 0
		.amdhsa_float_denorm_mode_32 3
		.amdhsa_float_denorm_mode_16_64 3
		.amdhsa_dx10_clamp 1
		.amdhsa_ieee_mode 1
		.amdhsa_fp16_overflow 0
		.amdhsa_workgroup_processor_mode 1
		.amdhsa_memory_ordered 1
		.amdhsa_forward_progress 0
		.amdhsa_shared_vgpr_count 0
		.amdhsa_exception_fp_ieee_invalid_op 0
		.amdhsa_exception_fp_denorm_src 0
		.amdhsa_exception_fp_ieee_div_zero 0
		.amdhsa_exception_fp_ieee_overflow 0
		.amdhsa_exception_fp_ieee_underflow 0
		.amdhsa_exception_fp_ieee_inexact 0
		.amdhsa_exception_int_div_zero 0
	.end_amdhsa_kernel
	.section	.text._ZN2at6native12_GLOBAL__N_143distribution_elementwise_grid_stride_kernelImLi2EZZZNS0_9templates4cuda32random_full_64_bits_range_kernelIPNS_17CUDAGeneratorImplEEEvRNS_18TensorIteratorBaseET_ENKUlvE_clEvENKUlvE6_clEvEUlP25hiprandStatePhilox4_32_10E_ZNS1_27distribution_nullary_kernelIN3c108BFloat16Em15HIP_vector_typeIyLj2EES7_SF_ZZZNS5_IS7_EEvS9_SA_ENKSB_clEvENKSC_clEvEUlmE_EEvS9_T2_RKT3_T4_EUlimE_EEvlNS_15PhiloxCudaStateET1_SM_,"axG",@progbits,_ZN2at6native12_GLOBAL__N_143distribution_elementwise_grid_stride_kernelImLi2EZZZNS0_9templates4cuda32random_full_64_bits_range_kernelIPNS_17CUDAGeneratorImplEEEvRNS_18TensorIteratorBaseET_ENKUlvE_clEvENKUlvE6_clEvEUlP25hiprandStatePhilox4_32_10E_ZNS1_27distribution_nullary_kernelIN3c108BFloat16Em15HIP_vector_typeIyLj2EES7_SF_ZZZNS5_IS7_EEvS9_SA_ENKSB_clEvENKSC_clEvEUlmE_EEvS9_T2_RKT3_T4_EUlimE_EEvlNS_15PhiloxCudaStateET1_SM_,comdat
.Lfunc_end66:
	.size	_ZN2at6native12_GLOBAL__N_143distribution_elementwise_grid_stride_kernelImLi2EZZZNS0_9templates4cuda32random_full_64_bits_range_kernelIPNS_17CUDAGeneratorImplEEEvRNS_18TensorIteratorBaseET_ENKUlvE_clEvENKUlvE6_clEvEUlP25hiprandStatePhilox4_32_10E_ZNS1_27distribution_nullary_kernelIN3c108BFloat16Em15HIP_vector_typeIyLj2EES7_SF_ZZZNS5_IS7_EEvS9_SA_ENKSB_clEvENKSC_clEvEUlmE_EEvS9_T2_RKT3_T4_EUlimE_EEvlNS_15PhiloxCudaStateET1_SM_, .Lfunc_end66-_ZN2at6native12_GLOBAL__N_143distribution_elementwise_grid_stride_kernelImLi2EZZZNS0_9templates4cuda32random_full_64_bits_range_kernelIPNS_17CUDAGeneratorImplEEEvRNS_18TensorIteratorBaseET_ENKUlvE_clEvENKUlvE6_clEvEUlP25hiprandStatePhilox4_32_10E_ZNS1_27distribution_nullary_kernelIN3c108BFloat16Em15HIP_vector_typeIyLj2EES7_SF_ZZZNS5_IS7_EEvS9_SA_ENKSB_clEvENKSC_clEvEUlmE_EEvS9_T2_RKT3_T4_EUlimE_EEvlNS_15PhiloxCudaStateET1_SM_
                                        ; -- End function
	.section	.AMDGPU.csdata,"",@progbits
; Kernel info:
; codeLenInByte = 2816
; NumSgprs: 25
; NumVgprs: 42
; ScratchSize: 0
; MemoryBound: 0
; FloatMode: 240
; IeeeMode: 1
; LDSByteSize: 0 bytes/workgroup (compile time only)
; SGPRBlocks: 3
; VGPRBlocks: 5
; NumSGPRsForWavesPerEU: 25
; NumVGPRsForWavesPerEU: 42
; Occupancy: 16
; WaveLimiterHint : 0
; COMPUTE_PGM_RSRC2:SCRATCH_EN: 0
; COMPUTE_PGM_RSRC2:USER_SGPR: 15
; COMPUTE_PGM_RSRC2:TRAP_HANDLER: 0
; COMPUTE_PGM_RSRC2:TGID_X_EN: 1
; COMPUTE_PGM_RSRC2:TGID_Y_EN: 0
; COMPUTE_PGM_RSRC2:TGID_Z_EN: 0
; COMPUTE_PGM_RSRC2:TIDIG_COMP_CNT: 0
	.section	.text._ZN2at6native12_GLOBAL__N_143distribution_elementwise_grid_stride_kernelImLi2EZZZNS0_9templates4cuda32random_full_64_bits_range_kernelIPNS_17CUDAGeneratorImplEEEvRNS_18TensorIteratorBaseET_ENKUlvE_clEvENKUlvE6_clEvEUlP25hiprandStatePhilox4_32_10E_ZNS1_27distribution_nullary_kernelIN3c108BFloat16Em15HIP_vector_typeIyLj2EES7_SF_ZZZNS5_IS7_EEvS9_SA_ENKSB_clEvENKSC_clEvEUlmE_EEvS9_T2_RKT3_T4_EUlimE0_EEvlNS_15PhiloxCudaStateET1_SM_,"axG",@progbits,_ZN2at6native12_GLOBAL__N_143distribution_elementwise_grid_stride_kernelImLi2EZZZNS0_9templates4cuda32random_full_64_bits_range_kernelIPNS_17CUDAGeneratorImplEEEvRNS_18TensorIteratorBaseET_ENKUlvE_clEvENKUlvE6_clEvEUlP25hiprandStatePhilox4_32_10E_ZNS1_27distribution_nullary_kernelIN3c108BFloat16Em15HIP_vector_typeIyLj2EES7_SF_ZZZNS5_IS7_EEvS9_SA_ENKSB_clEvENKSC_clEvEUlmE_EEvS9_T2_RKT3_T4_EUlimE0_EEvlNS_15PhiloxCudaStateET1_SM_,comdat
	.globl	_ZN2at6native12_GLOBAL__N_143distribution_elementwise_grid_stride_kernelImLi2EZZZNS0_9templates4cuda32random_full_64_bits_range_kernelIPNS_17CUDAGeneratorImplEEEvRNS_18TensorIteratorBaseET_ENKUlvE_clEvENKUlvE6_clEvEUlP25hiprandStatePhilox4_32_10E_ZNS1_27distribution_nullary_kernelIN3c108BFloat16Em15HIP_vector_typeIyLj2EES7_SF_ZZZNS5_IS7_EEvS9_SA_ENKSB_clEvENKSC_clEvEUlmE_EEvS9_T2_RKT3_T4_EUlimE0_EEvlNS_15PhiloxCudaStateET1_SM_ ; -- Begin function _ZN2at6native12_GLOBAL__N_143distribution_elementwise_grid_stride_kernelImLi2EZZZNS0_9templates4cuda32random_full_64_bits_range_kernelIPNS_17CUDAGeneratorImplEEEvRNS_18TensorIteratorBaseET_ENKUlvE_clEvENKUlvE6_clEvEUlP25hiprandStatePhilox4_32_10E_ZNS1_27distribution_nullary_kernelIN3c108BFloat16Em15HIP_vector_typeIyLj2EES7_SF_ZZZNS5_IS7_EEvS9_SA_ENKSB_clEvENKSC_clEvEUlmE_EEvS9_T2_RKT3_T4_EUlimE0_EEvlNS_15PhiloxCudaStateET1_SM_
	.p2align	8
	.type	_ZN2at6native12_GLOBAL__N_143distribution_elementwise_grid_stride_kernelImLi2EZZZNS0_9templates4cuda32random_full_64_bits_range_kernelIPNS_17CUDAGeneratorImplEEEvRNS_18TensorIteratorBaseET_ENKUlvE_clEvENKUlvE6_clEvEUlP25hiprandStatePhilox4_32_10E_ZNS1_27distribution_nullary_kernelIN3c108BFloat16Em15HIP_vector_typeIyLj2EES7_SF_ZZZNS5_IS7_EEvS9_SA_ENKSB_clEvENKSC_clEvEUlmE_EEvS9_T2_RKT3_T4_EUlimE0_EEvlNS_15PhiloxCudaStateET1_SM_,@function
_ZN2at6native12_GLOBAL__N_143distribution_elementwise_grid_stride_kernelImLi2EZZZNS0_9templates4cuda32random_full_64_bits_range_kernelIPNS_17CUDAGeneratorImplEEEvRNS_18TensorIteratorBaseET_ENKUlvE_clEvENKUlvE6_clEvEUlP25hiprandStatePhilox4_32_10E_ZNS1_27distribution_nullary_kernelIN3c108BFloat16Em15HIP_vector_typeIyLj2EES7_SF_ZZZNS5_IS7_EEvS9_SA_ENKSB_clEvENKSC_clEvEUlmE_EEvS9_T2_RKT3_T4_EUlimE0_EEvlNS_15PhiloxCudaStateET1_SM_: ; @_ZN2at6native12_GLOBAL__N_143distribution_elementwise_grid_stride_kernelImLi2EZZZNS0_9templates4cuda32random_full_64_bits_range_kernelIPNS_17CUDAGeneratorImplEEEvRNS_18TensorIteratorBaseET_ENKUlvE_clEvENKUlvE6_clEvEUlP25hiprandStatePhilox4_32_10E_ZNS1_27distribution_nullary_kernelIN3c108BFloat16Em15HIP_vector_typeIyLj2EES7_SF_ZZZNS5_IS7_EEvS9_SA_ENKSB_clEvENKSC_clEvEUlmE_EEvS9_T2_RKT3_T4_EUlimE0_EEvlNS_15PhiloxCudaStateET1_SM_
; %bb.0:
	s_clause 0x2
	s_load_b64 s[4:5], s[0:1], 0x10
	s_load_b128 s[16:19], s[0:1], 0x0
	s_load_b32 s2, s[0:1], 0x20
	s_waitcnt lgkmcnt(0)
	v_dual_mov_b32 v2, s4 :: v_dual_mov_b32 v3, s5
	v_dual_mov_b32 v11, s18 :: v_dual_mov_b32 v12, s19
	s_bitcmp0_b32 s2, 0
	s_mov_b32 s2, 0
	s_cbranch_scc1 .LBB67_2
; %bb.1:
	v_dual_mov_b32 v1, s4 :: v_dual_mov_b32 v2, s5
	v_dual_mov_b32 v4, s18 :: v_dual_mov_b32 v5, s19
	s_load_b64 s[4:5], s[0:1], 0x18
	flat_load_b64 v[2:3], v[1:2]
	flat_load_b64 v[11:12], v[4:5]
	s_waitcnt vmcnt(1) lgkmcnt(0)
	v_add_co_u32 v2, vcc_lo, v2, s4
	v_add_co_ci_u32_e32 v3, vcc_lo, s5, v3, vcc_lo
.LBB67_2:
	s_clause 0x1
	s_load_b32 s3, s[0:1], 0x154
	s_load_b32 s4, s[0:1], 0x148
	s_waitcnt lgkmcnt(0)
	s_and_b32 s5, s3, 0xffff
	s_add_u32 s6, s16, -1
	s_mul_i32 s24, s4, s5
	s_addc_u32 s3, s17, -1
	s_lshl_b32 s25, s24, 1
	s_cmp_lg_u64 s[2:3], 0
	s_cbranch_scc0 .LBB67_49
; %bb.3:
	v_cvt_f32_ubyte0_e32 v1, 0
	v_cvt_f32_u32_e32 v4, s25
	s_sub_u32 s8, 0, s25
	s_subb_u32 s9, 0, 0
	s_delay_alu instid0(VALU_DEP_1) | instskip(NEXT) | instid1(VALU_DEP_1)
	v_fmamk_f32 v1, v1, 0x4f800000, v4
	v_rcp_f32_e32 v1, v1
	s_waitcnt_depctr 0xfff
	v_mul_f32_e32 v1, 0x5f7ffffc, v1
	s_delay_alu instid0(VALU_DEP_1) | instskip(NEXT) | instid1(VALU_DEP_1)
	v_mul_f32_e32 v4, 0x2f800000, v1
	v_trunc_f32_e32 v4, v4
	s_delay_alu instid0(VALU_DEP_1) | instskip(SKIP_1) | instid1(VALU_DEP_2)
	v_fmamk_f32 v1, v4, 0xcf800000, v1
	v_cvt_u32_f32_e32 v4, v4
	v_cvt_u32_f32_e32 v1, v1
	s_delay_alu instid0(VALU_DEP_2) | instskip(NEXT) | instid1(VALU_DEP_2)
	v_readfirstlane_b32 s2, v4
	v_readfirstlane_b32 s7, v1
	s_delay_alu instid0(VALU_DEP_2) | instskip(NEXT) | instid1(VALU_DEP_1)
	s_mul_i32 s10, s8, s2
	s_mul_hi_u32 s12, s8, s7
	s_mul_i32 s11, s9, s7
	s_add_i32 s10, s12, s10
	s_mul_i32 s13, s8, s7
	s_add_i32 s10, s10, s11
	s_mul_hi_u32 s12, s7, s13
	s_mul_hi_u32 s14, s2, s13
	s_mul_i32 s11, s2, s13
	s_mul_hi_u32 s13, s7, s10
	s_mul_i32 s7, s7, s10
	s_mul_hi_u32 s18, s2, s10
	s_add_u32 s7, s12, s7
	s_addc_u32 s12, 0, s13
	s_add_u32 s7, s7, s11
	s_mul_i32 s10, s2, s10
	s_addc_u32 s7, s12, s14
	s_addc_u32 s11, s18, 0
	s_add_u32 s7, s7, s10
	s_addc_u32 s10, 0, s11
	v_add_co_u32 v1, s7, v1, s7
	s_delay_alu instid0(VALU_DEP_1) | instskip(SKIP_1) | instid1(VALU_DEP_1)
	s_cmp_lg_u32 s7, 0
	s_addc_u32 s2, s2, s10
	v_readfirstlane_b32 s7, v1
	s_mul_i32 s10, s8, s2
	s_delay_alu instid0(VALU_DEP_1)
	s_mul_hi_u32 s11, s8, s7
	s_mul_i32 s9, s9, s7
	s_add_i32 s10, s11, s10
	s_mul_i32 s8, s8, s7
	s_add_i32 s10, s10, s9
	s_mul_hi_u32 s11, s2, s8
	s_mul_i32 s12, s2, s8
	s_mul_hi_u32 s8, s7, s8
	s_mul_hi_u32 s13, s7, s10
	s_mul_i32 s7, s7, s10
	s_mul_hi_u32 s9, s2, s10
	s_add_u32 s7, s8, s7
	s_addc_u32 s8, 0, s13
	s_add_u32 s7, s7, s12
	s_mul_i32 s10, s2, s10
	s_addc_u32 s7, s8, s11
	s_addc_u32 s8, s9, 0
	s_add_u32 s7, s7, s10
	s_addc_u32 s8, 0, s8
	v_add_co_u32 v1, s7, v1, s7
	s_delay_alu instid0(VALU_DEP_1) | instskip(SKIP_2) | instid1(VALU_DEP_1)
	s_cmp_lg_u32 s7, 0
	s_addc_u32 s7, s2, s8
	s_ashr_i32 s8, s3, 31
	v_readfirstlane_b32 s10, v1
	s_add_u32 s2, s6, s8
	s_mov_b32 s9, s8
	s_addc_u32 s3, s3, s8
	s_delay_alu instid0(SALU_CYCLE_1) | instskip(NEXT) | instid1(SALU_CYCLE_1)
	s_xor_b64 s[2:3], s[2:3], s[8:9]
	s_mul_i32 s12, s2, s7
	s_mul_hi_u32 s13, s2, s10
	s_mul_hi_u32 s11, s2, s7
	;; [unrolled: 1-line block ×3, first 2 shown]
	s_mul_i32 s10, s3, s10
	s_add_u32 s12, s13, s12
	s_addc_u32 s11, 0, s11
	s_mul_hi_u32 s14, s3, s7
	s_add_u32 s10, s12, s10
	s_mul_i32 s7, s3, s7
	s_addc_u32 s10, s11, s18
	s_addc_u32 s11, s14, 0
	s_add_u32 s7, s10, s7
	s_addc_u32 s10, 0, s11
	s_mul_i32 s12, s25, s7
	s_add_u32 s11, s7, 1
	v_sub_co_u32 v1, s2, s2, s12
	s_mul_hi_u32 s12, s25, s7
	s_addc_u32 s13, s10, 0
	s_mul_i32 s14, s25, s10
	s_delay_alu instid0(VALU_DEP_1)
	v_sub_co_u32 v4, s18, v1, s25
	s_add_u32 s19, s7, 2
	s_addc_u32 s20, s10, 0
	s_add_i32 s12, s12, s14
	s_cmp_lg_u32 s2, 0
	v_readfirstlane_b32 s2, v4
	s_subb_u32 s3, s3, s12
	s_cmp_lg_u32 s18, 0
	s_subb_u32 s12, s3, 0
	s_delay_alu instid0(VALU_DEP_1) | instskip(SKIP_4) | instid1(SALU_CYCLE_1)
	s_cmp_ge_u32 s2, s25
	s_cselect_b32 s2, -1, 0
	s_cmp_eq_u32 s12, 0
	v_readfirstlane_b32 s12, v1
	s_cselect_b32 s2, s2, -1
	s_cmp_lg_u32 s2, 0
	s_cselect_b32 s2, s19, s11
	s_cselect_b32 s11, s20, s13
	s_cmp_ge_u32 s12, s25
	s_cselect_b32 s12, -1, 0
	s_cmp_eq_u32 s3, 0
	s_cselect_b32 s3, s12, -1
	s_delay_alu instid0(SALU_CYCLE_1) | instskip(SKIP_2) | instid1(SALU_CYCLE_1)
	s_cmp_lg_u32 s3, 0
	s_cselect_b32 s3, s11, s10
	s_cselect_b32 s2, s2, s7
	s_xor_b64 s[2:3], s[2:3], s[8:9]
	s_delay_alu instid0(SALU_CYCLE_1)
	s_sub_u32 s2, s2, s8
	s_subb_u32 s3, s3, s8
	s_cbranch_execnz .LBB67_5
.LBB67_4:
	v_cvt_f32_u32_e32 v1, s25
	s_sub_i32 s3, 0, s25
	s_delay_alu instid0(VALU_DEP_1) | instskip(SKIP_2) | instid1(VALU_DEP_1)
	v_rcp_iflag_f32_e32 v1, v1
	s_waitcnt_depctr 0xfff
	v_mul_f32_e32 v1, 0x4f7ffffe, v1
	v_cvt_u32_f32_e32 v1, v1
	s_delay_alu instid0(VALU_DEP_1) | instskip(NEXT) | instid1(VALU_DEP_1)
	v_readfirstlane_b32 s2, v1
	s_mul_i32 s3, s3, s2
	s_delay_alu instid0(SALU_CYCLE_1) | instskip(NEXT) | instid1(SALU_CYCLE_1)
	s_mul_hi_u32 s3, s2, s3
	s_add_i32 s2, s2, s3
	s_delay_alu instid0(SALU_CYCLE_1) | instskip(NEXT) | instid1(SALU_CYCLE_1)
	s_mul_hi_u32 s2, s6, s2
	s_mul_i32 s3, s2, s25
	s_delay_alu instid0(SALU_CYCLE_1)
	s_sub_i32 s3, s6, s3
	s_add_i32 s6, s2, 1
	s_sub_i32 s7, s3, s25
	s_cmp_ge_u32 s3, s25
	s_cselect_b32 s2, s6, s2
	s_cselect_b32 s3, s7, s3
	s_add_i32 s6, s2, 1
	s_cmp_ge_u32 s3, s25
	s_mov_b32 s3, 0
	s_cselect_b32 s2, s6, s2
.LBB67_5:
	v_mov_b32_e32 v1, 0
	s_add_u32 s2, s2, 1
	s_addc_u32 s3, s3, 0
	s_mul_hi_u32 s6, s24, s2
	s_mul_i32 s3, s24, s3
	v_mad_u64_u32 v[13:14], null, s5, s15, v[0:1]
	s_mul_hi_u32 s4, s4, s5
	s_add_i32 s3, s6, s3
	s_mul_i32 s4, s4, s2
	s_mul_i32 s2, s24, s2
	s_add_i32 s3, s3, s4
	s_mov_b32 s4, exec_lo
	s_lshl_b64 s[2:3], s[2:3], 1
	s_delay_alu instid0(SALU_CYCLE_1)
	v_cmpx_gt_i64_e64 s[2:3], v[13:14]
	s_cbranch_execz .LBB67_48
; %bb.6:
	v_alignbit_b32 v17, v3, v2, 2
	v_mad_u64_u32 v[4:5], null, 0xcd9e8d57, v13, 0
	v_lshrrev_b32_e32 v18, 2, v3
	s_waitcnt vmcnt(0)
	v_dual_mov_b32 v9, v12 :: v_dual_add_nc_u32 v28, 0x8ff34781, v11
	v_mad_u64_u32 v[0:1], null, 0xd2511f53, v17, 0
	v_add_co_u32 v20, null, 0x9e3779b9, v11
	v_xor3_b32 v3, v11, v5, v18
	s_delay_alu instid0(VALU_DEP_4) | instskip(SKIP_2) | instid1(VALU_DEP_4)
	v_add_co_u32 v19, null, 0xbb67ae85, v9
	v_add_co_u32 v21, null, 0x3c6ef372, v11
	v_xor_b32_e32 v1, v1, v12
	v_mad_u64_u32 v[5:6], null, 0xd2511f53, v3, 0
	v_add_co_u32 v22, null, 0x76cf5d0a, v9
	s_delay_alu instid0(VALU_DEP_3) | instskip(SKIP_2) | instid1(VALU_DEP_3)
	v_xor_b32_e32 v1, v1, v14
	v_add_co_u32 v23, null, 0x32370b8f, v9
	v_add_co_u32 v24, null, 0xdaa66d2b, v11
	v_mad_u64_u32 v[7:8], null, 0xcd9e8d57, v1, 0
	v_xor3_b32 v3, v19, v6, v0
	v_add_co_u32 v25, null, 0x78dde6e4, v11
	v_add_co_u32 v26, null, 0xed9eba14, v9
	s_delay_alu instid0(VALU_DEP_3) | instskip(SKIP_3) | instid1(VALU_DEP_3)
	v_mad_u64_u32 v[0:1], null, 0xcd9e8d57, v3, 0
	v_xor3_b32 v6, v20, v8, v4
	v_dual_mov_b32 v38, v13 :: v_dual_and_b32 v27, 3, v2
	v_add_co_u32 v29, null, 0xa9066899, v9
	v_mad_u64_u32 v[3:4], null, 0xd2511f53, v6, 0
	v_xor3_b32 v1, v21, v1, v7
	v_add_co_u32 v30, null, 0x1715609d, v11
	v_add_co_u32 v32, null, 0xb54cda56, v11
	;; [unrolled: 1-line block ×3, first 2 shown]
	v_xor3_b32 v8, v22, v4, v5
	v_mad_u64_u32 v[4:5], null, 0xd2511f53, v1, 0
	s_load_b256 s[4:11], s[0:1], 0x30
	v_add_co_u32 v31, null, 0x5384540f, v11
	s_delay_alu instid0(VALU_DEP_3) | instskip(SKIP_1) | instid1(VALU_DEP_4)
	v_mad_u64_u32 v[6:7], null, 0xcd9e8d57, v8, 0
	v_add_co_u32 v35, null, 0x1fd5c5a3, v9
	v_xor3_b32 v3, v23, v5, v3
	v_add_co_u32 v34, null, 0xf1bbcdc8, v11
	v_add_co_u32 v36, null, 0xdb3d7428, v9
	v_xor3_b32 v5, v24, v7, v0
	s_delay_alu instid0(VALU_DEP_4)
	v_mad_u64_u32 v[0:1], null, 0xcd9e8d57, v3, 0
	s_add_u32 s12, s0, 48
	s_clause 0x1
	s_load_b64 s[14:15], s[0:1], 0xf4
	s_load_b64 s[18:19], s[0:1], 0x138
	v_mad_u64_u32 v[7:8], null, 0xd2511f53, v5, 0
	s_addc_u32 s13, s1, 0
	s_waitcnt lgkmcnt(0)
	s_add_i32 s20, s4, -1
	v_xor3_b32 v3, v25, v1, v6
	s_cmp_gt_u32 s20, 1
	v_add_nc_u32_e32 v37, 0x96a522ad, v12
	s_cselect_b32 s11, -1, 0
	v_xor3_b32 v5, v26, v8, v4
	v_mad_u64_u32 v[1:2], null, 0xd2511f53, v3, 0
	s_cmp_lg_u32 s4, 0
	v_mov_b32_e32 v39, v14
	s_delay_alu instid0(VALU_DEP_3) | instskip(SKIP_2) | instid1(VALU_DEP_3)
	v_mad_u64_u32 v[3:4], null, 0xcd9e8d57, v5, 0
	s_cselect_b32 s27, -1, 0
	s_add_u32 s0, s0, 0xf4
	v_xor3_b32 v2, v29, v2, v7
	s_addc_u32 s1, s1, 0
	s_min_u32 s21, s20, 15
	s_cmp_gt_u32 s4, 1
	s_delay_alu instid0(VALU_DEP_2) | instskip(SKIP_3) | instid1(VALU_DEP_2)
	v_xor3_b32 v0, v30, v4, v0
	v_mad_u64_u32 v[4:5], null, 0xcd9e8d57, v2, 0
	s_cselect_b32 s4, -1, 0
	s_add_i32 s21, s21, 1
	v_mad_u64_u32 v[6:7], null, 0xd2511f53, v0, 0
	s_and_b32 s28, s21, 3
	s_cmp_lg_u32 s20, 2
	s_delay_alu instid0(VALU_DEP_2) | instskip(SKIP_3) | instid1(VALU_DEP_2)
	v_xor3_b32 v2, v32, v5, v3
	s_cselect_b32 s29, -1, 0
	s_and_b32 s30, s21, 28
	s_cmp_lg_u32 s28, 0
	v_xor3_b32 v5, v33, v7, v1
	v_mad_u64_u32 v[0:1], null, 0xd2511f53, v2, 0
	s_mov_b32 s26, 0
	s_cselect_b32 s31, -1, 0
	s_delay_alu instid0(VALU_DEP_2) | instskip(NEXT) | instid1(VALU_DEP_2)
	v_mad_u64_u32 v[2:3], null, 0xcd9e8d57, v5, 0
	v_xor3_b32 v1, v35, v1, v6
	s_delay_alu instid0(VALU_DEP_2) | instskip(NEXT) | instid1(VALU_DEP_2)
	v_xor3_b32 v3, v31, v3, v4
	v_mad_u64_u32 v[4:5], null, 0xcd9e8d57, v1, 0
	s_delay_alu instid0(VALU_DEP_2) | instskip(NEXT) | instid1(VALU_DEP_2)
	v_mad_u64_u32 v[6:7], null, 0xd2511f53, v3, 0
	v_xor3_b32 v1, v34, v5, v2
	s_delay_alu instid0(VALU_DEP_2) | instskip(NEXT) | instid1(VALU_DEP_2)
	v_xor3_b32 v0, v36, v7, v0
	v_mad_u64_u32 v[7:8], null, 0xd2511f53, v1, 0
	s_delay_alu instid0(VALU_DEP_2) | instskip(NEXT) | instid1(VALU_DEP_2)
	v_mad_u64_u32 v[1:2], null, 0xcd9e8d57, v0, 0
	v_mov_b32_e32 v3, v7
	s_delay_alu instid0(VALU_DEP_2) | instskip(NEXT) | instid1(VALU_DEP_4)
	v_xor3_b32 v0, v2, v4, v28
	v_xor3_b32 v2, v8, v6, v37
	s_branch .LBB67_9
.LBB67_7:                               ;   in Loop: Header=BB67_9 Depth=1
	v_xor_b32_e32 v0, v3, v2
	v_cls_i32_e32 v1, v2
	s_delay_alu instid0(VALU_DEP_2) | instskip(NEXT) | instid1(VALU_DEP_2)
	v_ashrrev_i32_e32 v0, 31, v0
	v_dual_mov_b32 v1, v3 :: v_dual_add_nc_u32 v8, -1, v1
	s_delay_alu instid0(VALU_DEP_2) | instskip(NEXT) | instid1(VALU_DEP_1)
	v_add_nc_u32_e32 v0, 32, v0
	v_min_u32_e32 v3, v8, v0
	s_delay_alu instid0(VALU_DEP_1) | instskip(NEXT) | instid1(VALU_DEP_1)
	v_lshlrev_b64 v[0:1], v3, v[1:2]
	v_min_u32_e32 v0, 1, v0
	s_delay_alu instid0(VALU_DEP_1) | instskip(SKIP_1) | instid1(VALU_DEP_2)
	v_or_b32_e32 v0, v1, v0
	v_sub_nc_u32_e32 v1, 32, v3
	v_cvt_f32_i32_e32 v0, v0
	s_delay_alu instid0(VALU_DEP_1) | instskip(NEXT) | instid1(VALU_DEP_1)
	v_ldexp_f32 v0, v0, v1
	v_bfe_u32 v1, v0, 16, 1
	s_delay_alu instid0(VALU_DEP_1)
	v_add3_u32 v0, v0, v1, 0x7fff
	global_store_d16_hi_b16 v7, v0, s[18:19]
.LBB67_8:                               ;   in Loop: Header=BB67_9 Depth=1
	s_or_b32 exec_lo, exec_lo, s33
	v_add_co_u32 v13, vcc_lo, v13, s25
	v_add_co_ci_u32_e32 v14, vcc_lo, 0, v14, vcc_lo
	v_mov_b32_e32 v7, v15
	v_dual_mov_b32 v0, v4 :: v_dual_mov_b32 v1, v5
	s_delay_alu instid0(VALU_DEP_3) | instskip(NEXT) | instid1(VALU_DEP_3)
	v_cmp_le_i64_e32 vcc_lo, s[2:3], v[13:14]
	v_dual_mov_b32 v2, v6 :: v_dual_mov_b32 v3, v7
	s_waitcnt_vscnt null, 0x0
	s_barrier
	buffer_gl0_inv
	s_or_b32 s26, vcc_lo, s26
	s_delay_alu instid0(SALU_CYCLE_1)
	s_and_not1_b32 exec_lo, exec_lo, s26
	s_cbranch_execz .LBB67_48
.LBB67_9:                               ; =>This Loop Header: Depth=1
                                        ;     Child Loop BB67_24 Depth 2
                                        ;     Child Loop BB67_29 Depth 2
	;; [unrolled: 1-line block ×4, first 2 shown]
	v_add_co_u32 v17, vcc_lo, v17, 1
	s_delay_alu instid0(VALU_DEP_1) | instskip(SKIP_2) | instid1(VALU_DEP_1)
	v_cndmask_b32_e64 v4, 0, 1, vcc_lo
	v_add_co_ci_u32_e32 v18, vcc_lo, 0, v18, vcc_lo
	s_mov_b32 s20, exec_lo
	v_cmp_eq_u32_e32 vcc_lo, 0, v18
	s_delay_alu instid0(VALU_DEP_3) | instskip(NEXT) | instid1(VALU_DEP_1)
	v_cndmask_b32_e32 v4, 0, v4, vcc_lo
	v_add_nc_u32_e32 v38, v4, v38
	s_delay_alu instid0(VALU_DEP_1) | instskip(SKIP_2) | instid1(VALU_DEP_2)
	v_cmp_eq_u32_e32 vcc_lo, 0, v38
	v_mad_u64_u32 v[6:7], null, 0xcd9e8d57, v38, 0
	v_cndmask_b32_e32 v4, 0, v4, vcc_lo
	v_xor3_b32 v9, v7, v11, v18
	s_delay_alu instid0(VALU_DEP_2) | instskip(SKIP_1) | instid1(VALU_DEP_3)
	v_add_nc_u32_e32 v39, v4, v39
	v_mad_u64_u32 v[4:5], null, 0xd2511f53, v17, 0
	v_mad_u64_u32 v[7:8], null, 0xd2511f53, v9, 0
	s_delay_alu instid0(VALU_DEP_2) | instskip(NEXT) | instid1(VALU_DEP_2)
	v_xor_b32_e32 v5, v5, v12
	v_xor3_b32 v8, v19, v8, v4
	s_delay_alu instid0(VALU_DEP_2) | instskip(NEXT) | instid1(VALU_DEP_1)
	v_xor_b32_e32 v5, v39, v5
	v_mad_u64_u32 v[9:10], null, 0xcd9e8d57, v5, 0
	s_delay_alu instid0(VALU_DEP_3) | instskip(NEXT) | instid1(VALU_DEP_2)
	v_mad_u64_u32 v[4:5], null, 0xcd9e8d57, v8, 0
	v_xor3_b32 v6, v20, v10, v6
	s_delay_alu instid0(VALU_DEP_2) | instskip(NEXT) | instid1(VALU_DEP_2)
	v_xor3_b32 v8, v21, v5, v9
	v_mad_u64_u32 v[15:16], null, 0xd2511f53, v6, 0
	s_delay_alu instid0(VALU_DEP_2) | instskip(NEXT) | instid1(VALU_DEP_2)
	v_mad_u64_u32 v[5:6], null, 0xd2511f53, v8, 0
	v_xor3_b32 v9, v22, v16, v7
	s_delay_alu instid0(VALU_DEP_2) | instskip(NEXT) | instid1(VALU_DEP_2)
	v_xor3_b32 v6, v23, v6, v15
	v_mad_u64_u32 v[7:8], null, 0xcd9e8d57, v9, 0
	s_delay_alu instid0(VALU_DEP_1) | instskip(NEXT) | instid1(VALU_DEP_3)
	v_xor3_b32 v4, v24, v8, v4
	v_mad_u64_u32 v[8:9], null, 0xcd9e8d57, v6, 0
	s_delay_alu instid0(VALU_DEP_2) | instskip(NEXT) | instid1(VALU_DEP_2)
	v_mad_u64_u32 v[15:16], null, 0xd2511f53, v4, 0
	v_xor3_b32 v6, v25, v9, v7
	s_delay_alu instid0(VALU_DEP_2) | instskip(NEXT) | instid1(VALU_DEP_2)
	v_xor3_b32 v9, v26, v16, v5
	v_mad_u64_u32 v[4:5], null, 0xd2511f53, v6, 0
	s_delay_alu instid0(VALU_DEP_2) | instskip(NEXT) | instid1(VALU_DEP_2)
	v_mad_u64_u32 v[6:7], null, 0xcd9e8d57, v9, 0
	v_xor3_b32 v5, v29, v5, v15
	s_delay_alu instid0(VALU_DEP_2) | instskip(NEXT) | instid1(VALU_DEP_2)
	;; [unrolled: 6-line block ×6, first 2 shown]
	v_xor3_b32 v4, v6, v7, v28
	v_mov_b32_e32 v6, v10
	v_cmpx_lt_i32_e32 1, v27
	s_xor_b32 s20, exec_lo, s20
	s_cbranch_execnz .LBB67_12
; %bb.10:                               ;   in Loop: Header=BB67_9 Depth=1
	s_and_not1_saveexec_b32 s20, s20
	s_cbranch_execnz .LBB67_17
.LBB67_11:                              ;   in Loop: Header=BB67_9 Depth=1
	s_or_b32 exec_lo, exec_lo, s20
	s_delay_alu instid0(SALU_CYCLE_1)
	s_mov_b32 s33, exec_lo
	v_cmpx_gt_i64_e64 s[16:17], v[13:14]
	s_cbranch_execnz .LBB67_20
	s_branch .LBB67_34
.LBB67_12:                              ;   in Loop: Header=BB67_9 Depth=1
	s_mov_b32 s21, exec_lo
	v_cmpx_lt_i32_e32 2, v27
	s_xor_b32 s21, exec_lo, s21
; %bb.13:                               ;   in Loop: Header=BB67_9 Depth=1
	v_dual_mov_b32 v7, v3 :: v_dual_mov_b32 v8, v4
	v_mov_b32_e32 v9, v5
	s_delay_alu instid0(VALU_DEP_2) | instskip(NEXT) | instid1(VALU_DEP_2)
	v_dual_mov_b32 v0, v7 :: v_dual_mov_b32 v1, v8
	v_dual_mov_b32 v2, v9 :: v_dual_mov_b32 v3, v10
; %bb.14:                               ;   in Loop: Header=BB67_9 Depth=1
	s_and_not1_saveexec_b32 s21, s21
; %bb.15:                               ;   in Loop: Header=BB67_9 Depth=1
	s_delay_alu instid0(VALU_DEP_1)
	v_dual_mov_b32 v0, v2 :: v_dual_mov_b32 v1, v3
	v_dual_mov_b32 v2, v4 :: v_dual_mov_b32 v3, v5
; %bb.16:                               ;   in Loop: Header=BB67_9 Depth=1
	s_or_b32 exec_lo, exec_lo, s21
	s_and_not1_saveexec_b32 s20, s20
	s_cbranch_execz .LBB67_11
.LBB67_17:                              ;   in Loop: Header=BB67_9 Depth=1
	s_mov_b32 s21, exec_lo
	v_cmpx_eq_u32_e32 1, v27
; %bb.18:                               ;   in Loop: Header=BB67_9 Depth=1
	v_dual_mov_b32 v0, v1 :: v_dual_mov_b32 v1, v2
	v_dual_mov_b32 v2, v3 :: v_dual_mov_b32 v3, v4
; %bb.19:                               ;   in Loop: Header=BB67_9 Depth=1
	s_or_b32 exec_lo, exec_lo, s21
	s_delay_alu instid0(SALU_CYCLE_1) | instskip(NEXT) | instid1(SALU_CYCLE_1)
	s_or_b32 exec_lo, exec_lo, s20
	s_mov_b32 s33, exec_lo
	v_cmpx_gt_i64_e64 s[16:17], v[13:14]
	s_cbranch_execz .LBB67_34
.LBB67_20:                              ;   in Loop: Header=BB67_9 Depth=1
	s_and_not1_b32 vcc_lo, exec_lo, s11
	s_cbranch_vccnz .LBB67_26
; %bb.21:                               ;   in Loop: Header=BB67_9 Depth=1
	v_mov_b32_e32 v7, 0
	s_and_not1_b32 vcc_lo, exec_lo, s27
	s_cbranch_vccnz .LBB67_30
; %bb.22:                               ;   in Loop: Header=BB67_9 Depth=1
	s_and_not1_b32 vcc_lo, exec_lo, s29
	s_mov_b32 s20, 0
	s_cbranch_vccnz .LBB67_27
; %bb.23:                               ;   in Loop: Header=BB67_9 Depth=1
	v_dual_mov_b32 v7, 0 :: v_dual_mov_b32 v8, v13
	s_mov_b32 s34, 0
	s_mov_b64 s[20:21], s[12:13]
	s_mov_b64 s[22:23], s[0:1]
.LBB67_24:                              ;   Parent Loop BB67_9 Depth=1
                                        ; =>  This Inner Loop Header: Depth=2
	s_clause 0x1
	s_load_b256 s[36:43], s[20:21], 0x4
	s_load_b128 s[44:47], s[20:21], 0x24
	s_load_b128 s[48:51], s[22:23], 0x0
	s_add_u32 s20, s20, 48
	s_addc_u32 s21, s21, 0
	s_add_i32 s34, s34, 4
	s_add_u32 s22, s22, 16
	s_addc_u32 s23, s23, 0
	s_cmp_lg_u32 s30, s34
	s_waitcnt lgkmcnt(0)
	v_mul_hi_u32 v9, s37, v8
	s_delay_alu instid0(VALU_DEP_1) | instskip(NEXT) | instid1(VALU_DEP_1)
	v_add_nc_u32_e32 v9, v8, v9
	v_lshrrev_b32_e32 v9, s38, v9
	s_delay_alu instid0(VALU_DEP_1) | instskip(SKIP_1) | instid1(VALU_DEP_2)
	v_mul_hi_u32 v10, s40, v9
	v_mul_lo_u32 v41, v9, s36
	v_add_nc_u32_e32 v10, v9, v10
	s_delay_alu instid0(VALU_DEP_2) | instskip(NEXT) | instid1(VALU_DEP_2)
	v_sub_nc_u32_e32 v41, v8, v41
	v_lshrrev_b32_e32 v10, s41, v10
	s_delay_alu instid0(VALU_DEP_2) | instskip(NEXT) | instid1(VALU_DEP_2)
	v_mul_lo_u32 v41, v41, s48
	v_mul_hi_u32 v16, s43, v10
	v_mul_lo_u32 v42, v10, s39
	s_delay_alu instid0(VALU_DEP_2) | instskip(NEXT) | instid1(VALU_DEP_2)
	v_add_nc_u32_e32 v16, v10, v16
	v_sub_nc_u32_e32 v9, v9, v42
	s_delay_alu instid0(VALU_DEP_2) | instskip(NEXT) | instid1(VALU_DEP_2)
	v_lshrrev_b32_e32 v16, s44, v16
	v_mul_lo_u32 v9, v9, s49
	s_delay_alu instid0(VALU_DEP_2) | instskip(NEXT) | instid1(VALU_DEP_2)
	v_mul_hi_u32 v40, s46, v16
	v_add3_u32 v7, v41, v7, v9
	s_delay_alu instid0(VALU_DEP_2) | instskip(NEXT) | instid1(VALU_DEP_1)
	v_add_nc_u32_e32 v40, v16, v40
	v_lshrrev_b32_e32 v8, s47, v40
	v_mul_lo_u32 v40, v16, s42
	s_delay_alu instid0(VALU_DEP_2) | instskip(NEXT) | instid1(VALU_DEP_2)
	v_mul_lo_u32 v43, v8, s45
	v_sub_nc_u32_e32 v10, v10, v40
	s_delay_alu instid0(VALU_DEP_2) | instskip(NEXT) | instid1(VALU_DEP_2)
	v_sub_nc_u32_e32 v16, v16, v43
	v_mul_lo_u32 v10, v10, s50
	s_delay_alu instid0(VALU_DEP_2) | instskip(NEXT) | instid1(VALU_DEP_1)
	v_mul_lo_u32 v16, v16, s51
	v_add3_u32 v7, v10, v7, v16
	s_cbranch_scc1 .LBB67_24
; %bb.25:                               ;   in Loop: Header=BB67_9 Depth=1
	s_mov_b32 s20, s30
	s_and_not1_b32 vcc_lo, exec_lo, s31
	s_cbranch_vccz .LBB67_28
	s_branch .LBB67_30
.LBB67_26:                              ;   in Loop: Header=BB67_9 Depth=1
                                        ; implicit-def: $vgpr7
	s_branch .LBB67_31
.LBB67_27:                              ;   in Loop: Header=BB67_9 Depth=1
	v_mov_b32_e32 v8, v13
	s_and_not1_b32 vcc_lo, exec_lo, s31
	s_cbranch_vccnz .LBB67_30
.LBB67_28:                              ;   in Loop: Header=BB67_9 Depth=1
	s_lshl_b32 s21, s20, 2
	s_mul_i32 s22, s20, 12
	s_add_u32 s20, s0, s21
	s_addc_u32 s21, s1, 0
	s_add_u32 s22, s12, s22
	s_addc_u32 s23, s13, 0
	s_mov_b32 s34, s28
	.p2align	6
.LBB67_29:                              ;   Parent Loop BB67_9 Depth=1
                                        ; =>  This Inner Loop Header: Depth=2
	s_clause 0x1
	s_load_b64 s[36:37], s[22:23], 0x4
	s_load_b32 s35, s[22:23], 0xc
	s_add_u32 s22, s22, 12
	s_addc_u32 s23, s23, 0
	s_waitcnt lgkmcnt(0)
	v_mul_hi_u32 v9, s37, v8
	s_load_b32 s37, s[20:21], 0x0
	s_add_u32 s20, s20, 4
	s_addc_u32 s21, s21, 0
	s_add_i32 s34, s34, -1
	s_delay_alu instid0(SALU_CYCLE_1) | instskip(NEXT) | instid1(VALU_DEP_1)
	s_cmp_lg_u32 s34, 0
	v_add_nc_u32_e32 v9, v8, v9
	s_delay_alu instid0(VALU_DEP_1) | instskip(NEXT) | instid1(VALU_DEP_1)
	v_lshrrev_b32_e32 v16, s35, v9
	v_mul_lo_u32 v9, v16, s36
	s_delay_alu instid0(VALU_DEP_1) | instskip(SKIP_1) | instid1(VALU_DEP_1)
	v_sub_nc_u32_e32 v8, v8, v9
	s_waitcnt lgkmcnt(0)
	v_mad_u64_u32 v[9:10], null, v8, s37, v[7:8]
	s_delay_alu instid0(VALU_DEP_1)
	v_dual_mov_b32 v8, v16 :: v_dual_mov_b32 v7, v9
	s_cbranch_scc1 .LBB67_29
.LBB67_30:                              ;   in Loop: Header=BB67_9 Depth=1
	s_cbranch_execnz .LBB67_33
.LBB67_31:                              ;   in Loop: Header=BB67_9 Depth=1
	v_mul_hi_u32 v7, v13, s6
	s_and_not1_b32 vcc_lo, exec_lo, s4
	s_delay_alu instid0(VALU_DEP_1) | instskip(NEXT) | instid1(VALU_DEP_1)
	v_add_nc_u32_e32 v7, v7, v13
	v_lshrrev_b32_e32 v8, s7, v7
	s_delay_alu instid0(VALU_DEP_1) | instskip(NEXT) | instid1(VALU_DEP_1)
	v_mul_lo_u32 v7, v8, s5
	v_sub_nc_u32_e32 v7, v13, v7
	s_delay_alu instid0(VALU_DEP_1)
	v_mul_lo_u32 v7, v7, s14
	s_cbranch_vccnz .LBB67_33
; %bb.32:                               ;   in Loop: Header=BB67_9 Depth=1
	v_mul_hi_u32 v9, s9, v8
	s_delay_alu instid0(VALU_DEP_1) | instskip(NEXT) | instid1(VALU_DEP_1)
	v_add_nc_u32_e32 v9, v8, v9
	v_lshrrev_b32_e32 v9, s10, v9
	s_delay_alu instid0(VALU_DEP_1) | instskip(NEXT) | instid1(VALU_DEP_1)
	v_mul_lo_u32 v9, v9, s8
	v_sub_nc_u32_e32 v10, v8, v9
	s_delay_alu instid0(VALU_DEP_1) | instskip(NEXT) | instid1(VALU_DEP_1)
	v_mad_u64_u32 v[8:9], null, v10, s15, v[7:8]
	v_mov_b32_e32 v7, v8
.LBB67_33:                              ;   in Loop: Header=BB67_9 Depth=1
	v_xor_b32_e32 v8, v1, v0
	v_cls_i32_e32 v9, v0
	s_delay_alu instid0(VALU_DEP_2) | instskip(NEXT) | instid1(VALU_DEP_2)
	v_ashrrev_i32_e32 v8, 31, v8
	v_dual_mov_b32 v9, v0 :: v_dual_add_nc_u32 v10, -1, v9
	s_delay_alu instid0(VALU_DEP_2) | instskip(SKIP_1) | instid1(VALU_DEP_2)
	v_add_nc_u32_e32 v16, 32, v8
	v_mov_b32_e32 v8, v1
	v_min_u32_e32 v10, v10, v16
	s_delay_alu instid0(VALU_DEP_1) | instskip(NEXT) | instid1(VALU_DEP_1)
	v_lshlrev_b64 v[0:1], v10, v[8:9]
	v_min_u32_e32 v0, 1, v0
	s_delay_alu instid0(VALU_DEP_1) | instskip(SKIP_1) | instid1(VALU_DEP_2)
	v_or_b32_e32 v0, v1, v0
	v_sub_nc_u32_e32 v1, 32, v10
	v_cvt_f32_i32_e32 v0, v0
	s_delay_alu instid0(VALU_DEP_1) | instskip(NEXT) | instid1(VALU_DEP_1)
	v_ldexp_f32 v0, v0, v1
	v_bfe_u32 v1, v0, 16, 1
	s_delay_alu instid0(VALU_DEP_1)
	v_add3_u32 v0, v0, v1, 0x7fff
	global_store_d16_hi_b16 v7, v0, s[18:19]
.LBB67_34:                              ;   in Loop: Header=BB67_9 Depth=1
	s_or_b32 exec_lo, exec_lo, s33
	v_add_co_u32 v0, vcc_lo, v13, s24
	v_add_co_ci_u32_e32 v1, vcc_lo, 0, v14, vcc_lo
	s_mov_b32 s33, exec_lo
	s_delay_alu instid0(VALU_DEP_1)
	v_cmpx_gt_i64_e64 s[16:17], v[0:1]
	s_cbranch_execz .LBB67_8
; %bb.35:                               ;   in Loop: Header=BB67_9 Depth=1
	s_and_not1_b32 vcc_lo, exec_lo, s11
	s_cbranch_vccnz .LBB67_41
; %bb.36:                               ;   in Loop: Header=BB67_9 Depth=1
	v_mov_b32_e32 v7, 0
	s_and_not1_b32 vcc_lo, exec_lo, s27
	s_cbranch_vccnz .LBB67_45
; %bb.37:                               ;   in Loop: Header=BB67_9 Depth=1
	s_and_not1_b32 vcc_lo, exec_lo, s29
	s_mov_b32 s20, 0
	s_cbranch_vccnz .LBB67_42
; %bb.38:                               ;   in Loop: Header=BB67_9 Depth=1
	v_mov_b32_e32 v7, 0
	v_mov_b32_e32 v1, v0
	s_mov_b32 s34, 0
	s_mov_b64 s[20:21], s[12:13]
	s_mov_b64 s[22:23], s[0:1]
.LBB67_39:                              ;   Parent Loop BB67_9 Depth=1
                                        ; =>  This Inner Loop Header: Depth=2
	s_clause 0x1
	s_load_b256 s[36:43], s[20:21], 0x4
	s_load_b128 s[44:47], s[20:21], 0x24
	s_load_b128 s[48:51], s[22:23], 0x0
	s_add_u32 s20, s20, 48
	s_addc_u32 s21, s21, 0
	s_add_i32 s34, s34, 4
	s_add_u32 s22, s22, 16
	s_addc_u32 s23, s23, 0
	s_cmp_eq_u32 s30, s34
	s_waitcnt lgkmcnt(0)
	v_mul_hi_u32 v8, s37, v1
	s_delay_alu instid0(VALU_DEP_1) | instskip(NEXT) | instid1(VALU_DEP_1)
	v_add_nc_u32_e32 v8, v1, v8
	v_lshrrev_b32_e32 v8, s38, v8
	s_delay_alu instid0(VALU_DEP_1) | instskip(SKIP_1) | instid1(VALU_DEP_2)
	v_mul_hi_u32 v9, s40, v8
	v_mul_lo_u32 v40, v8, s36
	v_add_nc_u32_e32 v9, v8, v9
	s_delay_alu instid0(VALU_DEP_2) | instskip(NEXT) | instid1(VALU_DEP_2)
	v_sub_nc_u32_e32 v40, v1, v40
	v_lshrrev_b32_e32 v9, s41, v9
	s_delay_alu instid0(VALU_DEP_2) | instskip(NEXT) | instid1(VALU_DEP_2)
	v_mul_lo_u32 v40, v40, s48
	v_mul_hi_u32 v10, s43, v9
	v_mul_lo_u32 v41, v9, s39
	s_delay_alu instid0(VALU_DEP_2) | instskip(NEXT) | instid1(VALU_DEP_2)
	v_add_nc_u32_e32 v10, v9, v10
	v_sub_nc_u32_e32 v8, v8, v41
	s_delay_alu instid0(VALU_DEP_2) | instskip(NEXT) | instid1(VALU_DEP_2)
	v_lshrrev_b32_e32 v10, s44, v10
	v_mul_lo_u32 v8, v8, s49
	s_delay_alu instid0(VALU_DEP_2) | instskip(NEXT) | instid1(VALU_DEP_2)
	v_mul_hi_u32 v16, s46, v10
	v_add3_u32 v7, v40, v7, v8
	s_delay_alu instid0(VALU_DEP_2) | instskip(NEXT) | instid1(VALU_DEP_1)
	v_add_nc_u32_e32 v16, v10, v16
	v_lshrrev_b32_e32 v1, s47, v16
	v_mul_lo_u32 v16, v10, s42
	s_delay_alu instid0(VALU_DEP_2) | instskip(NEXT) | instid1(VALU_DEP_2)
	v_mul_lo_u32 v42, v1, s45
	v_sub_nc_u32_e32 v9, v9, v16
	s_delay_alu instid0(VALU_DEP_2) | instskip(NEXT) | instid1(VALU_DEP_2)
	v_sub_nc_u32_e32 v10, v10, v42
	v_mul_lo_u32 v9, v9, s50
	s_delay_alu instid0(VALU_DEP_2) | instskip(NEXT) | instid1(VALU_DEP_1)
	v_mul_lo_u32 v10, v10, s51
	v_add3_u32 v7, v9, v7, v10
	s_cbranch_scc0 .LBB67_39
; %bb.40:                               ;   in Loop: Header=BB67_9 Depth=1
	s_mov_b32 s20, s30
	s_and_not1_b32 vcc_lo, exec_lo, s31
	s_cbranch_vccz .LBB67_43
	s_branch .LBB67_45
.LBB67_41:                              ;   in Loop: Header=BB67_9 Depth=1
                                        ; implicit-def: $vgpr7
	s_branch .LBB67_46
.LBB67_42:                              ;   in Loop: Header=BB67_9 Depth=1
	v_mov_b32_e32 v1, v0
	s_and_not1_b32 vcc_lo, exec_lo, s31
	s_cbranch_vccnz .LBB67_45
.LBB67_43:                              ;   in Loop: Header=BB67_9 Depth=1
	s_lshl_b32 s21, s20, 2
	s_mul_i32 s22, s20, 12
	s_add_u32 s20, s0, s21
	s_addc_u32 s21, s1, 0
	s_add_u32 s22, s12, s22
	s_addc_u32 s23, s13, 0
	s_mov_b32 s34, s28
	.p2align	6
.LBB67_44:                              ;   Parent Loop BB67_9 Depth=1
                                        ; =>  This Inner Loop Header: Depth=2
	s_clause 0x1
	s_load_b64 s[36:37], s[22:23], 0x4
	s_load_b32 s35, s[22:23], 0xc
	s_add_u32 s22, s22, 12
	s_addc_u32 s23, s23, 0
	s_waitcnt lgkmcnt(0)
	v_mul_hi_u32 v8, s37, v1
	s_load_b32 s37, s[20:21], 0x0
	s_add_u32 s20, s20, 4
	s_addc_u32 s21, s21, 0
	s_add_i32 s34, s34, -1
	s_delay_alu instid0(SALU_CYCLE_1) | instskip(NEXT) | instid1(VALU_DEP_1)
	s_cmp_lg_u32 s34, 0
	v_add_nc_u32_e32 v8, v1, v8
	s_delay_alu instid0(VALU_DEP_1) | instskip(NEXT) | instid1(VALU_DEP_1)
	v_lshrrev_b32_e32 v10, s35, v8
	v_mul_lo_u32 v8, v10, s36
	s_delay_alu instid0(VALU_DEP_1) | instskip(SKIP_1) | instid1(VALU_DEP_1)
	v_sub_nc_u32_e32 v1, v1, v8
	s_waitcnt lgkmcnt(0)
	v_mad_u64_u32 v[8:9], null, v1, s37, v[7:8]
	v_mov_b32_e32 v1, v10
	s_delay_alu instid0(VALU_DEP_2)
	v_mov_b32_e32 v7, v8
	s_cbranch_scc1 .LBB67_44
.LBB67_45:                              ;   in Loop: Header=BB67_9 Depth=1
	s_cbranch_execnz .LBB67_7
.LBB67_46:                              ;   in Loop: Header=BB67_9 Depth=1
	v_mul_hi_u32 v1, v0, s6
	s_and_not1_b32 vcc_lo, exec_lo, s4
	s_delay_alu instid0(VALU_DEP_1) | instskip(NEXT) | instid1(VALU_DEP_1)
	v_add_nc_u32_e32 v1, v1, v0
	v_lshrrev_b32_e32 v1, s7, v1
	s_delay_alu instid0(VALU_DEP_1) | instskip(NEXT) | instid1(VALU_DEP_1)
	v_mul_lo_u32 v7, v1, s5
	v_sub_nc_u32_e32 v0, v0, v7
	s_delay_alu instid0(VALU_DEP_1)
	v_mul_lo_u32 v7, v0, s14
	s_cbranch_vccnz .LBB67_7
; %bb.47:                               ;   in Loop: Header=BB67_9 Depth=1
	v_mul_hi_u32 v0, s9, v1
	s_delay_alu instid0(VALU_DEP_1) | instskip(NEXT) | instid1(VALU_DEP_1)
	v_add_nc_u32_e32 v0, v1, v0
	v_lshrrev_b32_e32 v0, s10, v0
	s_delay_alu instid0(VALU_DEP_1) | instskip(NEXT) | instid1(VALU_DEP_1)
	v_mul_lo_u32 v0, v0, s8
	v_sub_nc_u32_e32 v8, v1, v0
	s_delay_alu instid0(VALU_DEP_1) | instskip(NEXT) | instid1(VALU_DEP_1)
	v_mad_u64_u32 v[0:1], null, v8, s15, v[7:8]
	v_mov_b32_e32 v7, v0
	s_branch .LBB67_7
.LBB67_48:
	s_endpgm
.LBB67_49:
                                        ; implicit-def: $sgpr2_sgpr3
	s_branch .LBB67_4
	.section	.rodata,"a",@progbits
	.p2align	6, 0x0
	.amdhsa_kernel _ZN2at6native12_GLOBAL__N_143distribution_elementwise_grid_stride_kernelImLi2EZZZNS0_9templates4cuda32random_full_64_bits_range_kernelIPNS_17CUDAGeneratorImplEEEvRNS_18TensorIteratorBaseET_ENKUlvE_clEvENKUlvE6_clEvEUlP25hiprandStatePhilox4_32_10E_ZNS1_27distribution_nullary_kernelIN3c108BFloat16Em15HIP_vector_typeIyLj2EES7_SF_ZZZNS5_IS7_EEvS9_SA_ENKSB_clEvENKSC_clEvEUlmE_EEvS9_T2_RKT3_T4_EUlimE0_EEvlNS_15PhiloxCudaStateET1_SM_
		.amdhsa_group_segment_fixed_size 0
		.amdhsa_private_segment_fixed_size 0
		.amdhsa_kernarg_size 584
		.amdhsa_user_sgpr_count 15
		.amdhsa_user_sgpr_dispatch_ptr 0
		.amdhsa_user_sgpr_queue_ptr 0
		.amdhsa_user_sgpr_kernarg_segment_ptr 1
		.amdhsa_user_sgpr_dispatch_id 0
		.amdhsa_user_sgpr_private_segment_size 0
		.amdhsa_wavefront_size32 1
		.amdhsa_uses_dynamic_stack 0
		.amdhsa_enable_private_segment 0
		.amdhsa_system_sgpr_workgroup_id_x 1
		.amdhsa_system_sgpr_workgroup_id_y 0
		.amdhsa_system_sgpr_workgroup_id_z 0
		.amdhsa_system_sgpr_workgroup_info 0
		.amdhsa_system_vgpr_workitem_id 0
		.amdhsa_next_free_vgpr 44
		.amdhsa_next_free_sgpr 52
		.amdhsa_reserve_vcc 1
		.amdhsa_float_round_mode_32 0
		.amdhsa_float_round_mode_16_64 0
		.amdhsa_float_denorm_mode_32 3
		.amdhsa_float_denorm_mode_16_64 3
		.amdhsa_dx10_clamp 1
		.amdhsa_ieee_mode 1
		.amdhsa_fp16_overflow 0
		.amdhsa_workgroup_processor_mode 1
		.amdhsa_memory_ordered 1
		.amdhsa_forward_progress 0
		.amdhsa_shared_vgpr_count 0
		.amdhsa_exception_fp_ieee_invalid_op 0
		.amdhsa_exception_fp_denorm_src 0
		.amdhsa_exception_fp_ieee_div_zero 0
		.amdhsa_exception_fp_ieee_overflow 0
		.amdhsa_exception_fp_ieee_underflow 0
		.amdhsa_exception_fp_ieee_inexact 0
		.amdhsa_exception_int_div_zero 0
	.end_amdhsa_kernel
	.section	.text._ZN2at6native12_GLOBAL__N_143distribution_elementwise_grid_stride_kernelImLi2EZZZNS0_9templates4cuda32random_full_64_bits_range_kernelIPNS_17CUDAGeneratorImplEEEvRNS_18TensorIteratorBaseET_ENKUlvE_clEvENKUlvE6_clEvEUlP25hiprandStatePhilox4_32_10E_ZNS1_27distribution_nullary_kernelIN3c108BFloat16Em15HIP_vector_typeIyLj2EES7_SF_ZZZNS5_IS7_EEvS9_SA_ENKSB_clEvENKSC_clEvEUlmE_EEvS9_T2_RKT3_T4_EUlimE0_EEvlNS_15PhiloxCudaStateET1_SM_,"axG",@progbits,_ZN2at6native12_GLOBAL__N_143distribution_elementwise_grid_stride_kernelImLi2EZZZNS0_9templates4cuda32random_full_64_bits_range_kernelIPNS_17CUDAGeneratorImplEEEvRNS_18TensorIteratorBaseET_ENKUlvE_clEvENKUlvE6_clEvEUlP25hiprandStatePhilox4_32_10E_ZNS1_27distribution_nullary_kernelIN3c108BFloat16Em15HIP_vector_typeIyLj2EES7_SF_ZZZNS5_IS7_EEvS9_SA_ENKSB_clEvENKSC_clEvEUlmE_EEvS9_T2_RKT3_T4_EUlimE0_EEvlNS_15PhiloxCudaStateET1_SM_,comdat
.Lfunc_end67:
	.size	_ZN2at6native12_GLOBAL__N_143distribution_elementwise_grid_stride_kernelImLi2EZZZNS0_9templates4cuda32random_full_64_bits_range_kernelIPNS_17CUDAGeneratorImplEEEvRNS_18TensorIteratorBaseET_ENKUlvE_clEvENKUlvE6_clEvEUlP25hiprandStatePhilox4_32_10E_ZNS1_27distribution_nullary_kernelIN3c108BFloat16Em15HIP_vector_typeIyLj2EES7_SF_ZZZNS5_IS7_EEvS9_SA_ENKSB_clEvENKSC_clEvEUlmE_EEvS9_T2_RKT3_T4_EUlimE0_EEvlNS_15PhiloxCudaStateET1_SM_, .Lfunc_end67-_ZN2at6native12_GLOBAL__N_143distribution_elementwise_grid_stride_kernelImLi2EZZZNS0_9templates4cuda32random_full_64_bits_range_kernelIPNS_17CUDAGeneratorImplEEEvRNS_18TensorIteratorBaseET_ENKUlvE_clEvENKUlvE6_clEvEUlP25hiprandStatePhilox4_32_10E_ZNS1_27distribution_nullary_kernelIN3c108BFloat16Em15HIP_vector_typeIyLj2EES7_SF_ZZZNS5_IS7_EEvS9_SA_ENKSB_clEvENKSC_clEvEUlmE_EEvS9_T2_RKT3_T4_EUlimE0_EEvlNS_15PhiloxCudaStateET1_SM_
                                        ; -- End function
	.section	.AMDGPU.csdata,"",@progbits
; Kernel info:
; codeLenInByte = 4024
; NumSgprs: 54
; NumVgprs: 44
; ScratchSize: 0
; MemoryBound: 0
; FloatMode: 240
; IeeeMode: 1
; LDSByteSize: 0 bytes/workgroup (compile time only)
; SGPRBlocks: 6
; VGPRBlocks: 5
; NumSGPRsForWavesPerEU: 54
; NumVGPRsForWavesPerEU: 44
; Occupancy: 16
; WaveLimiterHint : 1
; COMPUTE_PGM_RSRC2:SCRATCH_EN: 0
; COMPUTE_PGM_RSRC2:USER_SGPR: 15
; COMPUTE_PGM_RSRC2:TRAP_HANDLER: 0
; COMPUTE_PGM_RSRC2:TGID_X_EN: 1
; COMPUTE_PGM_RSRC2:TGID_Y_EN: 0
; COMPUTE_PGM_RSRC2:TGID_Z_EN: 0
; COMPUTE_PGM_RSRC2:TIDIG_COMP_CNT: 0
	.section	.text._ZN2at6native12_GLOBAL__N_143distribution_elementwise_grid_stride_kernelImLi2EZZZNS0_9templates4cuda13random_kernelIPNS_17CUDAGeneratorImplEEEvRNS_18TensorIteratorBaseET_ENKUlvE_clEvENKUlvE_clEvEUlP25hiprandStatePhilox4_32_10E_ZNS1_27distribution_nullary_kernelIhm15HIP_vector_typeIyLj2EES7_SF_ZZZNS5_IS7_EEvS9_SA_ENKSB_clEvENKSC_clEvEUlmE_EEvS9_T2_RKT3_T4_EUlimE_EEvlNS_15PhiloxCudaStateET1_SK_,"axG",@progbits,_ZN2at6native12_GLOBAL__N_143distribution_elementwise_grid_stride_kernelImLi2EZZZNS0_9templates4cuda13random_kernelIPNS_17CUDAGeneratorImplEEEvRNS_18TensorIteratorBaseET_ENKUlvE_clEvENKUlvE_clEvEUlP25hiprandStatePhilox4_32_10E_ZNS1_27distribution_nullary_kernelIhm15HIP_vector_typeIyLj2EES7_SF_ZZZNS5_IS7_EEvS9_SA_ENKSB_clEvENKSC_clEvEUlmE_EEvS9_T2_RKT3_T4_EUlimE_EEvlNS_15PhiloxCudaStateET1_SK_,comdat
	.globl	_ZN2at6native12_GLOBAL__N_143distribution_elementwise_grid_stride_kernelImLi2EZZZNS0_9templates4cuda13random_kernelIPNS_17CUDAGeneratorImplEEEvRNS_18TensorIteratorBaseET_ENKUlvE_clEvENKUlvE_clEvEUlP25hiprandStatePhilox4_32_10E_ZNS1_27distribution_nullary_kernelIhm15HIP_vector_typeIyLj2EES7_SF_ZZZNS5_IS7_EEvS9_SA_ENKSB_clEvENKSC_clEvEUlmE_EEvS9_T2_RKT3_T4_EUlimE_EEvlNS_15PhiloxCudaStateET1_SK_ ; -- Begin function _ZN2at6native12_GLOBAL__N_143distribution_elementwise_grid_stride_kernelImLi2EZZZNS0_9templates4cuda13random_kernelIPNS_17CUDAGeneratorImplEEEvRNS_18TensorIteratorBaseET_ENKUlvE_clEvENKUlvE_clEvEUlP25hiprandStatePhilox4_32_10E_ZNS1_27distribution_nullary_kernelIhm15HIP_vector_typeIyLj2EES7_SF_ZZZNS5_IS7_EEvS9_SA_ENKSB_clEvENKSC_clEvEUlmE_EEvS9_T2_RKT3_T4_EUlimE_EEvlNS_15PhiloxCudaStateET1_SK_
	.p2align	8
	.type	_ZN2at6native12_GLOBAL__N_143distribution_elementwise_grid_stride_kernelImLi2EZZZNS0_9templates4cuda13random_kernelIPNS_17CUDAGeneratorImplEEEvRNS_18TensorIteratorBaseET_ENKUlvE_clEvENKUlvE_clEvEUlP25hiprandStatePhilox4_32_10E_ZNS1_27distribution_nullary_kernelIhm15HIP_vector_typeIyLj2EES7_SF_ZZZNS5_IS7_EEvS9_SA_ENKSB_clEvENKSC_clEvEUlmE_EEvS9_T2_RKT3_T4_EUlimE_EEvlNS_15PhiloxCudaStateET1_SK_,@function
_ZN2at6native12_GLOBAL__N_143distribution_elementwise_grid_stride_kernelImLi2EZZZNS0_9templates4cuda13random_kernelIPNS_17CUDAGeneratorImplEEEvRNS_18TensorIteratorBaseET_ENKUlvE_clEvENKUlvE_clEvEUlP25hiprandStatePhilox4_32_10E_ZNS1_27distribution_nullary_kernelIhm15HIP_vector_typeIyLj2EES7_SF_ZZZNS5_IS7_EEvS9_SA_ENKSB_clEvENKSC_clEvEUlmE_EEvS9_T2_RKT3_T4_EUlimE_EEvlNS_15PhiloxCudaStateET1_SK_: ; @_ZN2at6native12_GLOBAL__N_143distribution_elementwise_grid_stride_kernelImLi2EZZZNS0_9templates4cuda13random_kernelIPNS_17CUDAGeneratorImplEEEvRNS_18TensorIteratorBaseET_ENKUlvE_clEvENKUlvE_clEvEUlP25hiprandStatePhilox4_32_10E_ZNS1_27distribution_nullary_kernelIhm15HIP_vector_typeIyLj2EES7_SF_ZZZNS5_IS7_EEvS9_SA_ENKSB_clEvENKSC_clEvEUlmE_EEvS9_T2_RKT3_T4_EUlimE_EEvlNS_15PhiloxCudaStateET1_SK_
; %bb.0:
	s_clause 0x2
	s_load_b64 s[8:9], s[0:1], 0x10
	s_load_b128 s[4:7], s[0:1], 0x0
	s_load_b32 s2, s[0:1], 0x20
	s_waitcnt lgkmcnt(0)
	v_dual_mov_b32 v2, s8 :: v_dual_mov_b32 v3, s9
	v_dual_mov_b32 v11, s7 :: v_dual_mov_b32 v10, s6
	s_bitcmp0_b32 s2, 0
	s_mov_b32 s2, 0
	s_cbranch_scc1 .LBB68_2
; %bb.1:
	v_dual_mov_b32 v1, s8 :: v_dual_mov_b32 v2, s9
	v_dual_mov_b32 v4, s6 :: v_dual_mov_b32 v5, s7
	s_load_b64 s[6:7], s[0:1], 0x18
	flat_load_b64 v[2:3], v[1:2]
	flat_load_b64 v[10:11], v[4:5]
	s_waitcnt vmcnt(1) lgkmcnt(0)
	v_add_co_u32 v2, vcc_lo, v2, s6
	v_add_co_ci_u32_e32 v3, vcc_lo, s7, v3, vcc_lo
.LBB68_2:
	s_clause 0x1
	s_load_b32 s3, s[0:1], 0x4c
	s_load_b32 s11, s[0:1], 0x40
	s_waitcnt lgkmcnt(0)
	s_and_b32 s10, s3, 0xffff
	s_add_u32 s6, s4, -1
	s_mul_i32 s8, s11, s10
	s_addc_u32 s3, s5, -1
	s_lshl_b32 s9, s8, 1
	s_cmp_lg_u64 s[2:3], 0
	s_cbranch_scc0 .LBB68_23
; %bb.3:
	v_cvt_f32_ubyte0_e32 v1, 0
	v_cvt_f32_u32_e32 v4, s9
	s_sub_u32 s12, 0, s9
	s_subb_u32 s13, 0, 0
	s_delay_alu instid0(VALU_DEP_1) | instskip(NEXT) | instid1(VALU_DEP_1)
	v_fmamk_f32 v1, v1, 0x4f800000, v4
	v_rcp_f32_e32 v1, v1
	s_waitcnt_depctr 0xfff
	v_mul_f32_e32 v1, 0x5f7ffffc, v1
	s_delay_alu instid0(VALU_DEP_1) | instskip(NEXT) | instid1(VALU_DEP_1)
	v_mul_f32_e32 v4, 0x2f800000, v1
	v_trunc_f32_e32 v4, v4
	s_delay_alu instid0(VALU_DEP_1) | instskip(SKIP_1) | instid1(VALU_DEP_2)
	v_fmamk_f32 v1, v4, 0xcf800000, v1
	v_cvt_u32_f32_e32 v4, v4
	v_cvt_u32_f32_e32 v1, v1
	s_delay_alu instid0(VALU_DEP_2) | instskip(NEXT) | instid1(VALU_DEP_2)
	v_readfirstlane_b32 s2, v4
	v_readfirstlane_b32 s7, v1
	s_delay_alu instid0(VALU_DEP_2) | instskip(NEXT) | instid1(VALU_DEP_1)
	s_mul_i32 s14, s12, s2
	s_mul_hi_u32 s17, s12, s7
	s_mul_i32 s16, s13, s7
	s_add_i32 s14, s17, s14
	s_mul_i32 s18, s12, s7
	s_add_i32 s14, s14, s16
	s_mul_hi_u32 s17, s7, s18
	s_mul_hi_u32 s19, s2, s18
	s_mul_i32 s16, s2, s18
	s_mul_hi_u32 s18, s7, s14
	s_mul_i32 s7, s7, s14
	s_mul_hi_u32 s20, s2, s14
	s_add_u32 s7, s17, s7
	s_addc_u32 s17, 0, s18
	s_add_u32 s7, s7, s16
	s_mul_i32 s14, s2, s14
	s_addc_u32 s7, s17, s19
	s_addc_u32 s16, s20, 0
	s_add_u32 s7, s7, s14
	s_addc_u32 s14, 0, s16
	v_add_co_u32 v1, s7, v1, s7
	s_delay_alu instid0(VALU_DEP_1) | instskip(SKIP_1) | instid1(VALU_DEP_1)
	s_cmp_lg_u32 s7, 0
	s_addc_u32 s2, s2, s14
	v_readfirstlane_b32 s7, v1
	s_mul_i32 s14, s12, s2
	s_delay_alu instid0(VALU_DEP_1)
	s_mul_hi_u32 s16, s12, s7
	s_mul_i32 s13, s13, s7
	s_add_i32 s14, s16, s14
	s_mul_i32 s12, s12, s7
	s_add_i32 s14, s14, s13
	s_mul_hi_u32 s16, s2, s12
	s_mul_i32 s17, s2, s12
	s_mul_hi_u32 s12, s7, s12
	s_mul_hi_u32 s18, s7, s14
	s_mul_i32 s7, s7, s14
	s_mul_hi_u32 s13, s2, s14
	s_add_u32 s7, s12, s7
	s_addc_u32 s12, 0, s18
	s_add_u32 s7, s7, s17
	s_mul_i32 s14, s2, s14
	s_addc_u32 s7, s12, s16
	s_addc_u32 s12, s13, 0
	s_add_u32 s7, s7, s14
	s_addc_u32 s12, 0, s12
	v_add_co_u32 v1, s7, v1, s7
	s_delay_alu instid0(VALU_DEP_1) | instskip(SKIP_2) | instid1(VALU_DEP_1)
	s_cmp_lg_u32 s7, 0
	s_addc_u32 s7, s2, s12
	s_ashr_i32 s12, s3, 31
	v_readfirstlane_b32 s14, v1
	s_add_u32 s2, s6, s12
	s_mov_b32 s13, s12
	s_addc_u32 s3, s3, s12
	s_delay_alu instid0(SALU_CYCLE_1) | instskip(NEXT) | instid1(SALU_CYCLE_1)
	s_xor_b64 s[2:3], s[2:3], s[12:13]
	s_mul_i32 s17, s2, s7
	s_mul_hi_u32 s18, s2, s14
	s_mul_hi_u32 s16, s2, s7
	;; [unrolled: 1-line block ×3, first 2 shown]
	s_mul_i32 s14, s3, s14
	s_add_u32 s17, s18, s17
	s_addc_u32 s16, 0, s16
	s_mul_hi_u32 s19, s3, s7
	s_add_u32 s14, s17, s14
	s_mul_i32 s7, s3, s7
	s_addc_u32 s14, s16, s20
	s_addc_u32 s16, s19, 0
	s_add_u32 s7, s14, s7
	s_addc_u32 s14, 0, s16
	s_mul_i32 s17, s9, s7
	s_add_u32 s16, s7, 1
	v_sub_co_u32 v1, s2, s2, s17
	s_mul_hi_u32 s17, s9, s7
	s_addc_u32 s18, s14, 0
	s_mul_i32 s19, s9, s14
	s_delay_alu instid0(VALU_DEP_1)
	v_sub_co_u32 v4, s20, v1, s9
	s_add_u32 s21, s7, 2
	s_addc_u32 s22, s14, 0
	s_add_i32 s17, s17, s19
	s_cmp_lg_u32 s2, 0
	v_readfirstlane_b32 s2, v4
	s_subb_u32 s3, s3, s17
	s_cmp_lg_u32 s20, 0
	s_subb_u32 s17, s3, 0
	s_delay_alu instid0(VALU_DEP_1) | instskip(SKIP_4) | instid1(SALU_CYCLE_1)
	s_cmp_ge_u32 s2, s9
	s_cselect_b32 s2, -1, 0
	s_cmp_eq_u32 s17, 0
	v_readfirstlane_b32 s17, v1
	s_cselect_b32 s2, s2, -1
	s_cmp_lg_u32 s2, 0
	s_cselect_b32 s2, s21, s16
	s_cselect_b32 s16, s22, s18
	s_cmp_ge_u32 s17, s9
	s_cselect_b32 s17, -1, 0
	s_cmp_eq_u32 s3, 0
	s_cselect_b32 s3, s17, -1
	s_delay_alu instid0(SALU_CYCLE_1) | instskip(SKIP_2) | instid1(SALU_CYCLE_1)
	s_cmp_lg_u32 s3, 0
	s_cselect_b32 s3, s16, s14
	s_cselect_b32 s2, s2, s7
	s_xor_b64 s[2:3], s[2:3], s[12:13]
	s_delay_alu instid0(SALU_CYCLE_1)
	s_sub_u32 s2, s2, s12
	s_subb_u32 s3, s3, s12
	s_cbranch_execnz .LBB68_5
.LBB68_4:
	v_cvt_f32_u32_e32 v1, s9
	s_sub_i32 s3, 0, s9
	s_delay_alu instid0(VALU_DEP_1) | instskip(SKIP_2) | instid1(VALU_DEP_1)
	v_rcp_iflag_f32_e32 v1, v1
	s_waitcnt_depctr 0xfff
	v_mul_f32_e32 v1, 0x4f7ffffe, v1
	v_cvt_u32_f32_e32 v1, v1
	s_delay_alu instid0(VALU_DEP_1) | instskip(NEXT) | instid1(VALU_DEP_1)
	v_readfirstlane_b32 s2, v1
	s_mul_i32 s3, s3, s2
	s_delay_alu instid0(SALU_CYCLE_1) | instskip(NEXT) | instid1(SALU_CYCLE_1)
	s_mul_hi_u32 s3, s2, s3
	s_add_i32 s2, s2, s3
	s_delay_alu instid0(SALU_CYCLE_1) | instskip(NEXT) | instid1(SALU_CYCLE_1)
	s_mul_hi_u32 s2, s6, s2
	s_mul_i32 s3, s2, s9
	s_delay_alu instid0(SALU_CYCLE_1)
	s_sub_i32 s3, s6, s3
	s_add_i32 s6, s2, 1
	s_sub_i32 s7, s3, s9
	s_cmp_ge_u32 s3, s9
	s_cselect_b32 s2, s6, s2
	s_cselect_b32 s3, s7, s3
	s_add_i32 s6, s2, 1
	s_cmp_ge_u32 s3, s9
	s_mov_b32 s3, 0
	s_cselect_b32 s2, s6, s2
.LBB68_5:
	v_mov_b32_e32 v1, 0
	s_add_u32 s2, s2, 1
	s_addc_u32 s3, s3, 0
	s_mul_hi_u32 s6, s8, s2
	s_mul_i32 s3, s8, s3
	v_mad_u64_u32 v[12:13], null, s10, s15, v[0:1]
	s_mul_hi_u32 s7, s11, s10
	s_add_i32 s3, s6, s3
	s_mul_i32 s7, s7, s2
	s_mul_i32 s2, s8, s2
	s_add_i32 s3, s3, s7
	s_mov_b32 s6, exec_lo
	s_lshl_b64 s[2:3], s[2:3], 1
	s_delay_alu instid0(SALU_CYCLE_1)
	v_cmpx_gt_i64_e64 s[2:3], v[12:13]
	s_cbranch_execz .LBB68_22
; %bb.6:
	v_mad_u64_u32 v[4:5], null, 0xcd9e8d57, v12, 0
	v_alignbit_b32 v16, v3, v2, 2
	v_lshrrev_b32_e32 v17, 2, v3
	s_waitcnt vmcnt(0)
	v_dual_mov_b32 v33, v11 :: v_dual_and_b32 v34, 3, v2
	v_add_co_u32 v19, null, 0x9e3779b9, v10
	v_mad_u64_u32 v[6:7], null, 0xd2511f53, v16, 0
	v_xor3_b32 v1, v10, v5, v17
	s_delay_alu instid0(VALU_DEP_4) | instskip(SKIP_1) | instid1(VALU_DEP_3)
	v_add_co_u32 v18, null, 0xbb67ae85, v33
	v_add_co_u32 v20, null, 0x3c6ef372, v10
	v_mad_u64_u32 v[8:9], null, 0xd2511f53, v1, 0
	v_xor_b32_e32 v1, v7, v11
	v_add_co_u32 v21, null, 0x76cf5d0a, v33
	v_add_co_u32 v22, null, 0x32370b8f, v33
	s_delay_alu instid0(VALU_DEP_3) | instskip(SKIP_3) | instid1(VALU_DEP_4)
	v_xor_b32_e32 v1, v1, v13
	v_xor3_b32 v3, v18, v9, v6
	v_add_co_u32 v23, null, 0xdaa66d2b, v10
	v_add_co_u32 v24, null, 0x78dde6e4, v10
	v_mad_u64_u32 v[5:6], null, 0xcd9e8d57, v1, 0
	s_delay_alu instid0(VALU_DEP_4) | instskip(SKIP_2) | instid1(VALU_DEP_4)
	v_mad_u64_u32 v[14:15], null, 0xcd9e8d57, v3, 0
	v_add_co_u32 v25, null, 0xed9eba14, v33
	v_add_co_u32 v26, null, 0xa9066899, v33
	v_xor3_b32 v1, v19, v6, v4
	v_add_co_u32 v27, null, 0x1715609d, v10
	v_xor3_b32 v7, v20, v15, v5
	v_add_co_u32 v28, null, 0xb54cda56, v10
	s_delay_alu instid0(VALU_DEP_4) | instskip(NEXT) | instid1(VALU_DEP_3)
	v_mad_u64_u32 v[3:4], null, 0xd2511f53, v1, 0
	v_mad_u64_u32 v[5:6], null, 0xd2511f53, v7, 0
	v_add_co_u32 v29, null, 0x646e171e, v33
	v_add_co_u32 v30, null, 0x1fd5c5a3, v33
	s_delay_alu instid0(VALU_DEP_4)
	v_xor3_b32 v1, v21, v4, v8
	v_add_co_u32 v31, null, 0x5384540f, v10
	v_xor3_b32 v8, v22, v6, v3
	s_clause 0x1
	s_load_b64 s[6:7], s[0:1], 0x30
	s_load_b32 s0, s[0:1], 0x38
	v_mad_u64_u32 v[3:4], null, 0xcd9e8d57, v1, 0
	v_add_co_u32 v32, null, 0xf1bbcdc8, v10
	v_mad_u64_u32 v[6:7], null, 0xcd9e8d57, v8, 0
	v_add_co_u32 v33, null, 0xdb3d7428, v33
	s_delay_alu instid0(VALU_DEP_4) | instskip(SKIP_3) | instid1(VALU_DEP_4)
	v_xor3_b32 v1, v23, v4, v14
	v_dual_mov_b32 v39, v12 :: v_dual_add_nc_u32 v36, 0x96a522ad, v11
	v_dual_mov_b32 v40, v13 :: v_dual_add_nc_u32 v35, 0x8ff34781, v10
	v_xor3_b32 v9, v24, v7, v3
	v_mad_u64_u32 v[3:4], null, 0xd2511f53, v1, 0
	s_delay_alu instid0(VALU_DEP_2) | instskip(SKIP_2) | instid1(VALU_DEP_2)
	v_mad_u64_u32 v[7:8], null, 0xd2511f53, v9, 0
	s_waitcnt lgkmcnt(0)
	s_mul_i32 s1, s11, s0
	v_xor3_b32 v1, v25, v4, v5
	s_mul_i32 s1, s1, s10
	s_delay_alu instid0(SALU_CYCLE_1) | instskip(NEXT) | instid1(VALU_DEP_2)
	s_lshl_b32 s1, s1, 1
	v_xor3_b32 v5, v26, v8, v3
	s_delay_alu instid0(VALU_DEP_2) | instskip(NEXT) | instid1(VALU_DEP_2)
	v_mad_u64_u32 v[3:4], null, 0xcd9e8d57, v1, 0
	v_mad_u64_u32 v[8:9], null, 0xcd9e8d57, v5, 0
	s_delay_alu instid0(VALU_DEP_2) | instskip(NEXT) | instid1(VALU_DEP_2)
	v_xor3_b32 v1, v27, v4, v6
	v_xor3_b32 v9, v28, v9, v3
	s_delay_alu instid0(VALU_DEP_2) | instskip(NEXT) | instid1(VALU_DEP_2)
	v_mad_u64_u32 v[3:4], null, 0xd2511f53, v1, 0
	v_mad_u64_u32 v[5:6], null, 0xd2511f53, v9, 0
	s_delay_alu instid0(VALU_DEP_2) | instskip(NEXT) | instid1(VALU_DEP_2)
	v_xor3_b32 v1, v29, v4, v7
	v_xor3_b32 v9, v30, v6, v3
	s_delay_alu instid0(VALU_DEP_2) | instskip(SKIP_1) | instid1(VALU_DEP_3)
	v_mad_u64_u32 v[3:4], null, 0xcd9e8d57, v1, 0
	v_mad_u64_u32 v[14:15], null, s15, s10, v[0:1]
	;; [unrolled: 1-line block ×3, first 2 shown]
	s_add_i32 s15, s15, s11
	s_delay_alu instid0(VALU_DEP_3) | instskip(SKIP_1) | instid1(VALU_DEP_4)
	v_xor3_b32 v4, v31, v4, v8
	v_mad_u64_u32 v[8:9], null, s15, s10, v[0:1]
	v_mul_lo_u32 v37, s0, v14
	s_delay_alu instid0(VALU_DEP_4) | instskip(NEXT) | instid1(VALU_DEP_4)
	v_xor3_b32 v6, v32, v7, v3
	v_mad_u64_u32 v[0:1], null, 0xd2511f53, v4, 0
	s_mov_b32 s10, 0
	s_delay_alu instid0(VALU_DEP_2) | instskip(SKIP_2) | instid1(VALU_DEP_3)
	v_mad_u64_u32 v[3:4], null, 0xd2511f53, v6, 0
	v_mul_lo_u32 v38, s0, v8
	s_mov_b32 s0, 0
	v_xor3_b32 v5, v33, v1, v5
	s_delay_alu instid0(VALU_DEP_1) | instskip(NEXT) | instid1(VALU_DEP_4)
	v_mad_u64_u32 v[1:2], null, 0xcd9e8d57, v5, 0
	v_xor3_b32 v2, v4, v0, v36
	s_branch .LBB68_8
.LBB68_7:                               ;   in Loop: Header=BB68_8 Depth=1
	s_or_b32 exec_lo, exec_lo, s11
	v_add_co_u32 v12, vcc_lo, v12, s9
	v_add_co_ci_u32_e32 v13, vcc_lo, 0, v13, vcc_lo
	v_mov_b32_e32 v6, v14
	v_mov_b32_e32 v0, v3
	v_dual_mov_b32 v1, v4 :: v_dual_mov_b32 v2, v5
	s_delay_alu instid0(VALU_DEP_4) | instskip(NEXT) | instid1(VALU_DEP_4)
	v_cmp_le_i64_e32 vcc_lo, s[2:3], v[12:13]
	v_mov_b32_e32 v3, v6
	s_add_i32 s10, s10, s1
	s_waitcnt_vscnt null, 0x0
	s_barrier
	buffer_gl0_inv
	s_or_b32 s0, vcc_lo, s0
	s_delay_alu instid0(SALU_CYCLE_1)
	s_and_not1_b32 exec_lo, exec_lo, s0
	s_cbranch_execz .LBB68_22
.LBB68_8:                               ; =>This Inner Loop Header: Depth=1
	v_add_co_u32 v16, vcc_lo, v16, 1
	s_delay_alu instid0(VALU_DEP_1) | instskip(SKIP_1) | instid1(VALU_DEP_3)
	v_cndmask_b32_e64 v0, 0, 1, vcc_lo
	v_add_co_ci_u32_e32 v17, vcc_lo, 0, v17, vcc_lo
	v_mad_u64_u32 v[4:5], null, 0xd2511f53, v16, 0
	s_mov_b32 s11, exec_lo
	s_delay_alu instid0(VALU_DEP_2) | instskip(SKIP_1) | instid1(VALU_DEP_1)
	v_cmp_eq_u32_e32 vcc_lo, 0, v17
	v_cndmask_b32_e32 v0, 0, v0, vcc_lo
	v_add_nc_u32_e32 v39, v0, v39
	s_delay_alu instid0(VALU_DEP_1) | instskip(SKIP_2) | instid1(VALU_DEP_2)
	v_cmp_eq_u32_e32 vcc_lo, 0, v39
	v_cndmask_b32_e32 v0, 0, v0, vcc_lo
	v_mad_u64_u32 v[6:7], null, 0xcd9e8d57, v39, 0
	v_add_nc_u32_e32 v40, v0, v40
	v_xor_b32_e32 v0, v5, v11
	s_delay_alu instid0(VALU_DEP_3) | instskip(NEXT) | instid1(VALU_DEP_2)
	v_xor3_b32 v5, v7, v10, v17
	v_xor_b32_e32 v0, v40, v0
	s_delay_alu instid0(VALU_DEP_2) | instskip(NEXT) | instid1(VALU_DEP_2)
	v_mad_u64_u32 v[7:8], null, 0xd2511f53, v5, 0
	v_mad_u64_u32 v[14:15], null, 0xcd9e8d57, v0, 0
	s_delay_alu instid0(VALU_DEP_2) | instskip(NEXT) | instid1(VALU_DEP_2)
	v_xor3_b32 v0, v18, v8, v4
	v_xor3_b32 v6, v19, v15, v6
	s_delay_alu instid0(VALU_DEP_2) | instskip(NEXT) | instid1(VALU_DEP_2)
	v_mad_u64_u32 v[4:5], null, 0xcd9e8d57, v0, 0
	v_mad_u64_u32 v[8:9], null, 0xd2511f53, v6, 0
	s_delay_alu instid0(VALU_DEP_2) | instskip(NEXT) | instid1(VALU_DEP_2)
	v_xor3_b32 v0, v20, v5, v14
	v_xor3_b32 v7, v21, v9, v7
	;; [unrolled: 6-line block ×9, first 2 shown]
	s_delay_alu instid0(VALU_DEP_2)
	v_mov_b32_e32 v5, v8
	v_cmpx_lt_i32_e32 1, v34
	s_xor_b32 s11, exec_lo, s11
	s_cbranch_execnz .LBB68_14
; %bb.9:                                ;   in Loop: Header=BB68_8 Depth=1
	s_and_not1_saveexec_b32 s11, s11
	s_cbranch_execnz .LBB68_19
.LBB68_10:                              ;   in Loop: Header=BB68_8 Depth=1
	s_or_b32 exec_lo, exec_lo, s11
	s_delay_alu instid0(SALU_CYCLE_1)
	s_mov_b32 s11, exec_lo
	v_cmpx_gt_i64_e64 s[4:5], v[12:13]
	s_cbranch_execz .LBB68_12
.LBB68_11:                              ;   in Loop: Header=BB68_8 Depth=1
	v_add_nc_u32_e32 v0, s10, v37
	s_delay_alu instid0(VALU_DEP_1) | instskip(SKIP_1) | instid1(VALU_DEP_2)
	v_ashrrev_i32_e32 v2, 31, v0
	v_add_co_u32 v6, vcc_lo, s6, v0
	v_add_co_ci_u32_e32 v7, vcc_lo, s7, v2, vcc_lo
	global_store_b8 v[6:7], v1, off
.LBB68_12:                              ;   in Loop: Header=BB68_8 Depth=1
	s_or_b32 exec_lo, exec_lo, s11
	v_add_co_u32 v0, vcc_lo, s8, v12
	v_add_co_ci_u32_e32 v1, vcc_lo, 0, v13, vcc_lo
	s_mov_b32 s11, exec_lo
	s_delay_alu instid0(VALU_DEP_1)
	v_cmpx_gt_i64_e64 s[4:5], v[0:1]
	s_cbranch_execz .LBB68_7
; %bb.13:                               ;   in Loop: Header=BB68_8 Depth=1
	v_add_nc_u32_e32 v0, s10, v38
	s_delay_alu instid0(VALU_DEP_1) | instskip(SKIP_1) | instid1(VALU_DEP_2)
	v_ashrrev_i32_e32 v1, 31, v0
	v_add_co_u32 v0, vcc_lo, s6, v0
	v_add_co_ci_u32_e32 v1, vcc_lo, s7, v1, vcc_lo
	global_store_b8 v[0:1], v3, off
	s_branch .LBB68_7
.LBB68_14:                              ;   in Loop: Header=BB68_8 Depth=1
	s_mov_b32 s12, exec_lo
	v_cmpx_lt_i32_e32 2, v34
	s_xor_b32 s12, exec_lo, s12
; %bb.15:                               ;   in Loop: Header=BB68_8 Depth=1
	v_dual_mov_b32 v0, v5 :: v_dual_mov_b32 v1, v6
	v_dual_mov_b32 v2, v7 :: v_dual_mov_b32 v3, v8
; %bb.16:                               ;   in Loop: Header=BB68_8 Depth=1
	s_and_not1_saveexec_b32 s12, s12
; %bb.17:                               ;   in Loop: Header=BB68_8 Depth=1
	s_delay_alu instid0(VALU_DEP_1)
	v_mov_b32_e32 v1, v3
	v_mov_b32_e32 v3, v4
; %bb.18:                               ;   in Loop: Header=BB68_8 Depth=1
	s_or_b32 exec_lo, exec_lo, s12
                                        ; implicit-def: $vgpr6_vgpr7_vgpr8_vgpr9
	s_and_not1_saveexec_b32 s11, s11
	s_cbranch_execz .LBB68_10
.LBB68_19:                              ;   in Loop: Header=BB68_8 Depth=1
	s_mov_b32 s12, exec_lo
	v_cmpx_eq_u32_e32 1, v34
; %bb.20:                               ;   in Loop: Header=BB68_8 Depth=1
	v_mov_b32_e32 v1, v2
	v_mov_b32_e32 v3, v6
; %bb.21:                               ;   in Loop: Header=BB68_8 Depth=1
	s_or_b32 exec_lo, exec_lo, s12
	s_delay_alu instid0(SALU_CYCLE_1) | instskip(NEXT) | instid1(SALU_CYCLE_1)
	s_or_b32 exec_lo, exec_lo, s11
	s_mov_b32 s11, exec_lo
	v_cmpx_gt_i64_e64 s[4:5], v[12:13]
	s_cbranch_execnz .LBB68_11
	s_branch .LBB68_12
.LBB68_22:
	s_endpgm
.LBB68_23:
                                        ; implicit-def: $sgpr2_sgpr3
	s_branch .LBB68_4
	.section	.rodata,"a",@progbits
	.p2align	6, 0x0
	.amdhsa_kernel _ZN2at6native12_GLOBAL__N_143distribution_elementwise_grid_stride_kernelImLi2EZZZNS0_9templates4cuda13random_kernelIPNS_17CUDAGeneratorImplEEEvRNS_18TensorIteratorBaseET_ENKUlvE_clEvENKUlvE_clEvEUlP25hiprandStatePhilox4_32_10E_ZNS1_27distribution_nullary_kernelIhm15HIP_vector_typeIyLj2EES7_SF_ZZZNS5_IS7_EEvS9_SA_ENKSB_clEvENKSC_clEvEUlmE_EEvS9_T2_RKT3_T4_EUlimE_EEvlNS_15PhiloxCudaStateET1_SK_
		.amdhsa_group_segment_fixed_size 0
		.amdhsa_private_segment_fixed_size 0
		.amdhsa_kernarg_size 320
		.amdhsa_user_sgpr_count 15
		.amdhsa_user_sgpr_dispatch_ptr 0
		.amdhsa_user_sgpr_queue_ptr 0
		.amdhsa_user_sgpr_kernarg_segment_ptr 1
		.amdhsa_user_sgpr_dispatch_id 0
		.amdhsa_user_sgpr_private_segment_size 0
		.amdhsa_wavefront_size32 1
		.amdhsa_uses_dynamic_stack 0
		.amdhsa_enable_private_segment 0
		.amdhsa_system_sgpr_workgroup_id_x 1
		.amdhsa_system_sgpr_workgroup_id_y 0
		.amdhsa_system_sgpr_workgroup_id_z 0
		.amdhsa_system_sgpr_workgroup_info 0
		.amdhsa_system_vgpr_workitem_id 0
		.amdhsa_next_free_vgpr 43
		.amdhsa_next_free_sgpr 23
		.amdhsa_reserve_vcc 1
		.amdhsa_float_round_mode_32 0
		.amdhsa_float_round_mode_16_64 0
		.amdhsa_float_denorm_mode_32 3
		.amdhsa_float_denorm_mode_16_64 3
		.amdhsa_dx10_clamp 1
		.amdhsa_ieee_mode 1
		.amdhsa_fp16_overflow 0
		.amdhsa_workgroup_processor_mode 1
		.amdhsa_memory_ordered 1
		.amdhsa_forward_progress 0
		.amdhsa_shared_vgpr_count 0
		.amdhsa_exception_fp_ieee_invalid_op 0
		.amdhsa_exception_fp_denorm_src 0
		.amdhsa_exception_fp_ieee_div_zero 0
		.amdhsa_exception_fp_ieee_overflow 0
		.amdhsa_exception_fp_ieee_underflow 0
		.amdhsa_exception_fp_ieee_inexact 0
		.amdhsa_exception_int_div_zero 0
	.end_amdhsa_kernel
	.section	.text._ZN2at6native12_GLOBAL__N_143distribution_elementwise_grid_stride_kernelImLi2EZZZNS0_9templates4cuda13random_kernelIPNS_17CUDAGeneratorImplEEEvRNS_18TensorIteratorBaseET_ENKUlvE_clEvENKUlvE_clEvEUlP25hiprandStatePhilox4_32_10E_ZNS1_27distribution_nullary_kernelIhm15HIP_vector_typeIyLj2EES7_SF_ZZZNS5_IS7_EEvS9_SA_ENKSB_clEvENKSC_clEvEUlmE_EEvS9_T2_RKT3_T4_EUlimE_EEvlNS_15PhiloxCudaStateET1_SK_,"axG",@progbits,_ZN2at6native12_GLOBAL__N_143distribution_elementwise_grid_stride_kernelImLi2EZZZNS0_9templates4cuda13random_kernelIPNS_17CUDAGeneratorImplEEEvRNS_18TensorIteratorBaseET_ENKUlvE_clEvENKUlvE_clEvEUlP25hiprandStatePhilox4_32_10E_ZNS1_27distribution_nullary_kernelIhm15HIP_vector_typeIyLj2EES7_SF_ZZZNS5_IS7_EEvS9_SA_ENKSB_clEvENKSC_clEvEUlmE_EEvS9_T2_RKT3_T4_EUlimE_EEvlNS_15PhiloxCudaStateET1_SK_,comdat
.Lfunc_end68:
	.size	_ZN2at6native12_GLOBAL__N_143distribution_elementwise_grid_stride_kernelImLi2EZZZNS0_9templates4cuda13random_kernelIPNS_17CUDAGeneratorImplEEEvRNS_18TensorIteratorBaseET_ENKUlvE_clEvENKUlvE_clEvEUlP25hiprandStatePhilox4_32_10E_ZNS1_27distribution_nullary_kernelIhm15HIP_vector_typeIyLj2EES7_SF_ZZZNS5_IS7_EEvS9_SA_ENKSB_clEvENKSC_clEvEUlmE_EEvS9_T2_RKT3_T4_EUlimE_EEvlNS_15PhiloxCudaStateET1_SK_, .Lfunc_end68-_ZN2at6native12_GLOBAL__N_143distribution_elementwise_grid_stride_kernelImLi2EZZZNS0_9templates4cuda13random_kernelIPNS_17CUDAGeneratorImplEEEvRNS_18TensorIteratorBaseET_ENKUlvE_clEvENKUlvE_clEvEUlP25hiprandStatePhilox4_32_10E_ZNS1_27distribution_nullary_kernelIhm15HIP_vector_typeIyLj2EES7_SF_ZZZNS5_IS7_EEvS9_SA_ENKSB_clEvENKSC_clEvEUlmE_EEvS9_T2_RKT3_T4_EUlimE_EEvlNS_15PhiloxCudaStateET1_SK_
                                        ; -- End function
	.section	.AMDGPU.csdata,"",@progbits
; Kernel info:
; codeLenInByte = 2572
; NumSgprs: 25
; NumVgprs: 43
; ScratchSize: 0
; MemoryBound: 0
; FloatMode: 240
; IeeeMode: 1
; LDSByteSize: 0 bytes/workgroup (compile time only)
; SGPRBlocks: 3
; VGPRBlocks: 5
; NumSGPRsForWavesPerEU: 25
; NumVGPRsForWavesPerEU: 43
; Occupancy: 16
; WaveLimiterHint : 0
; COMPUTE_PGM_RSRC2:SCRATCH_EN: 0
; COMPUTE_PGM_RSRC2:USER_SGPR: 15
; COMPUTE_PGM_RSRC2:TRAP_HANDLER: 0
; COMPUTE_PGM_RSRC2:TGID_X_EN: 1
; COMPUTE_PGM_RSRC2:TGID_Y_EN: 0
; COMPUTE_PGM_RSRC2:TGID_Z_EN: 0
; COMPUTE_PGM_RSRC2:TIDIG_COMP_CNT: 0
	.section	.text._ZN2at6native12_GLOBAL__N_143distribution_elementwise_grid_stride_kernelImLi2EZZZNS0_9templates4cuda13random_kernelIPNS_17CUDAGeneratorImplEEEvRNS_18TensorIteratorBaseET_ENKUlvE_clEvENKUlvE_clEvEUlP25hiprandStatePhilox4_32_10E_ZNS1_27distribution_nullary_kernelIhm15HIP_vector_typeIyLj2EES7_SF_ZZZNS5_IS7_EEvS9_SA_ENKSB_clEvENKSC_clEvEUlmE_EEvS9_T2_RKT3_T4_EUlimE0_EEvlNS_15PhiloxCudaStateET1_SK_,"axG",@progbits,_ZN2at6native12_GLOBAL__N_143distribution_elementwise_grid_stride_kernelImLi2EZZZNS0_9templates4cuda13random_kernelIPNS_17CUDAGeneratorImplEEEvRNS_18TensorIteratorBaseET_ENKUlvE_clEvENKUlvE_clEvEUlP25hiprandStatePhilox4_32_10E_ZNS1_27distribution_nullary_kernelIhm15HIP_vector_typeIyLj2EES7_SF_ZZZNS5_IS7_EEvS9_SA_ENKSB_clEvENKSC_clEvEUlmE_EEvS9_T2_RKT3_T4_EUlimE0_EEvlNS_15PhiloxCudaStateET1_SK_,comdat
	.globl	_ZN2at6native12_GLOBAL__N_143distribution_elementwise_grid_stride_kernelImLi2EZZZNS0_9templates4cuda13random_kernelIPNS_17CUDAGeneratorImplEEEvRNS_18TensorIteratorBaseET_ENKUlvE_clEvENKUlvE_clEvEUlP25hiprandStatePhilox4_32_10E_ZNS1_27distribution_nullary_kernelIhm15HIP_vector_typeIyLj2EES7_SF_ZZZNS5_IS7_EEvS9_SA_ENKSB_clEvENKSC_clEvEUlmE_EEvS9_T2_RKT3_T4_EUlimE0_EEvlNS_15PhiloxCudaStateET1_SK_ ; -- Begin function _ZN2at6native12_GLOBAL__N_143distribution_elementwise_grid_stride_kernelImLi2EZZZNS0_9templates4cuda13random_kernelIPNS_17CUDAGeneratorImplEEEvRNS_18TensorIteratorBaseET_ENKUlvE_clEvENKUlvE_clEvEUlP25hiprandStatePhilox4_32_10E_ZNS1_27distribution_nullary_kernelIhm15HIP_vector_typeIyLj2EES7_SF_ZZZNS5_IS7_EEvS9_SA_ENKSB_clEvENKSC_clEvEUlmE_EEvS9_T2_RKT3_T4_EUlimE0_EEvlNS_15PhiloxCudaStateET1_SK_
	.p2align	8
	.type	_ZN2at6native12_GLOBAL__N_143distribution_elementwise_grid_stride_kernelImLi2EZZZNS0_9templates4cuda13random_kernelIPNS_17CUDAGeneratorImplEEEvRNS_18TensorIteratorBaseET_ENKUlvE_clEvENKUlvE_clEvEUlP25hiprandStatePhilox4_32_10E_ZNS1_27distribution_nullary_kernelIhm15HIP_vector_typeIyLj2EES7_SF_ZZZNS5_IS7_EEvS9_SA_ENKSB_clEvENKSC_clEvEUlmE_EEvS9_T2_RKT3_T4_EUlimE0_EEvlNS_15PhiloxCudaStateET1_SK_,@function
_ZN2at6native12_GLOBAL__N_143distribution_elementwise_grid_stride_kernelImLi2EZZZNS0_9templates4cuda13random_kernelIPNS_17CUDAGeneratorImplEEEvRNS_18TensorIteratorBaseET_ENKUlvE_clEvENKUlvE_clEvEUlP25hiprandStatePhilox4_32_10E_ZNS1_27distribution_nullary_kernelIhm15HIP_vector_typeIyLj2EES7_SF_ZZZNS5_IS7_EEvS9_SA_ENKSB_clEvENKSC_clEvEUlmE_EEvS9_T2_RKT3_T4_EUlimE0_EEvlNS_15PhiloxCudaStateET1_SK_: ; @_ZN2at6native12_GLOBAL__N_143distribution_elementwise_grid_stride_kernelImLi2EZZZNS0_9templates4cuda13random_kernelIPNS_17CUDAGeneratorImplEEEvRNS_18TensorIteratorBaseET_ENKUlvE_clEvENKUlvE_clEvEUlP25hiprandStatePhilox4_32_10E_ZNS1_27distribution_nullary_kernelIhm15HIP_vector_typeIyLj2EES7_SF_ZZZNS5_IS7_EEvS9_SA_ENKSB_clEvENKSC_clEvEUlmE_EEvS9_T2_RKT3_T4_EUlimE0_EEvlNS_15PhiloxCudaStateET1_SK_
; %bb.0:
	s_clause 0x2
	s_load_b64 s[4:5], s[0:1], 0x10
	s_load_b128 s[16:19], s[0:1], 0x0
	s_load_b32 s2, s[0:1], 0x20
	s_waitcnt lgkmcnt(0)
	v_dual_mov_b32 v2, s4 :: v_dual_mov_b32 v3, s5
	v_dual_mov_b32 v10, s18 :: v_dual_mov_b32 v11, s19
	s_bitcmp0_b32 s2, 0
	s_mov_b32 s2, 0
	s_cbranch_scc1 .LBB69_2
; %bb.1:
	v_dual_mov_b32 v1, s4 :: v_dual_mov_b32 v2, s5
	v_dual_mov_b32 v4, s18 :: v_dual_mov_b32 v5, s19
	s_load_b64 s[4:5], s[0:1], 0x18
	flat_load_b64 v[2:3], v[1:2]
	flat_load_b64 v[10:11], v[4:5]
	s_waitcnt vmcnt(1) lgkmcnt(0)
	v_add_co_u32 v2, vcc_lo, v2, s4
	v_add_co_ci_u32_e32 v3, vcc_lo, s5, v3, vcc_lo
.LBB69_2:
	s_clause 0x1
	s_load_b32 s3, s[0:1], 0x154
	s_load_b32 s4, s[0:1], 0x148
	s_waitcnt lgkmcnt(0)
	s_and_b32 s5, s3, 0xffff
	s_add_u32 s6, s16, -1
	s_mul_i32 s24, s4, s5
	s_addc_u32 s3, s17, -1
	s_lshl_b32 s25, s24, 1
	s_cmp_lg_u64 s[2:3], 0
	s_cbranch_scc0 .LBB69_49
; %bb.3:
	v_cvt_f32_ubyte0_e32 v1, 0
	v_cvt_f32_u32_e32 v4, s25
	s_sub_u32 s8, 0, s25
	s_subb_u32 s9, 0, 0
	s_delay_alu instid0(VALU_DEP_1) | instskip(NEXT) | instid1(VALU_DEP_1)
	v_fmamk_f32 v1, v1, 0x4f800000, v4
	v_rcp_f32_e32 v1, v1
	s_waitcnt_depctr 0xfff
	v_mul_f32_e32 v1, 0x5f7ffffc, v1
	s_delay_alu instid0(VALU_DEP_1) | instskip(NEXT) | instid1(VALU_DEP_1)
	v_mul_f32_e32 v4, 0x2f800000, v1
	v_trunc_f32_e32 v4, v4
	s_delay_alu instid0(VALU_DEP_1) | instskip(SKIP_1) | instid1(VALU_DEP_2)
	v_fmamk_f32 v1, v4, 0xcf800000, v1
	v_cvt_u32_f32_e32 v4, v4
	v_cvt_u32_f32_e32 v1, v1
	s_delay_alu instid0(VALU_DEP_2) | instskip(NEXT) | instid1(VALU_DEP_2)
	v_readfirstlane_b32 s2, v4
	v_readfirstlane_b32 s7, v1
	s_delay_alu instid0(VALU_DEP_2) | instskip(NEXT) | instid1(VALU_DEP_1)
	s_mul_i32 s10, s8, s2
	s_mul_hi_u32 s12, s8, s7
	s_mul_i32 s11, s9, s7
	s_add_i32 s10, s12, s10
	s_mul_i32 s13, s8, s7
	s_add_i32 s10, s10, s11
	s_mul_hi_u32 s12, s7, s13
	s_mul_hi_u32 s14, s2, s13
	s_mul_i32 s11, s2, s13
	s_mul_hi_u32 s13, s7, s10
	s_mul_i32 s7, s7, s10
	s_mul_hi_u32 s18, s2, s10
	s_add_u32 s7, s12, s7
	s_addc_u32 s12, 0, s13
	s_add_u32 s7, s7, s11
	s_mul_i32 s10, s2, s10
	s_addc_u32 s7, s12, s14
	s_addc_u32 s11, s18, 0
	s_add_u32 s7, s7, s10
	s_addc_u32 s10, 0, s11
	v_add_co_u32 v1, s7, v1, s7
	s_delay_alu instid0(VALU_DEP_1) | instskip(SKIP_1) | instid1(VALU_DEP_1)
	s_cmp_lg_u32 s7, 0
	s_addc_u32 s2, s2, s10
	v_readfirstlane_b32 s7, v1
	s_mul_i32 s10, s8, s2
	s_delay_alu instid0(VALU_DEP_1)
	s_mul_hi_u32 s11, s8, s7
	s_mul_i32 s9, s9, s7
	s_add_i32 s10, s11, s10
	s_mul_i32 s8, s8, s7
	s_add_i32 s10, s10, s9
	s_mul_hi_u32 s11, s2, s8
	s_mul_i32 s12, s2, s8
	s_mul_hi_u32 s8, s7, s8
	s_mul_hi_u32 s13, s7, s10
	s_mul_i32 s7, s7, s10
	s_mul_hi_u32 s9, s2, s10
	s_add_u32 s7, s8, s7
	s_addc_u32 s8, 0, s13
	s_add_u32 s7, s7, s12
	s_mul_i32 s10, s2, s10
	s_addc_u32 s7, s8, s11
	s_addc_u32 s8, s9, 0
	s_add_u32 s7, s7, s10
	s_addc_u32 s8, 0, s8
	v_add_co_u32 v1, s7, v1, s7
	s_delay_alu instid0(VALU_DEP_1) | instskip(SKIP_2) | instid1(VALU_DEP_1)
	s_cmp_lg_u32 s7, 0
	s_addc_u32 s7, s2, s8
	s_ashr_i32 s8, s3, 31
	v_readfirstlane_b32 s10, v1
	s_add_u32 s2, s6, s8
	s_mov_b32 s9, s8
	s_addc_u32 s3, s3, s8
	s_delay_alu instid0(SALU_CYCLE_1) | instskip(NEXT) | instid1(SALU_CYCLE_1)
	s_xor_b64 s[2:3], s[2:3], s[8:9]
	s_mul_i32 s12, s2, s7
	s_mul_hi_u32 s13, s2, s10
	s_mul_hi_u32 s11, s2, s7
	;; [unrolled: 1-line block ×3, first 2 shown]
	s_mul_i32 s10, s3, s10
	s_add_u32 s12, s13, s12
	s_addc_u32 s11, 0, s11
	s_mul_hi_u32 s14, s3, s7
	s_add_u32 s10, s12, s10
	s_mul_i32 s7, s3, s7
	s_addc_u32 s10, s11, s18
	s_addc_u32 s11, s14, 0
	s_add_u32 s7, s10, s7
	s_addc_u32 s10, 0, s11
	s_mul_i32 s12, s25, s7
	s_add_u32 s11, s7, 1
	v_sub_co_u32 v1, s2, s2, s12
	s_mul_hi_u32 s12, s25, s7
	s_addc_u32 s13, s10, 0
	s_mul_i32 s14, s25, s10
	s_delay_alu instid0(VALU_DEP_1)
	v_sub_co_u32 v4, s18, v1, s25
	s_add_u32 s19, s7, 2
	s_addc_u32 s20, s10, 0
	s_add_i32 s12, s12, s14
	s_cmp_lg_u32 s2, 0
	v_readfirstlane_b32 s2, v4
	s_subb_u32 s3, s3, s12
	s_cmp_lg_u32 s18, 0
	s_subb_u32 s12, s3, 0
	s_delay_alu instid0(VALU_DEP_1) | instskip(SKIP_4) | instid1(SALU_CYCLE_1)
	s_cmp_ge_u32 s2, s25
	s_cselect_b32 s2, -1, 0
	s_cmp_eq_u32 s12, 0
	v_readfirstlane_b32 s12, v1
	s_cselect_b32 s2, s2, -1
	s_cmp_lg_u32 s2, 0
	s_cselect_b32 s2, s19, s11
	s_cselect_b32 s11, s20, s13
	s_cmp_ge_u32 s12, s25
	s_cselect_b32 s12, -1, 0
	s_cmp_eq_u32 s3, 0
	s_cselect_b32 s3, s12, -1
	s_delay_alu instid0(SALU_CYCLE_1) | instskip(SKIP_2) | instid1(SALU_CYCLE_1)
	s_cmp_lg_u32 s3, 0
	s_cselect_b32 s3, s11, s10
	s_cselect_b32 s2, s2, s7
	s_xor_b64 s[2:3], s[2:3], s[8:9]
	s_delay_alu instid0(SALU_CYCLE_1)
	s_sub_u32 s2, s2, s8
	s_subb_u32 s3, s3, s8
	s_cbranch_execnz .LBB69_5
.LBB69_4:
	v_cvt_f32_u32_e32 v1, s25
	s_sub_i32 s3, 0, s25
	s_delay_alu instid0(VALU_DEP_1) | instskip(SKIP_2) | instid1(VALU_DEP_1)
	v_rcp_iflag_f32_e32 v1, v1
	s_waitcnt_depctr 0xfff
	v_mul_f32_e32 v1, 0x4f7ffffe, v1
	v_cvt_u32_f32_e32 v1, v1
	s_delay_alu instid0(VALU_DEP_1) | instskip(NEXT) | instid1(VALU_DEP_1)
	v_readfirstlane_b32 s2, v1
	s_mul_i32 s3, s3, s2
	s_delay_alu instid0(SALU_CYCLE_1) | instskip(NEXT) | instid1(SALU_CYCLE_1)
	s_mul_hi_u32 s3, s2, s3
	s_add_i32 s2, s2, s3
	s_delay_alu instid0(SALU_CYCLE_1) | instskip(NEXT) | instid1(SALU_CYCLE_1)
	s_mul_hi_u32 s2, s6, s2
	s_mul_i32 s3, s2, s25
	s_delay_alu instid0(SALU_CYCLE_1)
	s_sub_i32 s3, s6, s3
	s_add_i32 s6, s2, 1
	s_sub_i32 s7, s3, s25
	s_cmp_ge_u32 s3, s25
	s_cselect_b32 s2, s6, s2
	s_cselect_b32 s3, s7, s3
	s_add_i32 s6, s2, 1
	s_cmp_ge_u32 s3, s25
	s_mov_b32 s3, 0
	s_cselect_b32 s2, s6, s2
.LBB69_5:
	v_mov_b32_e32 v1, 0
	s_add_u32 s2, s2, 1
	s_addc_u32 s3, s3, 0
	s_mul_hi_u32 s6, s24, s2
	s_mul_i32 s3, s24, s3
	v_mad_u64_u32 v[12:13], null, s5, s15, v[0:1]
	s_mul_hi_u32 s4, s4, s5
	s_add_i32 s3, s6, s3
	s_mul_i32 s4, s4, s2
	s_mul_i32 s2, s24, s2
	s_add_i32 s3, s3, s4
	s_mov_b32 s4, exec_lo
	s_lshl_b64 s[2:3], s[2:3], 1
	s_delay_alu instid0(SALU_CYCLE_1)
	v_cmpx_gt_i64_e64 s[2:3], v[12:13]
	s_cbranch_execz .LBB69_48
; %bb.6:
	v_alignbit_b32 v16, v3, v2, 2
	v_mad_u64_u32 v[0:1], null, 0xcd9e8d57, v12, 0
	v_lshrrev_b32_e32 v17, 2, v3
	s_waitcnt vmcnt(0)
	v_dual_mov_b32 v9, v11 :: v_dual_and_b32 v26, 3, v2
	v_mad_u64_u32 v[3:4], null, 0xd2511f53, v16, 0
	v_add_co_u32 v19, null, 0x9e3779b9, v10
	v_xor3_b32 v1, v10, v1, v17
	s_delay_alu instid0(VALU_DEP_4) | instskip(SKIP_2) | instid1(VALU_DEP_4)
	v_add_co_u32 v18, null, 0xbb67ae85, v9
	v_add_co_u32 v20, null, 0x3c6ef372, v10
	v_xor_b32_e32 v6, v4, v11
	v_mad_u64_u32 v[4:5], null, 0xd2511f53, v1, 0
	v_add_co_u32 v21, null, 0x76cf5d0a, v9
	s_delay_alu instid0(VALU_DEP_3) | instskip(SKIP_3) | instid1(VALU_DEP_4)
	v_xor_b32_e32 v1, v6, v13
	v_add_co_u32 v22, null, 0x32370b8f, v9
	v_add_co_u32 v23, null, 0xdaa66d2b, v10
	v_xor3_b32 v3, v18, v5, v3
	v_mad_u64_u32 v[5:6], null, 0xcd9e8d57, v1, 0
	v_add_co_u32 v24, null, 0x78dde6e4, v10
	s_delay_alu instid0(VALU_DEP_3) | instskip(SKIP_1) | instid1(VALU_DEP_4)
	v_mad_u64_u32 v[7:8], null, 0xcd9e8d57, v3, 0
	v_add_co_u32 v25, null, 0xed9eba14, v9
	v_xor3_b32 v3, v19, v6, v0
	v_add_co_u32 v27, null, 0xa9066899, v9
	v_add_co_u32 v29, null, 0x1715609d, v10
	v_xor3_b32 v8, v20, v8, v5
	s_delay_alu instid0(VALU_DEP_4) | instskip(SKIP_1) | instid1(VALU_DEP_3)
	v_mad_u64_u32 v[0:1], null, 0xd2511f53, v3, 0
	v_add_co_u32 v30, null, 0xb54cda56, v10
	v_mad_u64_u32 v[5:6], null, 0xd2511f53, v8, 0
	v_add_co_u32 v32, null, 0x646e171e, v9
	s_delay_alu instid0(VALU_DEP_4) | instskip(SKIP_2) | instid1(VALU_DEP_4)
	v_xor3_b32 v3, v21, v1, v4
	s_load_b256 s[4:11], s[0:1], 0x30
	v_add_co_u32 v33, null, 0x1fd5c5a3, v9
	v_xor3_b32 v6, v22, v6, v0
	s_delay_alu instid0(VALU_DEP_3) | instskip(SKIP_1) | instid1(VALU_DEP_3)
	v_mad_u64_u32 v[0:1], null, 0xcd9e8d57, v3, 0
	v_add_co_u32 v28, null, 0x5384540f, v10
	v_mad_u64_u32 v[3:4], null, 0xcd9e8d57, v6, 0
	v_add_co_u32 v31, null, 0xf1bbcdc8, v10
	s_delay_alu instid0(VALU_DEP_4)
	v_xor3_b32 v6, v23, v1, v7
	s_add_u32 s12, s0, 48
	s_addc_u32 s13, s1, 0
	s_clause 0x1
	s_load_b64 s[14:15], s[0:1], 0xf4
	s_load_b64 s[18:19], s[0:1], 0x138
	v_xor3_b32 v4, v24, v4, v0
	v_mad_u64_u32 v[0:1], null, 0xd2511f53, v6, 0
	v_add_co_u32 v34, null, 0xdb3d7428, v9
	s_delay_alu instid0(VALU_DEP_3) | instskip(SKIP_3) | instid1(VALU_DEP_4)
	v_mad_u64_u32 v[6:7], null, 0xd2511f53, v4, 0
	s_waitcnt lgkmcnt(0)
	s_add_i32 s20, s4, -1
	v_dual_mov_b32 v37, v12 :: v_dual_add_nc_u32 v36, 0x96a522ad, v11
	v_xor3_b32 v2, v25, v1, v5
	s_cmp_gt_u32 s20, 1
	v_dual_mov_b32 v38, v13 :: v_dual_add_nc_u32 v35, 0x8ff34781, v10
	s_delay_alu instid0(VALU_DEP_4) | instskip(NEXT) | instid1(VALU_DEP_3)
	v_xor3_b32 v7, v27, v7, v0
	v_mad_u64_u32 v[0:1], null, 0xcd9e8d57, v2, 0
	s_cselect_b32 s11, -1, 0
	s_cmp_lg_u32 s4, 0
	s_delay_alu instid0(VALU_DEP_2) | instskip(SKIP_2) | instid1(VALU_DEP_2)
	v_mad_u64_u32 v[4:5], null, 0xcd9e8d57, v7, 0
	s_cselect_b32 s27, -1, 0
	s_add_u32 s0, s0, 0xf4
	v_xor3_b32 v2, v29, v1, v3
	s_addc_u32 s1, s1, 0
	s_min_u32 s21, s20, 15
	s_cmp_gt_u32 s4, 1
	s_delay_alu instid0(VALU_DEP_2) | instskip(SKIP_3) | instid1(VALU_DEP_2)
	v_xor3_b32 v5, v30, v5, v0
	v_mad_u64_u32 v[0:1], null, 0xd2511f53, v2, 0
	s_cselect_b32 s4, -1, 0
	s_add_i32 s21, s21, 1
	v_mad_u64_u32 v[2:3], null, 0xd2511f53, v5, 0
	s_and_b32 s28, s21, 3
	s_cmp_lg_u32 s20, 2
	s_delay_alu instid0(VALU_DEP_2) | instskip(SKIP_3) | instid1(VALU_DEP_2)
	v_xor3_b32 v5, v32, v1, v6
	s_cselect_b32 s29, -1, 0
	s_and_b32 s30, s21, 28
	s_cmp_lg_u32 s28, 0
	v_xor3_b32 v3, v33, v3, v0
	v_mad_u64_u32 v[0:1], null, 0xcd9e8d57, v5, 0
	s_mov_b32 s26, 0
	s_cselect_b32 s31, -1, 0
	s_delay_alu instid0(VALU_DEP_2) | instskip(NEXT) | instid1(VALU_DEP_2)
	v_mad_u64_u32 v[5:6], null, 0xcd9e8d57, v3, 0
	v_xor3_b32 v3, v28, v1, v4
	s_delay_alu instid0(VALU_DEP_2) | instskip(NEXT) | instid1(VALU_DEP_2)
	v_xor3_b32 v5, v31, v6, v0
	v_mad_u64_u32 v[0:1], null, 0xd2511f53, v3, 0
	s_delay_alu instid0(VALU_DEP_2) | instskip(NEXT) | instid1(VALU_DEP_2)
	v_mad_u64_u32 v[3:4], null, 0xd2511f53, v5, 0
	v_xor3_b32 v5, v34, v1, v2
	s_delay_alu instid0(VALU_DEP_1) | instskip(NEXT) | instid1(VALU_DEP_3)
	v_mad_u64_u32 v[1:2], null, 0xcd9e8d57, v5, 0
	v_xor3_b32 v2, v4, v0, v36
	s_branch .LBB69_9
.LBB69_7:                               ;   in Loop: Header=BB69_9 Depth=1
	global_store_b8 v1, v3, s[18:19]
.LBB69_8:                               ;   in Loop: Header=BB69_9 Depth=1
	s_or_b32 exec_lo, exec_lo, s33
	v_add_co_u32 v12, vcc_lo, v12, s25
	v_add_co_ci_u32_e32 v13, vcc_lo, 0, v13, vcc_lo
	v_mov_b32_e32 v6, v14
	v_mov_b32_e32 v0, v3
	v_dual_mov_b32 v1, v4 :: v_dual_mov_b32 v2, v5
	s_delay_alu instid0(VALU_DEP_4) | instskip(NEXT) | instid1(VALU_DEP_4)
	v_cmp_le_i64_e32 vcc_lo, s[2:3], v[12:13]
	v_mov_b32_e32 v3, v6
	s_waitcnt_vscnt null, 0x0
	s_barrier
	buffer_gl0_inv
	s_or_b32 s26, vcc_lo, s26
	s_delay_alu instid0(SALU_CYCLE_1)
	s_and_not1_b32 exec_lo, exec_lo, s26
	s_cbranch_execz .LBB69_48
.LBB69_9:                               ; =>This Loop Header: Depth=1
                                        ;     Child Loop BB69_24 Depth 2
                                        ;     Child Loop BB69_29 Depth 2
	;; [unrolled: 1-line block ×4, first 2 shown]
	v_add_co_u32 v16, vcc_lo, v16, 1
	s_delay_alu instid0(VALU_DEP_1) | instskip(SKIP_1) | instid1(VALU_DEP_3)
	v_cndmask_b32_e64 v0, 0, 1, vcc_lo
	v_add_co_ci_u32_e32 v17, vcc_lo, 0, v17, vcc_lo
	v_mad_u64_u32 v[4:5], null, 0xd2511f53, v16, 0
	s_mov_b32 s20, exec_lo
	s_delay_alu instid0(VALU_DEP_2) | instskip(SKIP_1) | instid1(VALU_DEP_1)
	v_cmp_eq_u32_e32 vcc_lo, 0, v17
	v_cndmask_b32_e32 v0, 0, v0, vcc_lo
	v_add_nc_u32_e32 v37, v0, v37
	s_delay_alu instid0(VALU_DEP_1) | instskip(SKIP_2) | instid1(VALU_DEP_2)
	v_cmp_eq_u32_e32 vcc_lo, 0, v37
	v_cndmask_b32_e32 v0, 0, v0, vcc_lo
	v_mad_u64_u32 v[6:7], null, 0xcd9e8d57, v37, 0
	v_add_nc_u32_e32 v38, v0, v38
	v_xor_b32_e32 v0, v5, v11
	s_delay_alu instid0(VALU_DEP_3) | instskip(NEXT) | instid1(VALU_DEP_2)
	v_xor3_b32 v5, v7, v10, v17
	v_xor_b32_e32 v0, v38, v0
	s_delay_alu instid0(VALU_DEP_2) | instskip(NEXT) | instid1(VALU_DEP_2)
	v_mad_u64_u32 v[7:8], null, 0xd2511f53, v5, 0
	v_mad_u64_u32 v[14:15], null, 0xcd9e8d57, v0, 0
	s_delay_alu instid0(VALU_DEP_2) | instskip(NEXT) | instid1(VALU_DEP_2)
	v_xor3_b32 v0, v18, v8, v4
	v_xor3_b32 v6, v19, v15, v6
	s_delay_alu instid0(VALU_DEP_2) | instskip(NEXT) | instid1(VALU_DEP_2)
	v_mad_u64_u32 v[4:5], null, 0xcd9e8d57, v0, 0
	v_mad_u64_u32 v[8:9], null, 0xd2511f53, v6, 0
	s_delay_alu instid0(VALU_DEP_2) | instskip(NEXT) | instid1(VALU_DEP_2)
	v_xor3_b32 v0, v20, v5, v14
	v_xor3_b32 v7, v21, v9, v7
	;; [unrolled: 6-line block ×9, first 2 shown]
	s_delay_alu instid0(VALU_DEP_2)
	v_mov_b32_e32 v5, v8
	v_cmpx_lt_i32_e32 1, v26
	s_xor_b32 s20, exec_lo, s20
	s_cbranch_execnz .LBB69_12
; %bb.10:                               ;   in Loop: Header=BB69_9 Depth=1
	s_and_not1_saveexec_b32 s20, s20
	s_cbranch_execnz .LBB69_17
.LBB69_11:                              ;   in Loop: Header=BB69_9 Depth=1
	s_or_b32 exec_lo, exec_lo, s20
	s_delay_alu instid0(SALU_CYCLE_1)
	s_mov_b32 s33, exec_lo
	v_cmpx_gt_i64_e64 s[16:17], v[12:13]
	s_cbranch_execnz .LBB69_20
	s_branch .LBB69_34
.LBB69_12:                              ;   in Loop: Header=BB69_9 Depth=1
	s_mov_b32 s21, exec_lo
	v_cmpx_lt_i32_e32 2, v26
	s_xor_b32 s21, exec_lo, s21
; %bb.13:                               ;   in Loop: Header=BB69_9 Depth=1
	v_dual_mov_b32 v0, v5 :: v_dual_mov_b32 v1, v6
	v_dual_mov_b32 v2, v7 :: v_dual_mov_b32 v3, v8
; %bb.14:                               ;   in Loop: Header=BB69_9 Depth=1
	s_and_not1_saveexec_b32 s21, s21
; %bb.15:                               ;   in Loop: Header=BB69_9 Depth=1
	s_delay_alu instid0(VALU_DEP_1)
	v_mov_b32_e32 v1, v3
	v_mov_b32_e32 v3, v4
; %bb.16:                               ;   in Loop: Header=BB69_9 Depth=1
	s_or_b32 exec_lo, exec_lo, s21
                                        ; implicit-def: $vgpr6_vgpr7_vgpr8_vgpr9
	s_and_not1_saveexec_b32 s20, s20
	s_cbranch_execz .LBB69_11
.LBB69_17:                              ;   in Loop: Header=BB69_9 Depth=1
	s_mov_b32 s21, exec_lo
	v_cmpx_eq_u32_e32 1, v26
; %bb.18:                               ;   in Loop: Header=BB69_9 Depth=1
	v_mov_b32_e32 v1, v2
	v_mov_b32_e32 v3, v6
; %bb.19:                               ;   in Loop: Header=BB69_9 Depth=1
	s_or_b32 exec_lo, exec_lo, s21
	s_delay_alu instid0(SALU_CYCLE_1) | instskip(NEXT) | instid1(SALU_CYCLE_1)
	s_or_b32 exec_lo, exec_lo, s20
	s_mov_b32 s33, exec_lo
	v_cmpx_gt_i64_e64 s[16:17], v[12:13]
	s_cbranch_execz .LBB69_34
.LBB69_20:                              ;   in Loop: Header=BB69_9 Depth=1
	s_and_not1_b32 vcc_lo, exec_lo, s11
	s_cbranch_vccnz .LBB69_26
; %bb.21:                               ;   in Loop: Header=BB69_9 Depth=1
	v_mov_b32_e32 v0, 0
	s_and_not1_b32 vcc_lo, exec_lo, s27
	s_cbranch_vccnz .LBB69_30
; %bb.22:                               ;   in Loop: Header=BB69_9 Depth=1
	s_and_not1_b32 vcc_lo, exec_lo, s29
	s_mov_b32 s20, 0
	s_cbranch_vccnz .LBB69_27
; %bb.23:                               ;   in Loop: Header=BB69_9 Depth=1
	v_mov_b32_e32 v0, 0
	v_mov_b32_e32 v2, v12
	s_mov_b32 s34, 0
	s_mov_b64 s[20:21], s[12:13]
	s_mov_b64 s[22:23], s[0:1]
.LBB69_24:                              ;   Parent Loop BB69_9 Depth=1
                                        ; =>  This Inner Loop Header: Depth=2
	s_clause 0x1
	s_load_b256 s[36:43], s[20:21], 0x4
	s_load_b128 s[44:47], s[20:21], 0x24
	s_load_b128 s[48:51], s[22:23], 0x0
	s_add_u32 s20, s20, 48
	s_addc_u32 s21, s21, 0
	s_add_i32 s34, s34, 4
	s_add_u32 s22, s22, 16
	s_addc_u32 s23, s23, 0
	s_cmp_lg_u32 s30, s34
	s_waitcnt lgkmcnt(0)
	v_mul_hi_u32 v6, s37, v2
	s_delay_alu instid0(VALU_DEP_1) | instskip(NEXT) | instid1(VALU_DEP_1)
	v_add_nc_u32_e32 v6, v2, v6
	v_lshrrev_b32_e32 v6, s38, v6
	s_delay_alu instid0(VALU_DEP_1) | instskip(SKIP_1) | instid1(VALU_DEP_2)
	v_mul_hi_u32 v7, s40, v6
	v_mul_lo_u32 v15, v6, s36
	v_add_nc_u32_e32 v7, v6, v7
	s_delay_alu instid0(VALU_DEP_2) | instskip(NEXT) | instid1(VALU_DEP_2)
	v_sub_nc_u32_e32 v15, v2, v15
	v_lshrrev_b32_e32 v7, s41, v7
	s_delay_alu instid0(VALU_DEP_2) | instskip(NEXT) | instid1(VALU_DEP_2)
	v_mul_lo_u32 v15, v15, s48
	v_mul_hi_u32 v8, s43, v7
	v_mul_lo_u32 v39, v7, s39
	s_delay_alu instid0(VALU_DEP_2) | instskip(NEXT) | instid1(VALU_DEP_2)
	v_add_nc_u32_e32 v8, v7, v8
	v_sub_nc_u32_e32 v6, v6, v39
	s_delay_alu instid0(VALU_DEP_2) | instskip(NEXT) | instid1(VALU_DEP_2)
	v_lshrrev_b32_e32 v8, s44, v8
	v_mul_lo_u32 v6, v6, s49
	s_delay_alu instid0(VALU_DEP_2) | instskip(NEXT) | instid1(VALU_DEP_2)
	v_mul_hi_u32 v9, s46, v8
	v_add3_u32 v0, v15, v0, v6
	s_delay_alu instid0(VALU_DEP_2) | instskip(NEXT) | instid1(VALU_DEP_1)
	v_add_nc_u32_e32 v9, v8, v9
	v_lshrrev_b32_e32 v2, s47, v9
	v_mul_lo_u32 v9, v8, s42
	s_delay_alu instid0(VALU_DEP_2) | instskip(NEXT) | instid1(VALU_DEP_2)
	v_mul_lo_u32 v40, v2, s45
	v_sub_nc_u32_e32 v7, v7, v9
	s_delay_alu instid0(VALU_DEP_2) | instskip(NEXT) | instid1(VALU_DEP_2)
	v_sub_nc_u32_e32 v8, v8, v40
	v_mul_lo_u32 v7, v7, s50
	s_delay_alu instid0(VALU_DEP_2) | instskip(NEXT) | instid1(VALU_DEP_1)
	v_mul_lo_u32 v8, v8, s51
	v_add3_u32 v0, v7, v0, v8
	s_cbranch_scc1 .LBB69_24
; %bb.25:                               ;   in Loop: Header=BB69_9 Depth=1
	s_mov_b32 s20, s30
	s_and_not1_b32 vcc_lo, exec_lo, s31
	s_cbranch_vccz .LBB69_28
	s_branch .LBB69_30
.LBB69_26:                              ;   in Loop: Header=BB69_9 Depth=1
                                        ; implicit-def: $vgpr0
	s_branch .LBB69_31
.LBB69_27:                              ;   in Loop: Header=BB69_9 Depth=1
	v_mov_b32_e32 v2, v12
	s_and_not1_b32 vcc_lo, exec_lo, s31
	s_cbranch_vccnz .LBB69_30
.LBB69_28:                              ;   in Loop: Header=BB69_9 Depth=1
	s_lshl_b32 s21, s20, 2
	s_mul_i32 s22, s20, 12
	s_add_u32 s20, s0, s21
	s_addc_u32 s21, s1, 0
	s_add_u32 s22, s12, s22
	s_addc_u32 s23, s13, 0
	s_mov_b32 s34, s28
	.p2align	6
.LBB69_29:                              ;   Parent Loop BB69_9 Depth=1
                                        ; =>  This Inner Loop Header: Depth=2
	s_clause 0x1
	s_load_b64 s[36:37], s[22:23], 0x4
	s_load_b32 s35, s[22:23], 0xc
	s_add_u32 s22, s22, 12
	s_addc_u32 s23, s23, 0
	s_waitcnt lgkmcnt(0)
	v_mul_hi_u32 v6, s37, v2
	s_load_b32 s37, s[20:21], 0x0
	s_add_u32 s20, s20, 4
	s_addc_u32 s21, s21, 0
	s_add_i32 s34, s34, -1
	s_delay_alu instid0(SALU_CYCLE_1) | instskip(NEXT) | instid1(VALU_DEP_1)
	s_cmp_lg_u32 s34, 0
	v_add_nc_u32_e32 v6, v2, v6
	s_delay_alu instid0(VALU_DEP_1) | instskip(NEXT) | instid1(VALU_DEP_1)
	v_lshrrev_b32_e32 v8, s35, v6
	v_mul_lo_u32 v6, v8, s36
	s_delay_alu instid0(VALU_DEP_1) | instskip(SKIP_1) | instid1(VALU_DEP_1)
	v_sub_nc_u32_e32 v2, v2, v6
	s_waitcnt lgkmcnt(0)
	v_mad_u64_u32 v[6:7], null, v2, s37, v[0:1]
	v_mov_b32_e32 v2, v8
	s_delay_alu instid0(VALU_DEP_2)
	v_mov_b32_e32 v0, v6
	s_cbranch_scc1 .LBB69_29
.LBB69_30:                              ;   in Loop: Header=BB69_9 Depth=1
	s_cbranch_execnz .LBB69_33
.LBB69_31:                              ;   in Loop: Header=BB69_9 Depth=1
	v_mul_hi_u32 v0, v12, s6
	s_and_not1_b32 vcc_lo, exec_lo, s4
	s_delay_alu instid0(VALU_DEP_1) | instskip(NEXT) | instid1(VALU_DEP_1)
	v_add_nc_u32_e32 v0, v0, v12
	v_lshrrev_b32_e32 v2, s7, v0
	s_delay_alu instid0(VALU_DEP_1) | instskip(NEXT) | instid1(VALU_DEP_1)
	v_mul_lo_u32 v0, v2, s5
	v_sub_nc_u32_e32 v0, v12, v0
	s_delay_alu instid0(VALU_DEP_1)
	v_mul_lo_u32 v0, v0, s14
	s_cbranch_vccnz .LBB69_33
; %bb.32:                               ;   in Loop: Header=BB69_9 Depth=1
	v_mul_hi_u32 v6, s9, v2
	s_delay_alu instid0(VALU_DEP_1) | instskip(NEXT) | instid1(VALU_DEP_1)
	v_add_nc_u32_e32 v6, v2, v6
	v_lshrrev_b32_e32 v6, s10, v6
	s_delay_alu instid0(VALU_DEP_1) | instskip(NEXT) | instid1(VALU_DEP_1)
	v_mul_lo_u32 v6, v6, s8
	v_sub_nc_u32_e32 v2, v2, v6
	s_delay_alu instid0(VALU_DEP_1) | instskip(NEXT) | instid1(VALU_DEP_1)
	v_mad_u64_u32 v[6:7], null, v2, s15, v[0:1]
	v_mov_b32_e32 v0, v6
.LBB69_33:                              ;   in Loop: Header=BB69_9 Depth=1
	global_store_b8 v0, v1, s[18:19]
.LBB69_34:                              ;   in Loop: Header=BB69_9 Depth=1
	s_or_b32 exec_lo, exec_lo, s33
	v_add_co_u32 v0, vcc_lo, v12, s24
	v_add_co_ci_u32_e32 v1, vcc_lo, 0, v13, vcc_lo
	s_mov_b32 s33, exec_lo
	s_delay_alu instid0(VALU_DEP_1)
	v_cmpx_gt_i64_e64 s[16:17], v[0:1]
	s_cbranch_execz .LBB69_8
; %bb.35:                               ;   in Loop: Header=BB69_9 Depth=1
	s_and_not1_b32 vcc_lo, exec_lo, s11
	s_cbranch_vccnz .LBB69_41
; %bb.36:                               ;   in Loop: Header=BB69_9 Depth=1
	v_mov_b32_e32 v1, 0
	s_and_not1_b32 vcc_lo, exec_lo, s27
	s_cbranch_vccnz .LBB69_45
; %bb.37:                               ;   in Loop: Header=BB69_9 Depth=1
	s_and_not1_b32 vcc_lo, exec_lo, s29
	s_mov_b32 s20, 0
	s_cbranch_vccnz .LBB69_42
; %bb.38:                               ;   in Loop: Header=BB69_9 Depth=1
	v_dual_mov_b32 v1, 0 :: v_dual_mov_b32 v2, v0
	s_mov_b32 s34, 0
	s_mov_b64 s[20:21], s[12:13]
	s_mov_b64 s[22:23], s[0:1]
.LBB69_39:                              ;   Parent Loop BB69_9 Depth=1
                                        ; =>  This Inner Loop Header: Depth=2
	s_clause 0x1
	s_load_b256 s[36:43], s[20:21], 0x4
	s_load_b128 s[44:47], s[20:21], 0x24
	s_load_b128 s[48:51], s[22:23], 0x0
	s_add_u32 s20, s20, 48
	s_addc_u32 s21, s21, 0
	s_add_i32 s34, s34, 4
	s_add_u32 s22, s22, 16
	s_addc_u32 s23, s23, 0
	s_cmp_eq_u32 s30, s34
	s_waitcnt lgkmcnt(0)
	v_mul_hi_u32 v6, s37, v2
	s_delay_alu instid0(VALU_DEP_1) | instskip(NEXT) | instid1(VALU_DEP_1)
	v_add_nc_u32_e32 v6, v2, v6
	v_lshrrev_b32_e32 v6, s38, v6
	s_delay_alu instid0(VALU_DEP_1) | instskip(SKIP_1) | instid1(VALU_DEP_2)
	v_mul_hi_u32 v7, s40, v6
	v_mul_lo_u32 v15, v6, s36
	v_add_nc_u32_e32 v7, v6, v7
	s_delay_alu instid0(VALU_DEP_2) | instskip(NEXT) | instid1(VALU_DEP_2)
	v_sub_nc_u32_e32 v15, v2, v15
	v_lshrrev_b32_e32 v7, s41, v7
	s_delay_alu instid0(VALU_DEP_2) | instskip(NEXT) | instid1(VALU_DEP_2)
	v_mul_lo_u32 v15, v15, s48
	v_mul_hi_u32 v8, s43, v7
	v_mul_lo_u32 v39, v7, s39
	s_delay_alu instid0(VALU_DEP_2) | instskip(NEXT) | instid1(VALU_DEP_2)
	v_add_nc_u32_e32 v8, v7, v8
	v_sub_nc_u32_e32 v6, v6, v39
	s_delay_alu instid0(VALU_DEP_2) | instskip(NEXT) | instid1(VALU_DEP_2)
	v_lshrrev_b32_e32 v8, s44, v8
	v_mul_lo_u32 v6, v6, s49
	s_delay_alu instid0(VALU_DEP_2) | instskip(NEXT) | instid1(VALU_DEP_2)
	v_mul_hi_u32 v9, s46, v8
	v_add3_u32 v1, v15, v1, v6
	s_delay_alu instid0(VALU_DEP_2) | instskip(NEXT) | instid1(VALU_DEP_1)
	v_add_nc_u32_e32 v9, v8, v9
	v_lshrrev_b32_e32 v2, s47, v9
	v_mul_lo_u32 v9, v8, s42
	s_delay_alu instid0(VALU_DEP_2) | instskip(NEXT) | instid1(VALU_DEP_2)
	v_mul_lo_u32 v40, v2, s45
	v_sub_nc_u32_e32 v7, v7, v9
	s_delay_alu instid0(VALU_DEP_2) | instskip(NEXT) | instid1(VALU_DEP_2)
	v_sub_nc_u32_e32 v8, v8, v40
	v_mul_lo_u32 v7, v7, s50
	s_delay_alu instid0(VALU_DEP_2) | instskip(NEXT) | instid1(VALU_DEP_1)
	v_mul_lo_u32 v8, v8, s51
	v_add3_u32 v1, v7, v1, v8
	s_cbranch_scc0 .LBB69_39
; %bb.40:                               ;   in Loop: Header=BB69_9 Depth=1
	s_mov_b32 s20, s30
	s_and_not1_b32 vcc_lo, exec_lo, s31
	s_cbranch_vccz .LBB69_43
	s_branch .LBB69_45
.LBB69_41:                              ;   in Loop: Header=BB69_9 Depth=1
                                        ; implicit-def: $vgpr1
	s_branch .LBB69_46
.LBB69_42:                              ;   in Loop: Header=BB69_9 Depth=1
	v_mov_b32_e32 v2, v0
	s_and_not1_b32 vcc_lo, exec_lo, s31
	s_cbranch_vccnz .LBB69_45
.LBB69_43:                              ;   in Loop: Header=BB69_9 Depth=1
	s_lshl_b32 s21, s20, 2
	s_mul_i32 s22, s20, 12
	s_add_u32 s20, s0, s21
	s_addc_u32 s21, s1, 0
	s_add_u32 s22, s12, s22
	s_addc_u32 s23, s13, 0
	s_mov_b32 s34, s28
	.p2align	6
.LBB69_44:                              ;   Parent Loop BB69_9 Depth=1
                                        ; =>  This Inner Loop Header: Depth=2
	s_clause 0x1
	s_load_b64 s[36:37], s[22:23], 0x4
	s_load_b32 s35, s[22:23], 0xc
	s_add_u32 s22, s22, 12
	s_addc_u32 s23, s23, 0
	s_waitcnt lgkmcnt(0)
	v_mul_hi_u32 v6, s37, v2
	s_load_b32 s37, s[20:21], 0x0
	s_add_u32 s20, s20, 4
	s_addc_u32 s21, s21, 0
	s_add_i32 s34, s34, -1
	s_delay_alu instid0(SALU_CYCLE_1) | instskip(NEXT) | instid1(VALU_DEP_1)
	s_cmp_lg_u32 s34, 0
	v_add_nc_u32_e32 v6, v2, v6
	s_delay_alu instid0(VALU_DEP_1) | instskip(NEXT) | instid1(VALU_DEP_1)
	v_lshrrev_b32_e32 v8, s35, v6
	v_mul_lo_u32 v6, v8, s36
	s_delay_alu instid0(VALU_DEP_1) | instskip(SKIP_1) | instid1(VALU_DEP_1)
	v_sub_nc_u32_e32 v2, v2, v6
	s_waitcnt lgkmcnt(0)
	v_mad_u64_u32 v[6:7], null, v2, s37, v[1:2]
	s_delay_alu instid0(VALU_DEP_1)
	v_dual_mov_b32 v2, v8 :: v_dual_mov_b32 v1, v6
	s_cbranch_scc1 .LBB69_44
.LBB69_45:                              ;   in Loop: Header=BB69_9 Depth=1
	s_cbranch_execnz .LBB69_7
.LBB69_46:                              ;   in Loop: Header=BB69_9 Depth=1
	v_mul_hi_u32 v1, v0, s6
	s_and_not1_b32 vcc_lo, exec_lo, s4
	s_delay_alu instid0(VALU_DEP_1) | instskip(NEXT) | instid1(VALU_DEP_1)
	v_add_nc_u32_e32 v1, v1, v0
	v_lshrrev_b32_e32 v2, s7, v1
	s_delay_alu instid0(VALU_DEP_1) | instskip(NEXT) | instid1(VALU_DEP_1)
	v_mul_lo_u32 v1, v2, s5
	v_sub_nc_u32_e32 v0, v0, v1
	s_delay_alu instid0(VALU_DEP_1)
	v_mul_lo_u32 v1, v0, s14
	s_cbranch_vccnz .LBB69_7
; %bb.47:                               ;   in Loop: Header=BB69_9 Depth=1
	v_mul_hi_u32 v0, s9, v2
	s_delay_alu instid0(VALU_DEP_1) | instskip(NEXT) | instid1(VALU_DEP_1)
	v_add_nc_u32_e32 v0, v2, v0
	v_lshrrev_b32_e32 v0, s10, v0
	s_delay_alu instid0(VALU_DEP_1) | instskip(NEXT) | instid1(VALU_DEP_1)
	v_mul_lo_u32 v0, v0, s8
	v_sub_nc_u32_e32 v0, v2, v0
	s_delay_alu instid0(VALU_DEP_1) | instskip(NEXT) | instid1(VALU_DEP_1)
	v_mad_u64_u32 v[6:7], null, v0, s15, v[1:2]
	v_mov_b32_e32 v1, v6
	s_branch .LBB69_7
.LBB69_48:
	s_endpgm
.LBB69_49:
                                        ; implicit-def: $sgpr2_sgpr3
	s_branch .LBB69_4
	.section	.rodata,"a",@progbits
	.p2align	6, 0x0
	.amdhsa_kernel _ZN2at6native12_GLOBAL__N_143distribution_elementwise_grid_stride_kernelImLi2EZZZNS0_9templates4cuda13random_kernelIPNS_17CUDAGeneratorImplEEEvRNS_18TensorIteratorBaseET_ENKUlvE_clEvENKUlvE_clEvEUlP25hiprandStatePhilox4_32_10E_ZNS1_27distribution_nullary_kernelIhm15HIP_vector_typeIyLj2EES7_SF_ZZZNS5_IS7_EEvS9_SA_ENKSB_clEvENKSC_clEvEUlmE_EEvS9_T2_RKT3_T4_EUlimE0_EEvlNS_15PhiloxCudaStateET1_SK_
		.amdhsa_group_segment_fixed_size 0
		.amdhsa_private_segment_fixed_size 0
		.amdhsa_kernarg_size 584
		.amdhsa_user_sgpr_count 15
		.amdhsa_user_sgpr_dispatch_ptr 0
		.amdhsa_user_sgpr_queue_ptr 0
		.amdhsa_user_sgpr_kernarg_segment_ptr 1
		.amdhsa_user_sgpr_dispatch_id 0
		.amdhsa_user_sgpr_private_segment_size 0
		.amdhsa_wavefront_size32 1
		.amdhsa_uses_dynamic_stack 0
		.amdhsa_enable_private_segment 0
		.amdhsa_system_sgpr_workgroup_id_x 1
		.amdhsa_system_sgpr_workgroup_id_y 0
		.amdhsa_system_sgpr_workgroup_id_z 0
		.amdhsa_system_sgpr_workgroup_info 0
		.amdhsa_system_vgpr_workitem_id 0
		.amdhsa_next_free_vgpr 41
		.amdhsa_next_free_sgpr 52
		.amdhsa_reserve_vcc 1
		.amdhsa_float_round_mode_32 0
		.amdhsa_float_round_mode_16_64 0
		.amdhsa_float_denorm_mode_32 3
		.amdhsa_float_denorm_mode_16_64 3
		.amdhsa_dx10_clamp 1
		.amdhsa_ieee_mode 1
		.amdhsa_fp16_overflow 0
		.amdhsa_workgroup_processor_mode 1
		.amdhsa_memory_ordered 1
		.amdhsa_forward_progress 0
		.amdhsa_shared_vgpr_count 0
		.amdhsa_exception_fp_ieee_invalid_op 0
		.amdhsa_exception_fp_denorm_src 0
		.amdhsa_exception_fp_ieee_div_zero 0
		.amdhsa_exception_fp_ieee_overflow 0
		.amdhsa_exception_fp_ieee_underflow 0
		.amdhsa_exception_fp_ieee_inexact 0
		.amdhsa_exception_int_div_zero 0
	.end_amdhsa_kernel
	.section	.text._ZN2at6native12_GLOBAL__N_143distribution_elementwise_grid_stride_kernelImLi2EZZZNS0_9templates4cuda13random_kernelIPNS_17CUDAGeneratorImplEEEvRNS_18TensorIteratorBaseET_ENKUlvE_clEvENKUlvE_clEvEUlP25hiprandStatePhilox4_32_10E_ZNS1_27distribution_nullary_kernelIhm15HIP_vector_typeIyLj2EES7_SF_ZZZNS5_IS7_EEvS9_SA_ENKSB_clEvENKSC_clEvEUlmE_EEvS9_T2_RKT3_T4_EUlimE0_EEvlNS_15PhiloxCudaStateET1_SK_,"axG",@progbits,_ZN2at6native12_GLOBAL__N_143distribution_elementwise_grid_stride_kernelImLi2EZZZNS0_9templates4cuda13random_kernelIPNS_17CUDAGeneratorImplEEEvRNS_18TensorIteratorBaseET_ENKUlvE_clEvENKUlvE_clEvEUlP25hiprandStatePhilox4_32_10E_ZNS1_27distribution_nullary_kernelIhm15HIP_vector_typeIyLj2EES7_SF_ZZZNS5_IS7_EEvS9_SA_ENKSB_clEvENKSC_clEvEUlmE_EEvS9_T2_RKT3_T4_EUlimE0_EEvlNS_15PhiloxCudaStateET1_SK_,comdat
.Lfunc_end69:
	.size	_ZN2at6native12_GLOBAL__N_143distribution_elementwise_grid_stride_kernelImLi2EZZZNS0_9templates4cuda13random_kernelIPNS_17CUDAGeneratorImplEEEvRNS_18TensorIteratorBaseET_ENKUlvE_clEvENKUlvE_clEvEUlP25hiprandStatePhilox4_32_10E_ZNS1_27distribution_nullary_kernelIhm15HIP_vector_typeIyLj2EES7_SF_ZZZNS5_IS7_EEvS9_SA_ENKSB_clEvENKSC_clEvEUlmE_EEvS9_T2_RKT3_T4_EUlimE0_EEvlNS_15PhiloxCudaStateET1_SK_, .Lfunc_end69-_ZN2at6native12_GLOBAL__N_143distribution_elementwise_grid_stride_kernelImLi2EZZZNS0_9templates4cuda13random_kernelIPNS_17CUDAGeneratorImplEEEvRNS_18TensorIteratorBaseET_ENKUlvE_clEvENKUlvE_clEvEUlP25hiprandStatePhilox4_32_10E_ZNS1_27distribution_nullary_kernelIhm15HIP_vector_typeIyLj2EES7_SF_ZZZNS5_IS7_EEvS9_SA_ENKSB_clEvENKSC_clEvEUlmE_EEvS9_T2_RKT3_T4_EUlimE0_EEvlNS_15PhiloxCudaStateET1_SK_
                                        ; -- End function
	.section	.AMDGPU.csdata,"",@progbits
; Kernel info:
; codeLenInByte = 3776
; NumSgprs: 54
; NumVgprs: 41
; ScratchSize: 0
; MemoryBound: 0
; FloatMode: 240
; IeeeMode: 1
; LDSByteSize: 0 bytes/workgroup (compile time only)
; SGPRBlocks: 6
; VGPRBlocks: 5
; NumSGPRsForWavesPerEU: 54
; NumVGPRsForWavesPerEU: 41
; Occupancy: 16
; WaveLimiterHint : 1
; COMPUTE_PGM_RSRC2:SCRATCH_EN: 0
; COMPUTE_PGM_RSRC2:USER_SGPR: 15
; COMPUTE_PGM_RSRC2:TRAP_HANDLER: 0
; COMPUTE_PGM_RSRC2:TGID_X_EN: 1
; COMPUTE_PGM_RSRC2:TGID_Y_EN: 0
; COMPUTE_PGM_RSRC2:TGID_Z_EN: 0
; COMPUTE_PGM_RSRC2:TIDIG_COMP_CNT: 0
	.section	.text._ZN2at6native12_GLOBAL__N_143distribution_elementwise_grid_stride_kernelIjLi4EZZZNS0_9templates4cuda13random_kernelIPNS_17CUDAGeneratorImplEEEvRNS_18TensorIteratorBaseET_ENKUlvE_clEvENKUlvE_clEvEUlP25hiprandStatePhilox4_32_10E0_ZNS1_27distribution_nullary_kernelIhj15HIP_vector_typeIjLj4EES7_SF_ZZZNS5_IS7_EEvS9_SA_ENKSB_clEvENKSC_clEvEUljE_EEvS9_T2_RKT3_T4_EUlijE_EEvlNS_15PhiloxCudaStateET1_SK_,"axG",@progbits,_ZN2at6native12_GLOBAL__N_143distribution_elementwise_grid_stride_kernelIjLi4EZZZNS0_9templates4cuda13random_kernelIPNS_17CUDAGeneratorImplEEEvRNS_18TensorIteratorBaseET_ENKUlvE_clEvENKUlvE_clEvEUlP25hiprandStatePhilox4_32_10E0_ZNS1_27distribution_nullary_kernelIhj15HIP_vector_typeIjLj4EES7_SF_ZZZNS5_IS7_EEvS9_SA_ENKSB_clEvENKSC_clEvEUljE_EEvS9_T2_RKT3_T4_EUlijE_EEvlNS_15PhiloxCudaStateET1_SK_,comdat
	.globl	_ZN2at6native12_GLOBAL__N_143distribution_elementwise_grid_stride_kernelIjLi4EZZZNS0_9templates4cuda13random_kernelIPNS_17CUDAGeneratorImplEEEvRNS_18TensorIteratorBaseET_ENKUlvE_clEvENKUlvE_clEvEUlP25hiprandStatePhilox4_32_10E0_ZNS1_27distribution_nullary_kernelIhj15HIP_vector_typeIjLj4EES7_SF_ZZZNS5_IS7_EEvS9_SA_ENKSB_clEvENKSC_clEvEUljE_EEvS9_T2_RKT3_T4_EUlijE_EEvlNS_15PhiloxCudaStateET1_SK_ ; -- Begin function _ZN2at6native12_GLOBAL__N_143distribution_elementwise_grid_stride_kernelIjLi4EZZZNS0_9templates4cuda13random_kernelIPNS_17CUDAGeneratorImplEEEvRNS_18TensorIteratorBaseET_ENKUlvE_clEvENKUlvE_clEvEUlP25hiprandStatePhilox4_32_10E0_ZNS1_27distribution_nullary_kernelIhj15HIP_vector_typeIjLj4EES7_SF_ZZZNS5_IS7_EEvS9_SA_ENKSB_clEvENKSC_clEvEUljE_EEvS9_T2_RKT3_T4_EUlijE_EEvlNS_15PhiloxCudaStateET1_SK_
	.p2align	8
	.type	_ZN2at6native12_GLOBAL__N_143distribution_elementwise_grid_stride_kernelIjLi4EZZZNS0_9templates4cuda13random_kernelIPNS_17CUDAGeneratorImplEEEvRNS_18TensorIteratorBaseET_ENKUlvE_clEvENKUlvE_clEvEUlP25hiprandStatePhilox4_32_10E0_ZNS1_27distribution_nullary_kernelIhj15HIP_vector_typeIjLj4EES7_SF_ZZZNS5_IS7_EEvS9_SA_ENKSB_clEvENKSC_clEvEUljE_EEvS9_T2_RKT3_T4_EUlijE_EEvlNS_15PhiloxCudaStateET1_SK_,@function
_ZN2at6native12_GLOBAL__N_143distribution_elementwise_grid_stride_kernelIjLi4EZZZNS0_9templates4cuda13random_kernelIPNS_17CUDAGeneratorImplEEEvRNS_18TensorIteratorBaseET_ENKUlvE_clEvENKUlvE_clEvEUlP25hiprandStatePhilox4_32_10E0_ZNS1_27distribution_nullary_kernelIhj15HIP_vector_typeIjLj4EES7_SF_ZZZNS5_IS7_EEvS9_SA_ENKSB_clEvENKSC_clEvEUljE_EEvS9_T2_RKT3_T4_EUlijE_EEvlNS_15PhiloxCudaStateET1_SK_: ; @_ZN2at6native12_GLOBAL__N_143distribution_elementwise_grid_stride_kernelIjLi4EZZZNS0_9templates4cuda13random_kernelIPNS_17CUDAGeneratorImplEEEvRNS_18TensorIteratorBaseET_ENKUlvE_clEvENKUlvE_clEvEUlP25hiprandStatePhilox4_32_10E0_ZNS1_27distribution_nullary_kernelIhj15HIP_vector_typeIjLj4EES7_SF_ZZZNS5_IS7_EEvS9_SA_ENKSB_clEvENKSC_clEvEUljE_EEvS9_T2_RKT3_T4_EUlijE_EEvlNS_15PhiloxCudaStateET1_SK_
; %bb.0:
	s_clause 0x2
	s_load_b64 s[8:9], s[0:1], 0x10
	s_load_b128 s[4:7], s[0:1], 0x0
	s_load_b32 s2, s[0:1], 0x20
	s_waitcnt lgkmcnt(0)
	v_dual_mov_b32 v2, s8 :: v_dual_mov_b32 v3, s9
	v_dual_mov_b32 v12, s7 :: v_dual_mov_b32 v11, s6
	s_bitcmp0_b32 s2, 0
	s_mov_b32 s2, 0
	s_cbranch_scc1 .LBB70_2
; %bb.1:
	v_dual_mov_b32 v1, s8 :: v_dual_mov_b32 v2, s9
	v_dual_mov_b32 v4, s6 :: v_dual_mov_b32 v5, s7
	s_load_b64 s[6:7], s[0:1], 0x18
	flat_load_b64 v[2:3], v[1:2]
	flat_load_b64 v[11:12], v[4:5]
	s_waitcnt vmcnt(1) lgkmcnt(0)
	v_add_co_u32 v2, vcc_lo, v2, s6
	v_add_co_ci_u32_e32 v3, vcc_lo, s7, v3, vcc_lo
.LBB70_2:
	s_clause 0x1
	s_load_b32 s3, s[0:1], 0x4c
	s_load_b32 s11, s[0:1], 0x40
	s_waitcnt lgkmcnt(0)
	s_and_b32 s10, s3, 0xffff
	s_add_u32 s6, s4, -1
	s_mul_i32 s8, s11, s10
	s_addc_u32 s3, s5, -1
	s_lshl_b32 s9, s8, 2
	s_cmp_lg_u64 s[2:3], 0
	s_cbranch_scc0 .LBB70_27
; %bb.3:
	v_cvt_f32_ubyte0_e32 v1, 0
	v_cvt_f32_u32_e32 v4, s9
	s_sub_u32 s12, 0, s9
	s_subb_u32 s13, 0, 0
	s_delay_alu instid0(VALU_DEP_1) | instskip(NEXT) | instid1(VALU_DEP_1)
	v_fmamk_f32 v1, v1, 0x4f800000, v4
	v_rcp_f32_e32 v1, v1
	s_waitcnt_depctr 0xfff
	v_mul_f32_e32 v1, 0x5f7ffffc, v1
	s_delay_alu instid0(VALU_DEP_1) | instskip(NEXT) | instid1(VALU_DEP_1)
	v_mul_f32_e32 v4, 0x2f800000, v1
	v_trunc_f32_e32 v4, v4
	s_delay_alu instid0(VALU_DEP_1) | instskip(SKIP_1) | instid1(VALU_DEP_2)
	v_fmamk_f32 v1, v4, 0xcf800000, v1
	v_cvt_u32_f32_e32 v4, v4
	v_cvt_u32_f32_e32 v1, v1
	s_delay_alu instid0(VALU_DEP_2) | instskip(NEXT) | instid1(VALU_DEP_2)
	v_readfirstlane_b32 s2, v4
	v_readfirstlane_b32 s7, v1
	s_delay_alu instid0(VALU_DEP_2) | instskip(NEXT) | instid1(VALU_DEP_1)
	s_mul_i32 s14, s12, s2
	s_mul_hi_u32 s17, s12, s7
	s_mul_i32 s16, s13, s7
	s_add_i32 s14, s17, s14
	s_mul_i32 s18, s12, s7
	s_add_i32 s14, s14, s16
	s_mul_hi_u32 s17, s7, s18
	s_mul_hi_u32 s19, s2, s18
	s_mul_i32 s16, s2, s18
	s_mul_hi_u32 s18, s7, s14
	s_mul_i32 s7, s7, s14
	s_mul_hi_u32 s20, s2, s14
	s_add_u32 s7, s17, s7
	s_addc_u32 s17, 0, s18
	s_add_u32 s7, s7, s16
	s_mul_i32 s14, s2, s14
	s_addc_u32 s7, s17, s19
	s_addc_u32 s16, s20, 0
	s_add_u32 s7, s7, s14
	s_addc_u32 s14, 0, s16
	v_add_co_u32 v1, s7, v1, s7
	s_delay_alu instid0(VALU_DEP_1) | instskip(SKIP_1) | instid1(VALU_DEP_1)
	s_cmp_lg_u32 s7, 0
	s_addc_u32 s2, s2, s14
	v_readfirstlane_b32 s7, v1
	s_mul_i32 s14, s12, s2
	s_delay_alu instid0(VALU_DEP_1)
	s_mul_hi_u32 s16, s12, s7
	s_mul_i32 s13, s13, s7
	s_add_i32 s14, s16, s14
	s_mul_i32 s12, s12, s7
	s_add_i32 s14, s14, s13
	s_mul_hi_u32 s16, s2, s12
	s_mul_i32 s17, s2, s12
	s_mul_hi_u32 s12, s7, s12
	s_mul_hi_u32 s18, s7, s14
	s_mul_i32 s7, s7, s14
	s_mul_hi_u32 s13, s2, s14
	s_add_u32 s7, s12, s7
	s_addc_u32 s12, 0, s18
	s_add_u32 s7, s7, s17
	s_mul_i32 s14, s2, s14
	s_addc_u32 s7, s12, s16
	s_addc_u32 s12, s13, 0
	s_add_u32 s7, s7, s14
	s_addc_u32 s12, 0, s12
	v_add_co_u32 v1, s7, v1, s7
	s_delay_alu instid0(VALU_DEP_1) | instskip(SKIP_2) | instid1(VALU_DEP_1)
	s_cmp_lg_u32 s7, 0
	s_addc_u32 s7, s2, s12
	s_ashr_i32 s12, s3, 31
	v_readfirstlane_b32 s14, v1
	s_add_u32 s2, s6, s12
	s_mov_b32 s13, s12
	s_addc_u32 s3, s3, s12
	s_delay_alu instid0(SALU_CYCLE_1) | instskip(NEXT) | instid1(SALU_CYCLE_1)
	s_xor_b64 s[2:3], s[2:3], s[12:13]
	s_mul_i32 s17, s2, s7
	s_mul_hi_u32 s18, s2, s14
	s_mul_hi_u32 s16, s2, s7
	;; [unrolled: 1-line block ×3, first 2 shown]
	s_mul_i32 s14, s3, s14
	s_add_u32 s17, s18, s17
	s_addc_u32 s16, 0, s16
	s_mul_hi_u32 s19, s3, s7
	s_add_u32 s14, s17, s14
	s_mul_i32 s7, s3, s7
	s_addc_u32 s14, s16, s20
	s_addc_u32 s16, s19, 0
	s_add_u32 s7, s14, s7
	s_addc_u32 s14, 0, s16
	s_mul_i32 s17, s9, s7
	s_add_u32 s16, s7, 1
	v_sub_co_u32 v1, s2, s2, s17
	s_mul_hi_u32 s17, s9, s7
	s_addc_u32 s18, s14, 0
	s_mul_i32 s19, s9, s14
	s_delay_alu instid0(VALU_DEP_1)
	v_sub_co_u32 v4, s20, v1, s9
	s_add_u32 s21, s7, 2
	s_addc_u32 s22, s14, 0
	s_add_i32 s17, s17, s19
	s_cmp_lg_u32 s2, 0
	v_readfirstlane_b32 s2, v4
	s_subb_u32 s3, s3, s17
	s_cmp_lg_u32 s20, 0
	s_subb_u32 s17, s3, 0
	s_delay_alu instid0(VALU_DEP_1) | instskip(SKIP_4) | instid1(SALU_CYCLE_1)
	s_cmp_ge_u32 s2, s9
	s_cselect_b32 s2, -1, 0
	s_cmp_eq_u32 s17, 0
	v_readfirstlane_b32 s17, v1
	s_cselect_b32 s2, s2, -1
	s_cmp_lg_u32 s2, 0
	s_cselect_b32 s2, s21, s16
	s_cselect_b32 s16, s22, s18
	s_cmp_ge_u32 s17, s9
	s_cselect_b32 s17, -1, 0
	s_cmp_eq_u32 s3, 0
	s_cselect_b32 s3, s17, -1
	s_delay_alu instid0(SALU_CYCLE_1) | instskip(SKIP_2) | instid1(SALU_CYCLE_1)
	s_cmp_lg_u32 s3, 0
	s_cselect_b32 s3, s16, s14
	s_cselect_b32 s2, s2, s7
	s_xor_b64 s[2:3], s[2:3], s[12:13]
	s_delay_alu instid0(SALU_CYCLE_1)
	s_sub_u32 s2, s2, s12
	s_subb_u32 s3, s3, s12
	s_cbranch_execnz .LBB70_5
.LBB70_4:
	v_cvt_f32_u32_e32 v1, s9
	s_sub_i32 s3, 0, s9
	s_delay_alu instid0(VALU_DEP_1) | instskip(SKIP_2) | instid1(VALU_DEP_1)
	v_rcp_iflag_f32_e32 v1, v1
	s_waitcnt_depctr 0xfff
	v_mul_f32_e32 v1, 0x4f7ffffe, v1
	v_cvt_u32_f32_e32 v1, v1
	s_delay_alu instid0(VALU_DEP_1) | instskip(NEXT) | instid1(VALU_DEP_1)
	v_readfirstlane_b32 s2, v1
	s_mul_i32 s3, s3, s2
	s_delay_alu instid0(SALU_CYCLE_1) | instskip(NEXT) | instid1(SALU_CYCLE_1)
	s_mul_hi_u32 s3, s2, s3
	s_add_i32 s2, s2, s3
	s_delay_alu instid0(SALU_CYCLE_1) | instskip(NEXT) | instid1(SALU_CYCLE_1)
	s_mul_hi_u32 s2, s6, s2
	s_mul_i32 s3, s2, s9
	s_delay_alu instid0(SALU_CYCLE_1)
	s_sub_i32 s3, s6, s3
	s_add_i32 s6, s2, 1
	s_sub_i32 s7, s3, s9
	s_cmp_ge_u32 s3, s9
	s_cselect_b32 s2, s6, s2
	s_cselect_b32 s3, s7, s3
	s_add_i32 s6, s2, 1
	s_cmp_ge_u32 s3, s9
	s_mov_b32 s3, 0
	s_cselect_b32 s2, s6, s2
.LBB70_5:
	v_mov_b32_e32 v1, 0
	s_add_u32 s2, s2, 1
	s_addc_u32 s3, s3, 0
	s_mul_hi_u32 s6, s8, s2
	s_mul_i32 s3, s8, s3
	v_mad_u64_u32 v[13:14], null, s10, s15, v[0:1]
	s_mul_hi_u32 s7, s11, s10
	s_add_i32 s3, s6, s3
	s_mul_i32 s7, s7, s2
	s_mul_i32 s2, s8, s2
	s_add_i32 s3, s3, s7
	s_mov_b32 s6, exec_lo
	s_lshl_b64 s[2:3], s[2:3], 2
	s_delay_alu instid0(SALU_CYCLE_1)
	v_cmpx_gt_i64_e64 s[2:3], v[13:14]
	s_cbranch_execz .LBB70_26
; %bb.6:
	v_alignbit_b32 v17, v3, v2, 2
	v_mad_u64_u32 v[6:7], null, 0xcd9e8d57, v13, 0
	v_lshrrev_b32_e32 v18, 2, v3
	s_waitcnt vmcnt(0)
	v_dual_mov_b32 v15, v12 :: v_dual_add_nc_u32 v30, 0x8ff34781, v11
	v_mad_u64_u32 v[4:5], null, 0xd2511f53, v17, 0
	v_add_co_u32 v20, null, 0x9e3779b9, v11
	v_xor3_b32 v3, v11, v7, v18
	s_delay_alu instid0(VALU_DEP_4) | instskip(SKIP_2) | instid1(VALU_DEP_4)
	v_add_co_u32 v19, null, 0xbb67ae85, v15
	v_add_co_u32 v21, null, 0x3c6ef372, v11
	v_xor_b32_e32 v1, v5, v12
	v_mad_u64_u32 v[7:8], null, 0xd2511f53, v3, 0
	v_add_co_u32 v22, null, 0x76cf5d0a, v15
	s_delay_alu instid0(VALU_DEP_3) | instskip(SKIP_2) | instid1(VALU_DEP_3)
	v_xor_b32_e32 v1, v1, v14
	v_add_co_u32 v23, null, 0x32370b8f, v15
	v_add_co_u32 v24, null, 0xdaa66d2b, v11
	v_mad_u64_u32 v[9:10], null, 0xcd9e8d57, v1, 0
	v_xor3_b32 v1, v19, v8, v4
	v_add_co_u32 v25, null, 0x78dde6e4, v11
	v_add_co_u32 v26, null, 0xed9eba14, v15
	s_delay_alu instid0(VALU_DEP_3) | instskip(SKIP_3) | instid1(VALU_DEP_3)
	v_mad_u64_u32 v[3:4], null, 0xcd9e8d57, v1, 0
	v_xor3_b32 v8, v20, v10, v6
	v_add_co_u32 v27, null, 0xa9066899, v15
	v_add_co_u32 v28, null, 0x1715609d, v11
	v_mad_u64_u32 v[5:6], null, 0xd2511f53, v8, 0
	v_xor3_b32 v1, v21, v4, v9
	v_and_b32_e32 v29, 3, v2
	v_add_co_u32 v33, null, 0xb54cda56, v11
	v_add_co_u32 v34, null, 0x646e171e, v15
	v_xor3_b32 v4, v22, v6, v7
	v_mad_u64_u32 v[6:7], null, 0xd2511f53, v1, 0
	v_add_co_u32 v36, null, 0x1fd5c5a3, v15
	s_delay_alu instid0(VALU_DEP_3) | instskip(SKIP_1) | instid1(VALU_DEP_4)
	v_mad_u64_u32 v[8:9], null, 0xcd9e8d57, v4, 0
	v_add_co_u32 v32, null, 0x5384540f, v11
	v_xor3_b32 v1, v23, v7, v5
	s_clause 0x1
	s_load_b64 s[6:7], s[0:1], 0x30
	s_load_b32 s12, s[0:1], 0x38
	v_add_co_u32 v35, null, 0xf1bbcdc8, v11
	s_delay_alu instid0(VALU_DEP_4) | instskip(SKIP_3) | instid1(VALU_DEP_2)
	v_xor3_b32 v5, v24, v9, v3
	v_mad_u64_u32 v[3:4], null, 0xcd9e8d57, v1, 0
	s_mul_i32 s13, s11, 3
	s_add_i32 s16, s15, s11
	v_mad_u64_u32 v[9:10], null, 0xd2511f53, v5, 0
	s_add_i32 s13, s15, s13
	v_add_co_u32 v38, null, 0xdb3d7428, v15
	s_delay_alu instid0(VALU_DEP_3) | instskip(SKIP_2) | instid1(VALU_DEP_4)
	v_xor3_b32 v1, v25, v4, v8
	s_lshl_b32 s14, s11, 1
	v_add_nc_u32_e32 v31, 0x96a522ad, v12
	v_xor3_b32 v8, v26, v10, v6
	v_mov_b32_e32 v37, v13
	v_mad_u64_u32 v[4:5], null, 0xd2511f53, v1, 0
	s_waitcnt lgkmcnt(0)
	s_mul_i32 s11, s11, s12
	v_mad_u64_u32 v[6:7], null, 0xcd9e8d57, v8, 0
	v_mov_b32_e32 v43, v14
	s_mul_i32 s11, s11, s10
	s_mov_b32 s0, 0
	s_delay_alu instid0(VALU_DEP_3) | instskip(SKIP_2) | instid1(VALU_DEP_3)
	v_xor3_b32 v5, v27, v5, v9
	s_lshl_b32 s1, s8, 1
	s_lshl_b32 s11, s11, 2
	v_xor3_b32 v3, v28, v7, v3
	s_delay_alu instid0(VALU_DEP_2) | instskip(NEXT) | instid1(VALU_DEP_2)
	v_mad_u64_u32 v[1:2], null, 0xcd9e8d57, v5, 0
	v_mad_u64_u32 v[7:8], null, 0xd2511f53, v3, 0
	s_delay_alu instid0(VALU_DEP_2) | instskip(NEXT) | instid1(VALU_DEP_2)
	v_xor3_b32 v2, v33, v2, v6
	v_xor3_b32 v6, v34, v8, v4
	s_delay_alu instid0(VALU_DEP_4) | instskip(NEXT) | instid1(VALU_DEP_3)
	v_mad_u64_u32 v[3:4], null, s15, s10, v[0:1]
	v_mad_u64_u32 v[4:5], null, 0xd2511f53, v2, 0
	s_delay_alu instid0(VALU_DEP_3) | instskip(SKIP_1) | instid1(VALU_DEP_3)
	v_mad_u64_u32 v[8:9], null, 0xcd9e8d57, v6, 0
	s_add_i32 s15, s15, s14
	v_mul_lo_u32 v39, s12, v3
	s_delay_alu instid0(VALU_DEP_3) | instskip(NEXT) | instid1(VALU_DEP_3)
	v_xor3_b32 v2, v36, v5, v7
	v_xor3_b32 v1, v32, v9, v1
	s_delay_alu instid0(VALU_DEP_2) | instskip(NEXT) | instid1(VALU_DEP_2)
	v_mad_u64_u32 v[5:6], null, 0xcd9e8d57, v2, 0
	v_mad_u64_u32 v[9:10], null, 0xd2511f53, v1, 0
	;; [unrolled: 1-line block ×4, first 2 shown]
	s_delay_alu instid0(VALU_DEP_4) | instskip(NEXT) | instid1(VALU_DEP_4)
	v_xor3_b32 v1, v35, v6, v8
	v_xor3_b32 v4, v38, v10, v4
	s_delay_alu instid0(VALU_DEP_4) | instskip(NEXT) | instid1(VALU_DEP_3)
	v_mul_lo_u32 v42, s12, v15
	v_mad_u64_u32 v[6:7], null, s15, s10, v[0:1]
	v_mad_u64_u32 v[7:8], null, 0xd2511f53, v1, 0
	s_delay_alu instid0(VALU_DEP_4) | instskip(SKIP_2) | instid1(VALU_DEP_4)
	v_mad_u64_u32 v[1:2], null, 0xcd9e8d57, v4, 0
	v_mul_lo_u32 v40, s12, v40
	s_mul_i32 s10, s8, 3
	v_mul_lo_u32 v41, s12, v6
	s_mov_b32 s12, 0
	s_delay_alu instid0(VALU_DEP_4) | instskip(NEXT) | instid1(VALU_DEP_4)
	v_mov_b32_e32 v3, v7
	v_xor3_b32 v0, v2, v5, v30
	v_xor3_b32 v2, v8, v9, v31
	s_branch .LBB70_8
.LBB70_7:                               ;   in Loop: Header=BB70_8 Depth=1
	s_or_b32 exec_lo, exec_lo, s13
	v_add_co_u32 v13, vcc_lo, v13, s9
	v_add_co_ci_u32_e32 v14, vcc_lo, 0, v14, vcc_lo
	v_mov_b32_e32 v7, v15
	v_dual_mov_b32 v0, v4 :: v_dual_mov_b32 v1, v5
	s_delay_alu instid0(VALU_DEP_3) | instskip(NEXT) | instid1(VALU_DEP_3)
	v_cmp_le_i64_e32 vcc_lo, s[2:3], v[13:14]
	v_dual_mov_b32 v2, v6 :: v_dual_mov_b32 v3, v7
	s_add_i32 s12, s12, s11
	s_waitcnt_vscnt null, 0x0
	s_barrier
	s_or_b32 s0, vcc_lo, s0
	buffer_gl0_inv
	s_and_not1_b32 exec_lo, exec_lo, s0
	s_cbranch_execz .LBB70_26
.LBB70_8:                               ; =>This Inner Loop Header: Depth=1
	v_add_co_u32 v17, vcc_lo, v17, 1
	s_delay_alu instid0(VALU_DEP_1) | instskip(SKIP_2) | instid1(VALU_DEP_1)
	v_cndmask_b32_e64 v4, 0, 1, vcc_lo
	v_add_co_ci_u32_e32 v18, vcc_lo, 0, v18, vcc_lo
	s_mov_b32 s13, exec_lo
	v_cmp_eq_u32_e32 vcc_lo, 0, v18
	s_delay_alu instid0(VALU_DEP_3) | instskip(NEXT) | instid1(VALU_DEP_1)
	v_cndmask_b32_e32 v4, 0, v4, vcc_lo
	v_add_nc_u32_e32 v37, v4, v37
	s_delay_alu instid0(VALU_DEP_1) | instskip(SKIP_2) | instid1(VALU_DEP_2)
	v_cmp_eq_u32_e32 vcc_lo, 0, v37
	v_cndmask_b32_e32 v4, 0, v4, vcc_lo
	v_mad_u64_u32 v[6:7], null, 0xcd9e8d57, v37, 0
	v_add_nc_u32_e32 v43, v4, v43
	v_mad_u64_u32 v[4:5], null, 0xd2511f53, v17, 0
	s_delay_alu instid0(VALU_DEP_3) | instskip(NEXT) | instid1(VALU_DEP_2)
	v_xor3_b32 v9, v7, v11, v18
	v_xor_b32_e32 v5, v5, v12
	s_delay_alu instid0(VALU_DEP_2) | instskip(NEXT) | instid1(VALU_DEP_2)
	v_mad_u64_u32 v[7:8], null, 0xd2511f53, v9, 0
	v_xor_b32_e32 v5, v43, v5
	s_delay_alu instid0(VALU_DEP_2) | instskip(NEXT) | instid1(VALU_DEP_2)
	v_xor3_b32 v8, v19, v8, v4
	v_mad_u64_u32 v[9:10], null, 0xcd9e8d57, v5, 0
	s_delay_alu instid0(VALU_DEP_2) | instskip(NEXT) | instid1(VALU_DEP_2)
	v_mad_u64_u32 v[4:5], null, 0xcd9e8d57, v8, 0
	v_xor3_b32 v6, v20, v10, v6
	s_delay_alu instid0(VALU_DEP_2) | instskip(NEXT) | instid1(VALU_DEP_2)
	v_xor3_b32 v8, v21, v5, v9
	v_mad_u64_u32 v[15:16], null, 0xd2511f53, v6, 0
	s_delay_alu instid0(VALU_DEP_2) | instskip(NEXT) | instid1(VALU_DEP_2)
	v_mad_u64_u32 v[5:6], null, 0xd2511f53, v8, 0
	v_xor3_b32 v9, v22, v16, v7
	s_delay_alu instid0(VALU_DEP_2) | instskip(NEXT) | instid1(VALU_DEP_2)
	v_xor3_b32 v6, v23, v6, v15
	v_mad_u64_u32 v[7:8], null, 0xcd9e8d57, v9, 0
	s_delay_alu instid0(VALU_DEP_1) | instskip(NEXT) | instid1(VALU_DEP_3)
	v_xor3_b32 v4, v24, v8, v4
	v_mad_u64_u32 v[8:9], null, 0xcd9e8d57, v6, 0
	s_delay_alu instid0(VALU_DEP_2) | instskip(NEXT) | instid1(VALU_DEP_2)
	v_mad_u64_u32 v[15:16], null, 0xd2511f53, v4, 0
	v_xor3_b32 v6, v25, v9, v7
	s_delay_alu instid0(VALU_DEP_2) | instskip(NEXT) | instid1(VALU_DEP_2)
	v_xor3_b32 v9, v26, v16, v5
	v_mad_u64_u32 v[4:5], null, 0xd2511f53, v6, 0
	s_delay_alu instid0(VALU_DEP_2) | instskip(NEXT) | instid1(VALU_DEP_2)
	v_mad_u64_u32 v[6:7], null, 0xcd9e8d57, v9, 0
	v_xor3_b32 v5, v27, v5, v15
	s_delay_alu instid0(VALU_DEP_2) | instskip(NEXT) | instid1(VALU_DEP_2)
	;; [unrolled: 6-line block ×6, first 2 shown]
	v_xor3_b32 v4, v6, v7, v30
	v_mov_b32_e32 v6, v10
	v_cmpx_lt_i32_e32 1, v29
	s_xor_b32 s13, exec_lo, s13
	s_cbranch_execnz .LBB70_18
; %bb.9:                                ;   in Loop: Header=BB70_8 Depth=1
	s_and_not1_saveexec_b32 s13, s13
	s_cbranch_execnz .LBB70_23
.LBB70_10:                              ;   in Loop: Header=BB70_8 Depth=1
	s_or_b32 exec_lo, exec_lo, s13
	s_delay_alu instid0(SALU_CYCLE_1)
	s_mov_b32 s13, exec_lo
	v_cmpx_gt_i64_e64 s[4:5], v[13:14]
	s_cbranch_execz .LBB70_12
.LBB70_11:                              ;   in Loop: Header=BB70_8 Depth=1
	v_add_nc_u32_e32 v7, s12, v39
	s_delay_alu instid0(VALU_DEP_1) | instskip(SKIP_1) | instid1(VALU_DEP_2)
	v_ashrrev_i32_e32 v8, 31, v7
	v_add_co_u32 v7, vcc_lo, s6, v7
	v_add_co_ci_u32_e32 v8, vcc_lo, s7, v8, vcc_lo
	global_store_b8 v[7:8], v0, off
.LBB70_12:                              ;   in Loop: Header=BB70_8 Depth=1
	s_or_b32 exec_lo, exec_lo, s13
	v_add_co_u32 v7, vcc_lo, s8, v13
	v_add_co_ci_u32_e32 v8, vcc_lo, 0, v14, vcc_lo
	s_mov_b32 s13, exec_lo
	s_delay_alu instid0(VALU_DEP_1)
	v_cmpx_gt_i64_e64 s[4:5], v[7:8]
	s_cbranch_execz .LBB70_14
; %bb.13:                               ;   in Loop: Header=BB70_8 Depth=1
	v_add_nc_u32_e32 v0, s12, v42
	s_delay_alu instid0(VALU_DEP_1) | instskip(SKIP_1) | instid1(VALU_DEP_2)
	v_ashrrev_i32_e32 v8, 31, v0
	v_add_co_u32 v7, vcc_lo, s6, v0
	v_add_co_ci_u32_e32 v8, vcc_lo, s7, v8, vcc_lo
	global_store_b8 v[7:8], v1, off
.LBB70_14:                              ;   in Loop: Header=BB70_8 Depth=1
	s_or_b32 exec_lo, exec_lo, s13
	v_add_co_u32 v0, vcc_lo, s1, v13
	v_add_co_ci_u32_e32 v1, vcc_lo, 0, v14, vcc_lo
	s_mov_b32 s13, exec_lo
	s_delay_alu instid0(VALU_DEP_1)
	v_cmpx_gt_i64_e64 s[4:5], v[0:1]
	s_cbranch_execz .LBB70_16
; %bb.15:                               ;   in Loop: Header=BB70_8 Depth=1
	v_add_nc_u32_e32 v0, s12, v41
	s_delay_alu instid0(VALU_DEP_1) | instskip(SKIP_1) | instid1(VALU_DEP_2)
	v_ashrrev_i32_e32 v1, 31, v0
	v_add_co_u32 v0, vcc_lo, s6, v0
	v_add_co_ci_u32_e32 v1, vcc_lo, s7, v1, vcc_lo
	global_store_b8 v[0:1], v2, off
.LBB70_16:                              ;   in Loop: Header=BB70_8 Depth=1
	s_or_b32 exec_lo, exec_lo, s13
	v_add_co_u32 v0, vcc_lo, s10, v13
	v_add_co_ci_u32_e32 v1, vcc_lo, 0, v14, vcc_lo
	s_mov_b32 s13, exec_lo
	s_delay_alu instid0(VALU_DEP_1)
	v_cmpx_gt_i64_e64 s[4:5], v[0:1]
	s_cbranch_execz .LBB70_7
; %bb.17:                               ;   in Loop: Header=BB70_8 Depth=1
	v_add_nc_u32_e32 v0, s12, v40
	s_delay_alu instid0(VALU_DEP_1) | instskip(SKIP_1) | instid1(VALU_DEP_2)
	v_ashrrev_i32_e32 v1, 31, v0
	v_add_co_u32 v0, vcc_lo, s6, v0
	v_add_co_ci_u32_e32 v1, vcc_lo, s7, v1, vcc_lo
	global_store_b8 v[0:1], v3, off
	s_branch .LBB70_7
.LBB70_18:                              ;   in Loop: Header=BB70_8 Depth=1
	s_mov_b32 s14, exec_lo
	v_cmpx_lt_i32_e32 2, v29
	s_xor_b32 s14, exec_lo, s14
; %bb.19:                               ;   in Loop: Header=BB70_8 Depth=1
	v_dual_mov_b32 v7, v3 :: v_dual_mov_b32 v8, v4
	v_mov_b32_e32 v9, v5
	s_delay_alu instid0(VALU_DEP_2) | instskip(NEXT) | instid1(VALU_DEP_2)
	v_dual_mov_b32 v0, v7 :: v_dual_mov_b32 v1, v8
	v_dual_mov_b32 v2, v9 :: v_dual_mov_b32 v3, v10
; %bb.20:                               ;   in Loop: Header=BB70_8 Depth=1
	s_and_not1_saveexec_b32 s14, s14
; %bb.21:                               ;   in Loop: Header=BB70_8 Depth=1
	s_delay_alu instid0(VALU_DEP_1)
	v_dual_mov_b32 v0, v2 :: v_dual_mov_b32 v1, v3
	v_dual_mov_b32 v2, v4 :: v_dual_mov_b32 v3, v5
; %bb.22:                               ;   in Loop: Header=BB70_8 Depth=1
	s_or_b32 exec_lo, exec_lo, s14
	s_and_not1_saveexec_b32 s13, s13
	s_cbranch_execz .LBB70_10
.LBB70_23:                              ;   in Loop: Header=BB70_8 Depth=1
	s_mov_b32 s14, exec_lo
	v_cmpx_eq_u32_e32 1, v29
; %bb.24:                               ;   in Loop: Header=BB70_8 Depth=1
	v_dual_mov_b32 v0, v1 :: v_dual_mov_b32 v1, v2
	v_dual_mov_b32 v2, v3 :: v_dual_mov_b32 v3, v4
; %bb.25:                               ;   in Loop: Header=BB70_8 Depth=1
	s_or_b32 exec_lo, exec_lo, s14
	s_delay_alu instid0(SALU_CYCLE_1) | instskip(NEXT) | instid1(SALU_CYCLE_1)
	s_or_b32 exec_lo, exec_lo, s13
	s_mov_b32 s13, exec_lo
	v_cmpx_gt_i64_e64 s[4:5], v[13:14]
	s_cbranch_execnz .LBB70_11
	s_branch .LBB70_12
.LBB70_26:
	s_endpgm
.LBB70_27:
                                        ; implicit-def: $sgpr2_sgpr3
	s_branch .LBB70_4
	.section	.rodata,"a",@progbits
	.p2align	6, 0x0
	.amdhsa_kernel _ZN2at6native12_GLOBAL__N_143distribution_elementwise_grid_stride_kernelIjLi4EZZZNS0_9templates4cuda13random_kernelIPNS_17CUDAGeneratorImplEEEvRNS_18TensorIteratorBaseET_ENKUlvE_clEvENKUlvE_clEvEUlP25hiprandStatePhilox4_32_10E0_ZNS1_27distribution_nullary_kernelIhj15HIP_vector_typeIjLj4EES7_SF_ZZZNS5_IS7_EEvS9_SA_ENKSB_clEvENKSC_clEvEUljE_EEvS9_T2_RKT3_T4_EUlijE_EEvlNS_15PhiloxCudaStateET1_SK_
		.amdhsa_group_segment_fixed_size 0
		.amdhsa_private_segment_fixed_size 0
		.amdhsa_kernarg_size 320
		.amdhsa_user_sgpr_count 15
		.amdhsa_user_sgpr_dispatch_ptr 0
		.amdhsa_user_sgpr_queue_ptr 0
		.amdhsa_user_sgpr_kernarg_segment_ptr 1
		.amdhsa_user_sgpr_dispatch_id 0
		.amdhsa_user_sgpr_private_segment_size 0
		.amdhsa_wavefront_size32 1
		.amdhsa_uses_dynamic_stack 0
		.amdhsa_enable_private_segment 0
		.amdhsa_system_sgpr_workgroup_id_x 1
		.amdhsa_system_sgpr_workgroup_id_y 0
		.amdhsa_system_sgpr_workgroup_id_z 0
		.amdhsa_system_sgpr_workgroup_info 0
		.amdhsa_system_vgpr_workitem_id 0
		.amdhsa_next_free_vgpr 44
		.amdhsa_next_free_sgpr 23
		.amdhsa_reserve_vcc 1
		.amdhsa_float_round_mode_32 0
		.amdhsa_float_round_mode_16_64 0
		.amdhsa_float_denorm_mode_32 3
		.amdhsa_float_denorm_mode_16_64 3
		.amdhsa_dx10_clamp 1
		.amdhsa_ieee_mode 1
		.amdhsa_fp16_overflow 0
		.amdhsa_workgroup_processor_mode 1
		.amdhsa_memory_ordered 1
		.amdhsa_forward_progress 0
		.amdhsa_shared_vgpr_count 0
		.amdhsa_exception_fp_ieee_invalid_op 0
		.amdhsa_exception_fp_denorm_src 0
		.amdhsa_exception_fp_ieee_div_zero 0
		.amdhsa_exception_fp_ieee_overflow 0
		.amdhsa_exception_fp_ieee_underflow 0
		.amdhsa_exception_fp_ieee_inexact 0
		.amdhsa_exception_int_div_zero 0
	.end_amdhsa_kernel
	.section	.text._ZN2at6native12_GLOBAL__N_143distribution_elementwise_grid_stride_kernelIjLi4EZZZNS0_9templates4cuda13random_kernelIPNS_17CUDAGeneratorImplEEEvRNS_18TensorIteratorBaseET_ENKUlvE_clEvENKUlvE_clEvEUlP25hiprandStatePhilox4_32_10E0_ZNS1_27distribution_nullary_kernelIhj15HIP_vector_typeIjLj4EES7_SF_ZZZNS5_IS7_EEvS9_SA_ENKSB_clEvENKSC_clEvEUljE_EEvS9_T2_RKT3_T4_EUlijE_EEvlNS_15PhiloxCudaStateET1_SK_,"axG",@progbits,_ZN2at6native12_GLOBAL__N_143distribution_elementwise_grid_stride_kernelIjLi4EZZZNS0_9templates4cuda13random_kernelIPNS_17CUDAGeneratorImplEEEvRNS_18TensorIteratorBaseET_ENKUlvE_clEvENKUlvE_clEvEUlP25hiprandStatePhilox4_32_10E0_ZNS1_27distribution_nullary_kernelIhj15HIP_vector_typeIjLj4EES7_SF_ZZZNS5_IS7_EEvS9_SA_ENKSB_clEvENKSC_clEvEUljE_EEvS9_T2_RKT3_T4_EUlijE_EEvlNS_15PhiloxCudaStateET1_SK_,comdat
.Lfunc_end70:
	.size	_ZN2at6native12_GLOBAL__N_143distribution_elementwise_grid_stride_kernelIjLi4EZZZNS0_9templates4cuda13random_kernelIPNS_17CUDAGeneratorImplEEEvRNS_18TensorIteratorBaseET_ENKUlvE_clEvENKUlvE_clEvEUlP25hiprandStatePhilox4_32_10E0_ZNS1_27distribution_nullary_kernelIhj15HIP_vector_typeIjLj4EES7_SF_ZZZNS5_IS7_EEvS9_SA_ENKSB_clEvENKSC_clEvEUljE_EEvS9_T2_RKT3_T4_EUlijE_EEvlNS_15PhiloxCudaStateET1_SK_, .Lfunc_end70-_ZN2at6native12_GLOBAL__N_143distribution_elementwise_grid_stride_kernelIjLi4EZZZNS0_9templates4cuda13random_kernelIPNS_17CUDAGeneratorImplEEEvRNS_18TensorIteratorBaseET_ENKUlvE_clEvENKUlvE_clEvEUlP25hiprandStatePhilox4_32_10E0_ZNS1_27distribution_nullary_kernelIhj15HIP_vector_typeIjLj4EES7_SF_ZZZNS5_IS7_EEvS9_SA_ENKSB_clEvENKSC_clEvEUljE_EEvS9_T2_RKT3_T4_EUlijE_EEvlNS_15PhiloxCudaStateET1_SK_
                                        ; -- End function
	.section	.AMDGPU.csdata,"",@progbits
; Kernel info:
; codeLenInByte = 2804
; NumSgprs: 25
; NumVgprs: 44
; ScratchSize: 0
; MemoryBound: 0
; FloatMode: 240
; IeeeMode: 1
; LDSByteSize: 0 bytes/workgroup (compile time only)
; SGPRBlocks: 3
; VGPRBlocks: 5
; NumSGPRsForWavesPerEU: 25
; NumVGPRsForWavesPerEU: 44
; Occupancy: 16
; WaveLimiterHint : 0
; COMPUTE_PGM_RSRC2:SCRATCH_EN: 0
; COMPUTE_PGM_RSRC2:USER_SGPR: 15
; COMPUTE_PGM_RSRC2:TRAP_HANDLER: 0
; COMPUTE_PGM_RSRC2:TGID_X_EN: 1
; COMPUTE_PGM_RSRC2:TGID_Y_EN: 0
; COMPUTE_PGM_RSRC2:TGID_Z_EN: 0
; COMPUTE_PGM_RSRC2:TIDIG_COMP_CNT: 0
	.section	.text._ZN2at6native12_GLOBAL__N_143distribution_elementwise_grid_stride_kernelIjLi4EZZZNS0_9templates4cuda13random_kernelIPNS_17CUDAGeneratorImplEEEvRNS_18TensorIteratorBaseET_ENKUlvE_clEvENKUlvE_clEvEUlP25hiprandStatePhilox4_32_10E0_ZNS1_27distribution_nullary_kernelIhj15HIP_vector_typeIjLj4EES7_SF_ZZZNS5_IS7_EEvS9_SA_ENKSB_clEvENKSC_clEvEUljE_EEvS9_T2_RKT3_T4_EUlijE0_EEvlNS_15PhiloxCudaStateET1_SK_,"axG",@progbits,_ZN2at6native12_GLOBAL__N_143distribution_elementwise_grid_stride_kernelIjLi4EZZZNS0_9templates4cuda13random_kernelIPNS_17CUDAGeneratorImplEEEvRNS_18TensorIteratorBaseET_ENKUlvE_clEvENKUlvE_clEvEUlP25hiprandStatePhilox4_32_10E0_ZNS1_27distribution_nullary_kernelIhj15HIP_vector_typeIjLj4EES7_SF_ZZZNS5_IS7_EEvS9_SA_ENKSB_clEvENKSC_clEvEUljE_EEvS9_T2_RKT3_T4_EUlijE0_EEvlNS_15PhiloxCudaStateET1_SK_,comdat
	.globl	_ZN2at6native12_GLOBAL__N_143distribution_elementwise_grid_stride_kernelIjLi4EZZZNS0_9templates4cuda13random_kernelIPNS_17CUDAGeneratorImplEEEvRNS_18TensorIteratorBaseET_ENKUlvE_clEvENKUlvE_clEvEUlP25hiprandStatePhilox4_32_10E0_ZNS1_27distribution_nullary_kernelIhj15HIP_vector_typeIjLj4EES7_SF_ZZZNS5_IS7_EEvS9_SA_ENKSB_clEvENKSC_clEvEUljE_EEvS9_T2_RKT3_T4_EUlijE0_EEvlNS_15PhiloxCudaStateET1_SK_ ; -- Begin function _ZN2at6native12_GLOBAL__N_143distribution_elementwise_grid_stride_kernelIjLi4EZZZNS0_9templates4cuda13random_kernelIPNS_17CUDAGeneratorImplEEEvRNS_18TensorIteratorBaseET_ENKUlvE_clEvENKUlvE_clEvEUlP25hiprandStatePhilox4_32_10E0_ZNS1_27distribution_nullary_kernelIhj15HIP_vector_typeIjLj4EES7_SF_ZZZNS5_IS7_EEvS9_SA_ENKSB_clEvENKSC_clEvEUljE_EEvS9_T2_RKT3_T4_EUlijE0_EEvlNS_15PhiloxCudaStateET1_SK_
	.p2align	8
	.type	_ZN2at6native12_GLOBAL__N_143distribution_elementwise_grid_stride_kernelIjLi4EZZZNS0_9templates4cuda13random_kernelIPNS_17CUDAGeneratorImplEEEvRNS_18TensorIteratorBaseET_ENKUlvE_clEvENKUlvE_clEvEUlP25hiprandStatePhilox4_32_10E0_ZNS1_27distribution_nullary_kernelIhj15HIP_vector_typeIjLj4EES7_SF_ZZZNS5_IS7_EEvS9_SA_ENKSB_clEvENKSC_clEvEUljE_EEvS9_T2_RKT3_T4_EUlijE0_EEvlNS_15PhiloxCudaStateET1_SK_,@function
_ZN2at6native12_GLOBAL__N_143distribution_elementwise_grid_stride_kernelIjLi4EZZZNS0_9templates4cuda13random_kernelIPNS_17CUDAGeneratorImplEEEvRNS_18TensorIteratorBaseET_ENKUlvE_clEvENKUlvE_clEvEUlP25hiprandStatePhilox4_32_10E0_ZNS1_27distribution_nullary_kernelIhj15HIP_vector_typeIjLj4EES7_SF_ZZZNS5_IS7_EEvS9_SA_ENKSB_clEvENKSC_clEvEUljE_EEvS9_T2_RKT3_T4_EUlijE0_EEvlNS_15PhiloxCudaStateET1_SK_: ; @_ZN2at6native12_GLOBAL__N_143distribution_elementwise_grid_stride_kernelIjLi4EZZZNS0_9templates4cuda13random_kernelIPNS_17CUDAGeneratorImplEEEvRNS_18TensorIteratorBaseET_ENKUlvE_clEvENKUlvE_clEvEUlP25hiprandStatePhilox4_32_10E0_ZNS1_27distribution_nullary_kernelIhj15HIP_vector_typeIjLj4EES7_SF_ZZZNS5_IS7_EEvS9_SA_ENKSB_clEvENKSC_clEvEUljE_EEvS9_T2_RKT3_T4_EUlijE0_EEvlNS_15PhiloxCudaStateET1_SK_
; %bb.0:
	s_clause 0x2
	s_load_b64 s[4:5], s[0:1], 0x10
	s_load_b128 s[16:19], s[0:1], 0x0
	s_load_b32 s2, s[0:1], 0x20
	s_waitcnt lgkmcnt(0)
	v_dual_mov_b32 v2, s4 :: v_dual_mov_b32 v3, s5
	v_dual_mov_b32 v11, s18 :: v_dual_mov_b32 v12, s19
	s_bitcmp0_b32 s2, 0
	s_mov_b32 s2, 0
	s_cbranch_scc1 .LBB71_2
; %bb.1:
	v_dual_mov_b32 v1, s4 :: v_dual_mov_b32 v2, s5
	v_dual_mov_b32 v4, s18 :: v_dual_mov_b32 v5, s19
	s_load_b64 s[4:5], s[0:1], 0x18
	flat_load_b64 v[2:3], v[1:2]
	flat_load_b64 v[11:12], v[4:5]
	s_waitcnt vmcnt(1) lgkmcnt(0)
	v_add_co_u32 v2, vcc_lo, v2, s4
	v_add_co_ci_u32_e32 v3, vcc_lo, s5, v3, vcc_lo
.LBB71_2:
	s_clause 0x1
	s_load_b32 s3, s[0:1], 0x154
	s_load_b32 s4, s[0:1], 0x148
	s_waitcnt lgkmcnt(0)
	s_and_b32 s5, s3, 0xffff
	s_add_u32 s6, s16, -1
	s_mul_i32 s24, s4, s5
	s_addc_u32 s3, s17, -1
	s_lshl_b32 s25, s24, 2
	s_cmp_lg_u64 s[2:3], 0
	s_cbranch_scc0 .LBB71_79
; %bb.3:
	v_cvt_f32_ubyte0_e32 v1, 0
	v_cvt_f32_u32_e32 v4, s25
	s_sub_u32 s8, 0, s25
	s_subb_u32 s9, 0, 0
	s_delay_alu instid0(VALU_DEP_1) | instskip(NEXT) | instid1(VALU_DEP_1)
	v_fmamk_f32 v1, v1, 0x4f800000, v4
	v_rcp_f32_e32 v1, v1
	s_waitcnt_depctr 0xfff
	v_mul_f32_e32 v1, 0x5f7ffffc, v1
	s_delay_alu instid0(VALU_DEP_1) | instskip(NEXT) | instid1(VALU_DEP_1)
	v_mul_f32_e32 v4, 0x2f800000, v1
	v_trunc_f32_e32 v4, v4
	s_delay_alu instid0(VALU_DEP_1) | instskip(SKIP_1) | instid1(VALU_DEP_2)
	v_fmamk_f32 v1, v4, 0xcf800000, v1
	v_cvt_u32_f32_e32 v4, v4
	v_cvt_u32_f32_e32 v1, v1
	s_delay_alu instid0(VALU_DEP_2) | instskip(NEXT) | instid1(VALU_DEP_2)
	v_readfirstlane_b32 s2, v4
	v_readfirstlane_b32 s7, v1
	s_delay_alu instid0(VALU_DEP_2) | instskip(NEXT) | instid1(VALU_DEP_1)
	s_mul_i32 s10, s8, s2
	s_mul_hi_u32 s12, s8, s7
	s_mul_i32 s11, s9, s7
	s_add_i32 s10, s12, s10
	s_mul_i32 s13, s8, s7
	s_add_i32 s10, s10, s11
	s_mul_hi_u32 s12, s7, s13
	s_mul_hi_u32 s14, s2, s13
	s_mul_i32 s11, s2, s13
	s_mul_hi_u32 s13, s7, s10
	s_mul_i32 s7, s7, s10
	s_mul_hi_u32 s18, s2, s10
	s_add_u32 s7, s12, s7
	s_addc_u32 s12, 0, s13
	s_add_u32 s7, s7, s11
	s_mul_i32 s10, s2, s10
	s_addc_u32 s7, s12, s14
	s_addc_u32 s11, s18, 0
	s_add_u32 s7, s7, s10
	s_addc_u32 s10, 0, s11
	v_add_co_u32 v1, s7, v1, s7
	s_delay_alu instid0(VALU_DEP_1) | instskip(SKIP_1) | instid1(VALU_DEP_1)
	s_cmp_lg_u32 s7, 0
	s_addc_u32 s2, s2, s10
	v_readfirstlane_b32 s7, v1
	s_mul_i32 s10, s8, s2
	s_delay_alu instid0(VALU_DEP_1)
	s_mul_hi_u32 s11, s8, s7
	s_mul_i32 s9, s9, s7
	s_add_i32 s10, s11, s10
	s_mul_i32 s8, s8, s7
	s_add_i32 s10, s10, s9
	s_mul_hi_u32 s11, s2, s8
	s_mul_i32 s12, s2, s8
	s_mul_hi_u32 s8, s7, s8
	s_mul_hi_u32 s13, s7, s10
	s_mul_i32 s7, s7, s10
	s_mul_hi_u32 s9, s2, s10
	s_add_u32 s7, s8, s7
	s_addc_u32 s8, 0, s13
	s_add_u32 s7, s7, s12
	s_mul_i32 s10, s2, s10
	s_addc_u32 s7, s8, s11
	s_addc_u32 s8, s9, 0
	s_add_u32 s7, s7, s10
	s_addc_u32 s8, 0, s8
	v_add_co_u32 v1, s7, v1, s7
	s_delay_alu instid0(VALU_DEP_1) | instskip(SKIP_2) | instid1(VALU_DEP_1)
	s_cmp_lg_u32 s7, 0
	s_addc_u32 s7, s2, s8
	s_ashr_i32 s8, s3, 31
	v_readfirstlane_b32 s10, v1
	s_add_u32 s2, s6, s8
	s_mov_b32 s9, s8
	s_addc_u32 s3, s3, s8
	s_delay_alu instid0(SALU_CYCLE_1) | instskip(NEXT) | instid1(SALU_CYCLE_1)
	s_xor_b64 s[2:3], s[2:3], s[8:9]
	s_mul_i32 s12, s2, s7
	s_mul_hi_u32 s13, s2, s10
	s_mul_hi_u32 s11, s2, s7
	;; [unrolled: 1-line block ×3, first 2 shown]
	s_mul_i32 s10, s3, s10
	s_add_u32 s12, s13, s12
	s_addc_u32 s11, 0, s11
	s_mul_hi_u32 s14, s3, s7
	s_add_u32 s10, s12, s10
	s_mul_i32 s7, s3, s7
	s_addc_u32 s10, s11, s18
	s_addc_u32 s11, s14, 0
	s_add_u32 s7, s10, s7
	s_addc_u32 s10, 0, s11
	s_mul_i32 s12, s25, s7
	s_add_u32 s11, s7, 1
	v_sub_co_u32 v1, s2, s2, s12
	s_mul_hi_u32 s12, s25, s7
	s_addc_u32 s13, s10, 0
	s_mul_i32 s14, s25, s10
	s_delay_alu instid0(VALU_DEP_1)
	v_sub_co_u32 v4, s18, v1, s25
	s_add_u32 s19, s7, 2
	s_addc_u32 s20, s10, 0
	s_add_i32 s12, s12, s14
	s_cmp_lg_u32 s2, 0
	v_readfirstlane_b32 s2, v4
	s_subb_u32 s3, s3, s12
	s_cmp_lg_u32 s18, 0
	s_subb_u32 s12, s3, 0
	s_delay_alu instid0(VALU_DEP_1) | instskip(SKIP_4) | instid1(SALU_CYCLE_1)
	s_cmp_ge_u32 s2, s25
	s_cselect_b32 s2, -1, 0
	s_cmp_eq_u32 s12, 0
	v_readfirstlane_b32 s12, v1
	s_cselect_b32 s2, s2, -1
	s_cmp_lg_u32 s2, 0
	s_cselect_b32 s2, s19, s11
	s_cselect_b32 s11, s20, s13
	s_cmp_ge_u32 s12, s25
	s_cselect_b32 s12, -1, 0
	s_cmp_eq_u32 s3, 0
	s_cselect_b32 s3, s12, -1
	s_delay_alu instid0(SALU_CYCLE_1) | instskip(SKIP_2) | instid1(SALU_CYCLE_1)
	s_cmp_lg_u32 s3, 0
	s_cselect_b32 s3, s11, s10
	s_cselect_b32 s2, s2, s7
	s_xor_b64 s[2:3], s[2:3], s[8:9]
	s_delay_alu instid0(SALU_CYCLE_1)
	s_sub_u32 s2, s2, s8
	s_subb_u32 s3, s3, s8
	s_cbranch_execnz .LBB71_5
.LBB71_4:
	v_cvt_f32_u32_e32 v1, s25
	s_sub_i32 s3, 0, s25
	s_delay_alu instid0(VALU_DEP_1) | instskip(SKIP_2) | instid1(VALU_DEP_1)
	v_rcp_iflag_f32_e32 v1, v1
	s_waitcnt_depctr 0xfff
	v_mul_f32_e32 v1, 0x4f7ffffe, v1
	v_cvt_u32_f32_e32 v1, v1
	s_delay_alu instid0(VALU_DEP_1) | instskip(NEXT) | instid1(VALU_DEP_1)
	v_readfirstlane_b32 s2, v1
	s_mul_i32 s3, s3, s2
	s_delay_alu instid0(SALU_CYCLE_1) | instskip(NEXT) | instid1(SALU_CYCLE_1)
	s_mul_hi_u32 s3, s2, s3
	s_add_i32 s2, s2, s3
	s_delay_alu instid0(SALU_CYCLE_1) | instskip(NEXT) | instid1(SALU_CYCLE_1)
	s_mul_hi_u32 s2, s6, s2
	s_mul_i32 s3, s2, s25
	s_delay_alu instid0(SALU_CYCLE_1)
	s_sub_i32 s3, s6, s3
	s_add_i32 s6, s2, 1
	s_sub_i32 s7, s3, s25
	s_cmp_ge_u32 s3, s25
	s_cselect_b32 s2, s6, s2
	s_cselect_b32 s3, s7, s3
	s_add_i32 s6, s2, 1
	s_cmp_ge_u32 s3, s25
	s_mov_b32 s3, 0
	s_cselect_b32 s2, s6, s2
.LBB71_5:
	v_mov_b32_e32 v1, 0
	s_add_u32 s2, s2, 1
	s_addc_u32 s3, s3, 0
	s_mul_hi_u32 s6, s24, s2
	s_mul_i32 s3, s24, s3
	v_mad_u64_u32 v[13:14], null, s5, s15, v[0:1]
	s_mul_hi_u32 s4, s4, s5
	s_add_i32 s3, s6, s3
	s_mul_i32 s4, s4, s2
	s_mul_i32 s2, s24, s2
	s_add_i32 s3, s3, s4
	s_mov_b32 s4, exec_lo
	s_lshl_b64 s[2:3], s[2:3], 2
	s_delay_alu instid0(SALU_CYCLE_1)
	v_cmpx_gt_i64_e64 s[2:3], v[13:14]
	s_cbranch_execz .LBB71_78
; %bb.6:
	v_alignbit_b32 v17, v3, v2, 2
	v_mad_u64_u32 v[4:5], null, 0xcd9e8d57, v13, 0
	v_lshrrev_b32_e32 v18, 2, v3
	s_waitcnt vmcnt(0)
	v_dual_mov_b32 v9, v12 :: v_dual_and_b32 v26, 3, v2
	v_mad_u64_u32 v[0:1], null, 0xd2511f53, v17, 0
	v_add_co_u32 v20, null, 0x9e3779b9, v11
	v_xor3_b32 v3, v11, v5, v18
	s_delay_alu instid0(VALU_DEP_4) | instskip(SKIP_2) | instid1(VALU_DEP_4)
	v_add_co_u32 v19, null, 0xbb67ae85, v9
	v_add_co_u32 v21, null, 0x3c6ef372, v11
	v_xor_b32_e32 v1, v1, v12
	v_mad_u64_u32 v[5:6], null, 0xd2511f53, v3, 0
	v_add_co_u32 v22, null, 0x76cf5d0a, v9
	s_delay_alu instid0(VALU_DEP_3) | instskip(SKIP_2) | instid1(VALU_DEP_3)
	v_xor_b32_e32 v1, v1, v14
	v_add_co_u32 v23, null, 0x32370b8f, v9
	v_add_co_u32 v24, null, 0xdaa66d2b, v11
	v_mad_u64_u32 v[7:8], null, 0xcd9e8d57, v1, 0
	v_xor3_b32 v3, v19, v6, v0
	v_add_co_u32 v25, null, 0x78dde6e4, v11
	v_add_co_u32 v27, null, 0xed9eba14, v9
	s_delay_alu instid0(VALU_DEP_3) | instskip(SKIP_3) | instid1(VALU_DEP_3)
	v_mad_u64_u32 v[0:1], null, 0xcd9e8d57, v3, 0
	v_xor3_b32 v6, v20, v8, v4
	v_add_co_u32 v30, null, 0xa9066899, v9
	v_add_co_u32 v31, null, 0x1715609d, v11
	v_mad_u64_u32 v[3:4], null, 0xd2511f53, v6, 0
	v_xor3_b32 v1, v21, v1, v7
	v_add_co_u32 v33, null, 0xb54cda56, v11
	v_add_co_u32 v35, null, 0x646e171e, v9
	s_load_b256 s[4:11], s[0:1], 0x30
	s_delay_alu instid0(VALU_DEP_4) | instskip(SKIP_2) | instid1(VALU_DEP_3)
	v_xor3_b32 v8, v22, v4, v5
	v_mad_u64_u32 v[4:5], null, 0xd2511f53, v1, 0
	v_add_co_u32 v32, null, 0x5384540f, v11
	v_mad_u64_u32 v[6:7], null, 0xcd9e8d57, v8, 0
	v_add_co_u32 v37, null, 0x1fd5c5a3, v9
	s_delay_alu instid0(VALU_DEP_4) | instskip(SKIP_3) | instid1(VALU_DEP_4)
	v_xor3_b32 v3, v23, v5, v3
	v_add_co_u32 v34, null, 0xf1bbcdc8, v11
	v_add_co_u32 v38, null, 0xdb3d7428, v9
	v_xor3_b32 v5, v24, v7, v0
	v_mad_u64_u32 v[0:1], null, 0xcd9e8d57, v3, 0
	s_add_u32 s12, s0, 48
	s_clause 0x1
	s_load_b64 s[14:15], s[0:1], 0xf4
	s_load_b64 s[18:19], s[0:1], 0x138
	v_mad_u64_u32 v[7:8], null, 0xd2511f53, v5, 0
	s_addc_u32 s13, s1, 0
	s_waitcnt lgkmcnt(0)
	s_add_i32 s20, s4, -1
	v_xor3_b32 v3, v25, v1, v6
	s_cmp_gt_u32 s20, 1
	v_dual_mov_b32 v36, v13 :: v_dual_add_nc_u32 v29, 0x96a522ad, v12
	s_delay_alu instid0(VALU_DEP_3) | instskip(NEXT) | instid1(VALU_DEP_3)
	v_xor3_b32 v5, v27, v8, v4
	v_mad_u64_u32 v[1:2], null, 0xd2511f53, v3, 0
	s_cselect_b32 s11, -1, 0
	s_cmp_lg_u32 s4, 0
	s_delay_alu instid0(VALU_DEP_2) | instskip(SKIP_2) | instid1(VALU_DEP_2)
	v_mad_u64_u32 v[3:4], null, 0xcd9e8d57, v5, 0
	s_cselect_b32 s27, -1, 0
	s_add_u32 s0, s0, 0xf4
	v_xor3_b32 v2, v30, v2, v7
	s_addc_u32 s1, s1, 0
	s_min_u32 s21, s20, 15
	s_cmp_gt_u32 s4, 1
	s_delay_alu instid0(VALU_DEP_2) | instskip(SKIP_3) | instid1(VALU_DEP_2)
	v_xor3_b32 v0, v31, v4, v0
	v_mad_u64_u32 v[4:5], null, 0xcd9e8d57, v2, 0
	s_cselect_b32 s4, -1, 0
	s_add_i32 s21, s21, 1
	v_mad_u64_u32 v[6:7], null, 0xd2511f53, v0, 0
	s_lshl_b32 s28, s24, 1
	s_and_b32 s29, s21, 3
	s_delay_alu instid0(VALU_DEP_2) | instskip(SKIP_3) | instid1(VALU_DEP_3)
	v_xor3_b32 v2, v33, v5, v3
	s_cmp_lg_u32 s20, 2
	v_mov_b32_e32 v39, v14
	s_cselect_b32 s30, -1, 0
	v_xor3_b32 v5, v35, v7, v1
	v_mad_u64_u32 v[0:1], null, 0xd2511f53, v2, 0
	s_and_b32 s31, s21, 28
	s_cmp_lg_u32 s29, 0
	s_delay_alu instid0(VALU_DEP_2) | instskip(SKIP_2) | instid1(VALU_DEP_2)
	v_mad_u64_u32 v[2:3], null, 0xcd9e8d57, v5, 0
	s_mov_b32 s26, 0
	s_mul_i32 s33, s24, 3
	v_xor3_b32 v1, v37, v1, v6
	s_cselect_b32 s34, -1, 0
	s_delay_alu instid0(VALU_DEP_2) | instskip(NEXT) | instid1(VALU_DEP_2)
	v_xor3_b32 v3, v32, v3, v4
	v_mad_u64_u32 v[4:5], null, 0xcd9e8d57, v1, 0
	s_delay_alu instid0(VALU_DEP_2) | instskip(NEXT) | instid1(VALU_DEP_2)
	v_mad_u64_u32 v[6:7], null, 0xd2511f53, v3, 0
	v_xor3_b32 v1, v34, v5, v2
	s_delay_alu instid0(VALU_DEP_2) | instskip(NEXT) | instid1(VALU_DEP_2)
	v_xor3_b32 v0, v38, v7, v0
	v_mad_u64_u32 v[7:8], null, 0xd2511f53, v1, 0
	v_add_nc_u32_e32 v28, 0x8ff34781, v11
	s_delay_alu instid0(VALU_DEP_3) | instskip(NEXT) | instid1(VALU_DEP_3)
	v_mad_u64_u32 v[1:2], null, 0xcd9e8d57, v0, 0
	v_mov_b32_e32 v3, v7
	s_delay_alu instid0(VALU_DEP_2)
	v_xor3_b32 v0, v2, v4, v28
	v_xor3_b32 v2, v8, v6, v29
	s_branch .LBB71_9
.LBB71_7:                               ;   in Loop: Header=BB71_9 Depth=1
	global_store_b8 v1, v3, s[18:19]
.LBB71_8:                               ;   in Loop: Header=BB71_9 Depth=1
	s_or_b32 exec_lo, exec_lo, s35
	v_add_co_u32 v13, vcc_lo, v13, s25
	v_add_co_ci_u32_e32 v14, vcc_lo, 0, v14, vcc_lo
	v_mov_b32_e32 v7, v15
	v_dual_mov_b32 v0, v4 :: v_dual_mov_b32 v1, v5
	s_delay_alu instid0(VALU_DEP_3) | instskip(NEXT) | instid1(VALU_DEP_3)
	v_cmp_le_i64_e32 vcc_lo, s[2:3], v[13:14]
	v_dual_mov_b32 v2, v6 :: v_dual_mov_b32 v3, v7
	s_waitcnt_vscnt null, 0x0
	s_barrier
	buffer_gl0_inv
	s_or_b32 s26, vcc_lo, s26
	s_delay_alu instid0(SALU_CYCLE_1)
	s_and_not1_b32 exec_lo, exec_lo, s26
	s_cbranch_execz .LBB71_78
.LBB71_9:                               ; =>This Loop Header: Depth=1
                                        ;     Child Loop BB71_24 Depth 2
                                        ;     Child Loop BB71_29 Depth 2
	;; [unrolled: 1-line block ×8, first 2 shown]
	v_add_co_u32 v17, vcc_lo, v17, 1
	s_delay_alu instid0(VALU_DEP_1) | instskip(SKIP_2) | instid1(VALU_DEP_1)
	v_cndmask_b32_e64 v4, 0, 1, vcc_lo
	v_add_co_ci_u32_e32 v18, vcc_lo, 0, v18, vcc_lo
	s_mov_b32 s20, exec_lo
	v_cmp_eq_u32_e32 vcc_lo, 0, v18
	s_delay_alu instid0(VALU_DEP_3) | instskip(NEXT) | instid1(VALU_DEP_1)
	v_cndmask_b32_e32 v4, 0, v4, vcc_lo
	v_add_nc_u32_e32 v36, v4, v36
	s_delay_alu instid0(VALU_DEP_1) | instskip(SKIP_2) | instid1(VALU_DEP_2)
	v_cmp_eq_u32_e32 vcc_lo, 0, v36
	v_mad_u64_u32 v[6:7], null, 0xcd9e8d57, v36, 0
	v_cndmask_b32_e32 v4, 0, v4, vcc_lo
	v_xor3_b32 v9, v7, v11, v18
	s_delay_alu instid0(VALU_DEP_2) | instskip(SKIP_1) | instid1(VALU_DEP_3)
	v_add_nc_u32_e32 v39, v4, v39
	v_mad_u64_u32 v[4:5], null, 0xd2511f53, v17, 0
	v_mad_u64_u32 v[7:8], null, 0xd2511f53, v9, 0
	s_delay_alu instid0(VALU_DEP_2) | instskip(NEXT) | instid1(VALU_DEP_2)
	v_xor_b32_e32 v5, v5, v12
	v_xor3_b32 v8, v19, v8, v4
	s_delay_alu instid0(VALU_DEP_2) | instskip(NEXT) | instid1(VALU_DEP_1)
	v_xor_b32_e32 v5, v39, v5
	v_mad_u64_u32 v[9:10], null, 0xcd9e8d57, v5, 0
	s_delay_alu instid0(VALU_DEP_3) | instskip(NEXT) | instid1(VALU_DEP_2)
	v_mad_u64_u32 v[4:5], null, 0xcd9e8d57, v8, 0
	v_xor3_b32 v6, v20, v10, v6
	s_delay_alu instid0(VALU_DEP_2) | instskip(NEXT) | instid1(VALU_DEP_2)
	v_xor3_b32 v8, v21, v5, v9
	v_mad_u64_u32 v[15:16], null, 0xd2511f53, v6, 0
	s_delay_alu instid0(VALU_DEP_2) | instskip(NEXT) | instid1(VALU_DEP_2)
	v_mad_u64_u32 v[5:6], null, 0xd2511f53, v8, 0
	v_xor3_b32 v9, v22, v16, v7
	s_delay_alu instid0(VALU_DEP_2) | instskip(NEXT) | instid1(VALU_DEP_2)
	v_xor3_b32 v6, v23, v6, v15
	v_mad_u64_u32 v[7:8], null, 0xcd9e8d57, v9, 0
	s_delay_alu instid0(VALU_DEP_1) | instskip(NEXT) | instid1(VALU_DEP_3)
	v_xor3_b32 v4, v24, v8, v4
	v_mad_u64_u32 v[8:9], null, 0xcd9e8d57, v6, 0
	s_delay_alu instid0(VALU_DEP_2) | instskip(NEXT) | instid1(VALU_DEP_2)
	v_mad_u64_u32 v[15:16], null, 0xd2511f53, v4, 0
	v_xor3_b32 v6, v25, v9, v7
	s_delay_alu instid0(VALU_DEP_2) | instskip(NEXT) | instid1(VALU_DEP_2)
	v_xor3_b32 v9, v27, v16, v5
	v_mad_u64_u32 v[4:5], null, 0xd2511f53, v6, 0
	s_delay_alu instid0(VALU_DEP_2) | instskip(NEXT) | instid1(VALU_DEP_2)
	v_mad_u64_u32 v[6:7], null, 0xcd9e8d57, v9, 0
	v_xor3_b32 v5, v30, v5, v15
	s_delay_alu instid0(VALU_DEP_2) | instskip(NEXT) | instid1(VALU_DEP_2)
	;; [unrolled: 6-line block ×6, first 2 shown]
	v_xor3_b32 v4, v6, v7, v28
	v_mov_b32_e32 v6, v10
	v_cmpx_lt_i32_e32 1, v26
	s_xor_b32 s20, exec_lo, s20
	s_cbranch_execnz .LBB71_12
; %bb.10:                               ;   in Loop: Header=BB71_9 Depth=1
	s_and_not1_saveexec_b32 s20, s20
	s_cbranch_execnz .LBB71_17
.LBB71_11:                              ;   in Loop: Header=BB71_9 Depth=1
	s_or_b32 exec_lo, exec_lo, s20
	s_delay_alu instid0(SALU_CYCLE_1)
	s_mov_b32 s35, exec_lo
	v_cmpx_gt_i64_e64 s[16:17], v[13:14]
	s_cbranch_execnz .LBB71_20
	s_branch .LBB71_34
.LBB71_12:                              ;   in Loop: Header=BB71_9 Depth=1
	s_mov_b32 s21, exec_lo
	v_cmpx_lt_i32_e32 2, v26
	s_xor_b32 s21, exec_lo, s21
; %bb.13:                               ;   in Loop: Header=BB71_9 Depth=1
	v_dual_mov_b32 v7, v3 :: v_dual_mov_b32 v8, v4
	v_mov_b32_e32 v9, v5
	s_delay_alu instid0(VALU_DEP_2) | instskip(NEXT) | instid1(VALU_DEP_2)
	v_dual_mov_b32 v0, v7 :: v_dual_mov_b32 v1, v8
	v_dual_mov_b32 v2, v9 :: v_dual_mov_b32 v3, v10
; %bb.14:                               ;   in Loop: Header=BB71_9 Depth=1
	s_and_not1_saveexec_b32 s21, s21
; %bb.15:                               ;   in Loop: Header=BB71_9 Depth=1
	s_delay_alu instid0(VALU_DEP_1)
	v_dual_mov_b32 v0, v2 :: v_dual_mov_b32 v1, v3
	v_dual_mov_b32 v2, v4 :: v_dual_mov_b32 v3, v5
; %bb.16:                               ;   in Loop: Header=BB71_9 Depth=1
	s_or_b32 exec_lo, exec_lo, s21
	s_and_not1_saveexec_b32 s20, s20
	s_cbranch_execz .LBB71_11
.LBB71_17:                              ;   in Loop: Header=BB71_9 Depth=1
	s_mov_b32 s21, exec_lo
	v_cmpx_eq_u32_e32 1, v26
; %bb.18:                               ;   in Loop: Header=BB71_9 Depth=1
	v_dual_mov_b32 v0, v1 :: v_dual_mov_b32 v1, v2
	v_dual_mov_b32 v2, v3 :: v_dual_mov_b32 v3, v4
; %bb.19:                               ;   in Loop: Header=BB71_9 Depth=1
	s_or_b32 exec_lo, exec_lo, s21
	s_delay_alu instid0(SALU_CYCLE_1) | instskip(NEXT) | instid1(SALU_CYCLE_1)
	s_or_b32 exec_lo, exec_lo, s20
	s_mov_b32 s35, exec_lo
	v_cmpx_gt_i64_e64 s[16:17], v[13:14]
	s_cbranch_execz .LBB71_34
.LBB71_20:                              ;   in Loop: Header=BB71_9 Depth=1
	s_and_not1_b32 vcc_lo, exec_lo, s11
	s_cbranch_vccnz .LBB71_26
; %bb.21:                               ;   in Loop: Header=BB71_9 Depth=1
	v_mov_b32_e32 v7, 0
	s_and_not1_b32 vcc_lo, exec_lo, s27
	s_cbranch_vccnz .LBB71_30
; %bb.22:                               ;   in Loop: Header=BB71_9 Depth=1
	s_and_not1_b32 vcc_lo, exec_lo, s30
	s_mov_b32 s20, 0
	s_cbranch_vccnz .LBB71_27
; %bb.23:                               ;   in Loop: Header=BB71_9 Depth=1
	v_dual_mov_b32 v7, 0 :: v_dual_mov_b32 v8, v13
	s_mov_b32 s36, 0
	s_mov_b64 s[20:21], s[12:13]
	s_mov_b64 s[22:23], s[0:1]
.LBB71_24:                              ;   Parent Loop BB71_9 Depth=1
                                        ; =>  This Inner Loop Header: Depth=2
	s_clause 0x1
	s_load_b256 s[40:47], s[20:21], 0x4
	s_load_b128 s[48:51], s[20:21], 0x24
	s_load_b128 s[52:55], s[22:23], 0x0
	s_add_u32 s20, s20, 48
	s_addc_u32 s21, s21, 0
	s_add_i32 s36, s36, 4
	s_add_u32 s22, s22, 16
	s_addc_u32 s23, s23, 0
	s_cmp_lg_u32 s31, s36
	s_waitcnt lgkmcnt(0)
	v_mul_hi_u32 v9, s41, v8
	s_delay_alu instid0(VALU_DEP_1) | instskip(NEXT) | instid1(VALU_DEP_1)
	v_add_nc_u32_e32 v9, v8, v9
	v_lshrrev_b32_e32 v9, s42, v9
	s_delay_alu instid0(VALU_DEP_1) | instskip(SKIP_1) | instid1(VALU_DEP_2)
	v_mul_hi_u32 v10, s44, v9
	v_mul_lo_u32 v41, v9, s40
	v_add_nc_u32_e32 v10, v9, v10
	s_delay_alu instid0(VALU_DEP_2) | instskip(NEXT) | instid1(VALU_DEP_2)
	v_sub_nc_u32_e32 v41, v8, v41
	v_lshrrev_b32_e32 v10, s45, v10
	s_delay_alu instid0(VALU_DEP_2) | instskip(NEXT) | instid1(VALU_DEP_2)
	v_mul_lo_u32 v41, v41, s52
	v_mul_hi_u32 v16, s47, v10
	v_mul_lo_u32 v42, v10, s43
	s_delay_alu instid0(VALU_DEP_2) | instskip(NEXT) | instid1(VALU_DEP_2)
	v_add_nc_u32_e32 v16, v10, v16
	v_sub_nc_u32_e32 v9, v9, v42
	s_delay_alu instid0(VALU_DEP_2) | instskip(NEXT) | instid1(VALU_DEP_2)
	v_lshrrev_b32_e32 v16, s48, v16
	v_mul_lo_u32 v9, v9, s53
	s_delay_alu instid0(VALU_DEP_2) | instskip(NEXT) | instid1(VALU_DEP_2)
	v_mul_hi_u32 v40, s50, v16
	v_add3_u32 v7, v41, v7, v9
	s_delay_alu instid0(VALU_DEP_2) | instskip(NEXT) | instid1(VALU_DEP_1)
	v_add_nc_u32_e32 v40, v16, v40
	v_lshrrev_b32_e32 v8, s51, v40
	v_mul_lo_u32 v40, v16, s46
	s_delay_alu instid0(VALU_DEP_2) | instskip(NEXT) | instid1(VALU_DEP_2)
	v_mul_lo_u32 v43, v8, s49
	v_sub_nc_u32_e32 v10, v10, v40
	s_delay_alu instid0(VALU_DEP_2) | instskip(NEXT) | instid1(VALU_DEP_2)
	v_sub_nc_u32_e32 v16, v16, v43
	v_mul_lo_u32 v10, v10, s54
	s_delay_alu instid0(VALU_DEP_2) | instskip(NEXT) | instid1(VALU_DEP_1)
	v_mul_lo_u32 v16, v16, s55
	v_add3_u32 v7, v10, v7, v16
	s_cbranch_scc1 .LBB71_24
; %bb.25:                               ;   in Loop: Header=BB71_9 Depth=1
	s_mov_b32 s20, s31
	s_and_not1_b32 vcc_lo, exec_lo, s34
	s_cbranch_vccz .LBB71_28
	s_branch .LBB71_30
.LBB71_26:                              ;   in Loop: Header=BB71_9 Depth=1
                                        ; implicit-def: $vgpr7
	s_branch .LBB71_31
.LBB71_27:                              ;   in Loop: Header=BB71_9 Depth=1
	v_mov_b32_e32 v8, v13
	s_and_not1_b32 vcc_lo, exec_lo, s34
	s_cbranch_vccnz .LBB71_30
.LBB71_28:                              ;   in Loop: Header=BB71_9 Depth=1
	s_lshl_b32 s21, s20, 2
	s_mul_i32 s22, s20, 12
	s_add_u32 s20, s0, s21
	s_addc_u32 s21, s1, 0
	s_add_u32 s22, s12, s22
	s_addc_u32 s23, s13, 0
	s_mov_b32 s36, s29
	.p2align	6
.LBB71_29:                              ;   Parent Loop BB71_9 Depth=1
                                        ; =>  This Inner Loop Header: Depth=2
	s_clause 0x1
	s_load_b64 s[38:39], s[22:23], 0x4
	s_load_b32 s37, s[22:23], 0xc
	s_add_u32 s22, s22, 12
	s_addc_u32 s23, s23, 0
	s_waitcnt lgkmcnt(0)
	v_mul_hi_u32 v9, s39, v8
	s_load_b32 s39, s[20:21], 0x0
	s_add_u32 s20, s20, 4
	s_addc_u32 s21, s21, 0
	s_add_i32 s36, s36, -1
	s_delay_alu instid0(SALU_CYCLE_1) | instskip(NEXT) | instid1(VALU_DEP_1)
	s_cmp_lg_u32 s36, 0
	v_add_nc_u32_e32 v9, v8, v9
	s_delay_alu instid0(VALU_DEP_1) | instskip(NEXT) | instid1(VALU_DEP_1)
	v_lshrrev_b32_e32 v16, s37, v9
	v_mul_lo_u32 v9, v16, s38
	s_delay_alu instid0(VALU_DEP_1) | instskip(SKIP_1) | instid1(VALU_DEP_1)
	v_sub_nc_u32_e32 v8, v8, v9
	s_waitcnt lgkmcnt(0)
	v_mad_u64_u32 v[9:10], null, v8, s39, v[7:8]
	s_delay_alu instid0(VALU_DEP_1)
	v_dual_mov_b32 v8, v16 :: v_dual_mov_b32 v7, v9
	s_cbranch_scc1 .LBB71_29
.LBB71_30:                              ;   in Loop: Header=BB71_9 Depth=1
	s_cbranch_execnz .LBB71_33
.LBB71_31:                              ;   in Loop: Header=BB71_9 Depth=1
	v_mul_hi_u32 v7, v13, s6
	s_and_not1_b32 vcc_lo, exec_lo, s4
	s_delay_alu instid0(VALU_DEP_1) | instskip(NEXT) | instid1(VALU_DEP_1)
	v_add_nc_u32_e32 v7, v7, v13
	v_lshrrev_b32_e32 v8, s7, v7
	s_delay_alu instid0(VALU_DEP_1) | instskip(NEXT) | instid1(VALU_DEP_1)
	v_mul_lo_u32 v7, v8, s5
	v_sub_nc_u32_e32 v7, v13, v7
	s_delay_alu instid0(VALU_DEP_1)
	v_mul_lo_u32 v7, v7, s14
	s_cbranch_vccnz .LBB71_33
; %bb.32:                               ;   in Loop: Header=BB71_9 Depth=1
	v_mul_hi_u32 v9, s9, v8
	s_delay_alu instid0(VALU_DEP_1) | instskip(NEXT) | instid1(VALU_DEP_1)
	v_add_nc_u32_e32 v9, v8, v9
	v_lshrrev_b32_e32 v9, s10, v9
	s_delay_alu instid0(VALU_DEP_1) | instskip(NEXT) | instid1(VALU_DEP_1)
	v_mul_lo_u32 v9, v9, s8
	v_sub_nc_u32_e32 v10, v8, v9
	s_delay_alu instid0(VALU_DEP_1) | instskip(NEXT) | instid1(VALU_DEP_1)
	v_mad_u64_u32 v[8:9], null, v10, s15, v[7:8]
	v_mov_b32_e32 v7, v8
.LBB71_33:                              ;   in Loop: Header=BB71_9 Depth=1
	global_store_b8 v7, v0, s[18:19]
.LBB71_34:                              ;   in Loop: Header=BB71_9 Depth=1
	s_or_b32 exec_lo, exec_lo, s35
	v_add_co_u32 v7, vcc_lo, v13, s24
	v_add_co_ci_u32_e32 v8, vcc_lo, 0, v14, vcc_lo
	s_mov_b32 s35, exec_lo
	s_delay_alu instid0(VALU_DEP_1)
	v_cmpx_gt_i64_e64 s[16:17], v[7:8]
	s_cbranch_execz .LBB71_49
; %bb.35:                               ;   in Loop: Header=BB71_9 Depth=1
	s_and_not1_b32 vcc_lo, exec_lo, s11
	s_cbranch_vccnz .LBB71_41
; %bb.36:                               ;   in Loop: Header=BB71_9 Depth=1
	v_mov_b32_e32 v0, 0
	s_and_not1_b32 vcc_lo, exec_lo, s27
	s_cbranch_vccnz .LBB71_45
; %bb.37:                               ;   in Loop: Header=BB71_9 Depth=1
	s_and_not1_b32 vcc_lo, exec_lo, s30
	s_mov_b32 s20, 0
	s_cbranch_vccnz .LBB71_42
; %bb.38:                               ;   in Loop: Header=BB71_9 Depth=1
	v_mov_b32_e32 v0, 0
	v_mov_b32_e32 v8, v7
	s_mov_b32 s36, 0
	s_mov_b64 s[20:21], s[12:13]
	s_mov_b64 s[22:23], s[0:1]
.LBB71_39:                              ;   Parent Loop BB71_9 Depth=1
                                        ; =>  This Inner Loop Header: Depth=2
	s_clause 0x1
	s_load_b256 s[40:47], s[20:21], 0x4
	s_load_b128 s[48:51], s[20:21], 0x24
	s_load_b128 s[52:55], s[22:23], 0x0
	s_add_u32 s20, s20, 48
	s_addc_u32 s21, s21, 0
	s_add_i32 s36, s36, 4
	s_add_u32 s22, s22, 16
	s_addc_u32 s23, s23, 0
	s_cmp_eq_u32 s31, s36
	s_waitcnt lgkmcnt(0)
	v_mul_hi_u32 v9, s41, v8
	s_delay_alu instid0(VALU_DEP_1) | instskip(NEXT) | instid1(VALU_DEP_1)
	v_add_nc_u32_e32 v9, v8, v9
	v_lshrrev_b32_e32 v9, s42, v9
	s_delay_alu instid0(VALU_DEP_1) | instskip(SKIP_1) | instid1(VALU_DEP_2)
	v_mul_hi_u32 v10, s44, v9
	v_mul_lo_u32 v41, v9, s40
	v_add_nc_u32_e32 v10, v9, v10
	s_delay_alu instid0(VALU_DEP_2) | instskip(NEXT) | instid1(VALU_DEP_2)
	v_sub_nc_u32_e32 v41, v8, v41
	v_lshrrev_b32_e32 v10, s45, v10
	s_delay_alu instid0(VALU_DEP_2) | instskip(NEXT) | instid1(VALU_DEP_2)
	v_mul_lo_u32 v41, v41, s52
	v_mul_hi_u32 v16, s47, v10
	v_mul_lo_u32 v42, v10, s43
	s_delay_alu instid0(VALU_DEP_2) | instskip(NEXT) | instid1(VALU_DEP_2)
	v_add_nc_u32_e32 v16, v10, v16
	v_sub_nc_u32_e32 v9, v9, v42
	s_delay_alu instid0(VALU_DEP_2) | instskip(NEXT) | instid1(VALU_DEP_2)
	v_lshrrev_b32_e32 v16, s48, v16
	v_mul_lo_u32 v9, v9, s53
	s_delay_alu instid0(VALU_DEP_2) | instskip(NEXT) | instid1(VALU_DEP_2)
	v_mul_hi_u32 v40, s50, v16
	v_add3_u32 v0, v41, v0, v9
	s_delay_alu instid0(VALU_DEP_2) | instskip(NEXT) | instid1(VALU_DEP_1)
	v_add_nc_u32_e32 v40, v16, v40
	v_lshrrev_b32_e32 v8, s51, v40
	v_mul_lo_u32 v40, v16, s46
	s_delay_alu instid0(VALU_DEP_2) | instskip(NEXT) | instid1(VALU_DEP_2)
	v_mul_lo_u32 v43, v8, s49
	v_sub_nc_u32_e32 v10, v10, v40
	s_delay_alu instid0(VALU_DEP_2) | instskip(NEXT) | instid1(VALU_DEP_2)
	v_sub_nc_u32_e32 v16, v16, v43
	v_mul_lo_u32 v10, v10, s54
	s_delay_alu instid0(VALU_DEP_2) | instskip(NEXT) | instid1(VALU_DEP_1)
	v_mul_lo_u32 v16, v16, s55
	v_add3_u32 v0, v10, v0, v16
	s_cbranch_scc0 .LBB71_39
; %bb.40:                               ;   in Loop: Header=BB71_9 Depth=1
	s_mov_b32 s20, s31
	s_and_not1_b32 vcc_lo, exec_lo, s34
	s_cbranch_vccz .LBB71_43
	s_branch .LBB71_45
.LBB71_41:                              ;   in Loop: Header=BB71_9 Depth=1
                                        ; implicit-def: $vgpr0
	s_branch .LBB71_46
.LBB71_42:                              ;   in Loop: Header=BB71_9 Depth=1
	v_mov_b32_e32 v8, v7
	s_and_not1_b32 vcc_lo, exec_lo, s34
	s_cbranch_vccnz .LBB71_45
.LBB71_43:                              ;   in Loop: Header=BB71_9 Depth=1
	s_lshl_b32 s21, s20, 2
	s_mul_i32 s22, s20, 12
	s_add_u32 s20, s0, s21
	s_addc_u32 s21, s1, 0
	s_add_u32 s22, s12, s22
	s_addc_u32 s23, s13, 0
	s_mov_b32 s36, s29
	.p2align	6
.LBB71_44:                              ;   Parent Loop BB71_9 Depth=1
                                        ; =>  This Inner Loop Header: Depth=2
	s_clause 0x1
	s_load_b64 s[38:39], s[22:23], 0x4
	s_load_b32 s37, s[22:23], 0xc
	s_add_u32 s22, s22, 12
	s_addc_u32 s23, s23, 0
	s_waitcnt lgkmcnt(0)
	v_mul_hi_u32 v9, s39, v8
	s_load_b32 s39, s[20:21], 0x0
	s_add_u32 s20, s20, 4
	s_addc_u32 s21, s21, 0
	s_add_i32 s36, s36, -1
	s_delay_alu instid0(SALU_CYCLE_1) | instskip(NEXT) | instid1(VALU_DEP_1)
	s_cmp_lg_u32 s36, 0
	v_add_nc_u32_e32 v9, v8, v9
	s_delay_alu instid0(VALU_DEP_1) | instskip(NEXT) | instid1(VALU_DEP_1)
	v_lshrrev_b32_e32 v16, s37, v9
	v_mul_lo_u32 v9, v16, s38
	s_delay_alu instid0(VALU_DEP_1) | instskip(SKIP_1) | instid1(VALU_DEP_1)
	v_sub_nc_u32_e32 v8, v8, v9
	s_waitcnt lgkmcnt(0)
	v_mad_u64_u32 v[9:10], null, v8, s39, v[0:1]
	v_mov_b32_e32 v8, v16
	s_delay_alu instid0(VALU_DEP_2)
	v_mov_b32_e32 v0, v9
	s_cbranch_scc1 .LBB71_44
.LBB71_45:                              ;   in Loop: Header=BB71_9 Depth=1
	s_cbranch_execnz .LBB71_48
.LBB71_46:                              ;   in Loop: Header=BB71_9 Depth=1
	v_mul_hi_u32 v0, v7, s6
	s_and_not1_b32 vcc_lo, exec_lo, s4
	s_delay_alu instid0(VALU_DEP_1) | instskip(NEXT) | instid1(VALU_DEP_1)
	v_add_nc_u32_e32 v0, v0, v7
	v_lshrrev_b32_e32 v8, s7, v0
	s_delay_alu instid0(VALU_DEP_1) | instskip(NEXT) | instid1(VALU_DEP_1)
	v_mul_lo_u32 v0, v8, s5
	v_sub_nc_u32_e32 v0, v7, v0
	s_delay_alu instid0(VALU_DEP_1)
	v_mul_lo_u32 v0, v0, s14
	s_cbranch_vccnz .LBB71_48
; %bb.47:                               ;   in Loop: Header=BB71_9 Depth=1
	v_mul_hi_u32 v7, s9, v8
	s_delay_alu instid0(VALU_DEP_1) | instskip(NEXT) | instid1(VALU_DEP_1)
	v_add_nc_u32_e32 v7, v8, v7
	v_lshrrev_b32_e32 v7, s10, v7
	s_delay_alu instid0(VALU_DEP_1) | instskip(NEXT) | instid1(VALU_DEP_1)
	v_mul_lo_u32 v7, v7, s8
	v_sub_nc_u32_e32 v9, v8, v7
	s_delay_alu instid0(VALU_DEP_1) | instskip(NEXT) | instid1(VALU_DEP_1)
	v_mad_u64_u32 v[7:8], null, v9, s15, v[0:1]
	v_mov_b32_e32 v0, v7
.LBB71_48:                              ;   in Loop: Header=BB71_9 Depth=1
	global_store_b8 v0, v1, s[18:19]
.LBB71_49:                              ;   in Loop: Header=BB71_9 Depth=1
	s_or_b32 exec_lo, exec_lo, s35
	v_add_co_u32 v0, vcc_lo, v13, s28
	v_add_co_ci_u32_e32 v1, vcc_lo, 0, v14, vcc_lo
	s_mov_b32 s35, exec_lo
	s_delay_alu instid0(VALU_DEP_1)
	v_cmpx_gt_i64_e64 s[16:17], v[0:1]
	s_cbranch_execz .LBB71_64
; %bb.50:                               ;   in Loop: Header=BB71_9 Depth=1
	s_and_not1_b32 vcc_lo, exec_lo, s11
	s_cbranch_vccnz .LBB71_56
; %bb.51:                               ;   in Loop: Header=BB71_9 Depth=1
	v_mov_b32_e32 v1, 0
	s_and_not1_b32 vcc_lo, exec_lo, s27
	s_cbranch_vccnz .LBB71_60
; %bb.52:                               ;   in Loop: Header=BB71_9 Depth=1
	s_and_not1_b32 vcc_lo, exec_lo, s30
	s_mov_b32 s20, 0
	s_cbranch_vccnz .LBB71_57
; %bb.53:                               ;   in Loop: Header=BB71_9 Depth=1
	v_mov_b32_e32 v1, 0
	v_mov_b32_e32 v7, v0
	s_mov_b32 s36, 0
	s_mov_b64 s[20:21], s[12:13]
	s_mov_b64 s[22:23], s[0:1]
.LBB71_54:                              ;   Parent Loop BB71_9 Depth=1
                                        ; =>  This Inner Loop Header: Depth=2
	s_clause 0x1
	s_load_b256 s[40:47], s[20:21], 0x4
	s_load_b128 s[48:51], s[20:21], 0x24
	s_load_b128 s[52:55], s[22:23], 0x0
	s_add_u32 s20, s20, 48
	s_addc_u32 s21, s21, 0
	s_add_i32 s36, s36, 4
	s_add_u32 s22, s22, 16
	s_addc_u32 s23, s23, 0
	s_cmp_eq_u32 s31, s36
	s_waitcnt lgkmcnt(0)
	v_mul_hi_u32 v8, s41, v7
	s_delay_alu instid0(VALU_DEP_1) | instskip(NEXT) | instid1(VALU_DEP_1)
	v_add_nc_u32_e32 v8, v7, v8
	v_lshrrev_b32_e32 v8, s42, v8
	s_delay_alu instid0(VALU_DEP_1) | instskip(SKIP_1) | instid1(VALU_DEP_2)
	v_mul_hi_u32 v9, s44, v8
	v_mul_lo_u32 v40, v8, s40
	v_add_nc_u32_e32 v9, v8, v9
	s_delay_alu instid0(VALU_DEP_2) | instskip(NEXT) | instid1(VALU_DEP_2)
	v_sub_nc_u32_e32 v40, v7, v40
	v_lshrrev_b32_e32 v9, s45, v9
	s_delay_alu instid0(VALU_DEP_2) | instskip(NEXT) | instid1(VALU_DEP_2)
	v_mul_lo_u32 v40, v40, s52
	v_mul_hi_u32 v10, s47, v9
	v_mul_lo_u32 v41, v9, s43
	s_delay_alu instid0(VALU_DEP_2) | instskip(NEXT) | instid1(VALU_DEP_2)
	v_add_nc_u32_e32 v10, v9, v10
	v_sub_nc_u32_e32 v8, v8, v41
	s_delay_alu instid0(VALU_DEP_2) | instskip(NEXT) | instid1(VALU_DEP_2)
	v_lshrrev_b32_e32 v10, s48, v10
	v_mul_lo_u32 v8, v8, s53
	s_delay_alu instid0(VALU_DEP_2) | instskip(NEXT) | instid1(VALU_DEP_2)
	v_mul_hi_u32 v16, s50, v10
	v_add3_u32 v1, v40, v1, v8
	s_delay_alu instid0(VALU_DEP_2) | instskip(NEXT) | instid1(VALU_DEP_1)
	v_add_nc_u32_e32 v16, v10, v16
	v_lshrrev_b32_e32 v7, s51, v16
	v_mul_lo_u32 v16, v10, s46
	s_delay_alu instid0(VALU_DEP_2) | instskip(NEXT) | instid1(VALU_DEP_2)
	v_mul_lo_u32 v42, v7, s49
	v_sub_nc_u32_e32 v9, v9, v16
	s_delay_alu instid0(VALU_DEP_2) | instskip(NEXT) | instid1(VALU_DEP_2)
	v_sub_nc_u32_e32 v10, v10, v42
	v_mul_lo_u32 v9, v9, s54
	s_delay_alu instid0(VALU_DEP_2) | instskip(NEXT) | instid1(VALU_DEP_1)
	v_mul_lo_u32 v10, v10, s55
	v_add3_u32 v1, v9, v1, v10
	s_cbranch_scc0 .LBB71_54
; %bb.55:                               ;   in Loop: Header=BB71_9 Depth=1
	s_mov_b32 s20, s31
	s_and_not1_b32 vcc_lo, exec_lo, s34
	s_cbranch_vccz .LBB71_58
	s_branch .LBB71_60
.LBB71_56:                              ;   in Loop: Header=BB71_9 Depth=1
                                        ; implicit-def: $vgpr1
	s_branch .LBB71_61
.LBB71_57:                              ;   in Loop: Header=BB71_9 Depth=1
	v_mov_b32_e32 v7, v0
	s_and_not1_b32 vcc_lo, exec_lo, s34
	s_cbranch_vccnz .LBB71_60
.LBB71_58:                              ;   in Loop: Header=BB71_9 Depth=1
	s_lshl_b32 s21, s20, 2
	s_mul_i32 s22, s20, 12
	s_add_u32 s20, s0, s21
	s_addc_u32 s21, s1, 0
	s_add_u32 s22, s12, s22
	s_addc_u32 s23, s13, 0
	s_mov_b32 s36, s29
	.p2align	6
.LBB71_59:                              ;   Parent Loop BB71_9 Depth=1
                                        ; =>  This Inner Loop Header: Depth=2
	s_clause 0x1
	s_load_b64 s[38:39], s[22:23], 0x4
	s_load_b32 s37, s[22:23], 0xc
	s_add_u32 s22, s22, 12
	s_addc_u32 s23, s23, 0
	s_waitcnt lgkmcnt(0)
	v_mul_hi_u32 v8, s39, v7
	s_load_b32 s39, s[20:21], 0x0
	s_add_u32 s20, s20, 4
	s_addc_u32 s21, s21, 0
	s_add_i32 s36, s36, -1
	s_delay_alu instid0(SALU_CYCLE_1) | instskip(NEXT) | instid1(VALU_DEP_1)
	s_cmp_lg_u32 s36, 0
	v_add_nc_u32_e32 v8, v7, v8
	s_delay_alu instid0(VALU_DEP_1) | instskip(NEXT) | instid1(VALU_DEP_1)
	v_lshrrev_b32_e32 v10, s37, v8
	v_mul_lo_u32 v8, v10, s38
	s_delay_alu instid0(VALU_DEP_1) | instskip(SKIP_1) | instid1(VALU_DEP_1)
	v_sub_nc_u32_e32 v7, v7, v8
	s_waitcnt lgkmcnt(0)
	v_mad_u64_u32 v[8:9], null, v7, s39, v[1:2]
	v_mov_b32_e32 v7, v10
	s_delay_alu instid0(VALU_DEP_2)
	v_mov_b32_e32 v1, v8
	s_cbranch_scc1 .LBB71_59
.LBB71_60:                              ;   in Loop: Header=BB71_9 Depth=1
	s_cbranch_execnz .LBB71_63
.LBB71_61:                              ;   in Loop: Header=BB71_9 Depth=1
	v_mul_hi_u32 v1, v0, s6
	s_and_not1_b32 vcc_lo, exec_lo, s4
	s_delay_alu instid0(VALU_DEP_1) | instskip(NEXT) | instid1(VALU_DEP_1)
	v_add_nc_u32_e32 v1, v1, v0
	v_lshrrev_b32_e32 v7, s7, v1
	s_delay_alu instid0(VALU_DEP_1) | instskip(NEXT) | instid1(VALU_DEP_1)
	v_mul_lo_u32 v1, v7, s5
	v_sub_nc_u32_e32 v0, v0, v1
	s_delay_alu instid0(VALU_DEP_1)
	v_mul_lo_u32 v1, v0, s14
	s_cbranch_vccnz .LBB71_63
; %bb.62:                               ;   in Loop: Header=BB71_9 Depth=1
	v_mul_hi_u32 v0, s9, v7
	s_delay_alu instid0(VALU_DEP_1) | instskip(NEXT) | instid1(VALU_DEP_1)
	v_add_nc_u32_e32 v0, v7, v0
	v_lshrrev_b32_e32 v0, s10, v0
	s_delay_alu instid0(VALU_DEP_1) | instskip(NEXT) | instid1(VALU_DEP_1)
	v_mul_lo_u32 v0, v0, s8
	v_sub_nc_u32_e32 v0, v7, v0
	s_delay_alu instid0(VALU_DEP_1) | instskip(NEXT) | instid1(VALU_DEP_1)
	v_mad_u64_u32 v[7:8], null, v0, s15, v[1:2]
	v_mov_b32_e32 v1, v7
.LBB71_63:                              ;   in Loop: Header=BB71_9 Depth=1
	global_store_b8 v1, v2, s[18:19]
.LBB71_64:                              ;   in Loop: Header=BB71_9 Depth=1
	s_or_b32 exec_lo, exec_lo, s35
	v_add_co_u32 v0, vcc_lo, v13, s33
	v_add_co_ci_u32_e32 v1, vcc_lo, 0, v14, vcc_lo
	s_mov_b32 s35, exec_lo
	s_delay_alu instid0(VALU_DEP_1)
	v_cmpx_gt_i64_e64 s[16:17], v[0:1]
	s_cbranch_execz .LBB71_8
; %bb.65:                               ;   in Loop: Header=BB71_9 Depth=1
	s_and_not1_b32 vcc_lo, exec_lo, s11
	s_cbranch_vccnz .LBB71_71
; %bb.66:                               ;   in Loop: Header=BB71_9 Depth=1
	v_mov_b32_e32 v1, 0
	s_and_not1_b32 vcc_lo, exec_lo, s27
	s_cbranch_vccnz .LBB71_75
; %bb.67:                               ;   in Loop: Header=BB71_9 Depth=1
	s_and_not1_b32 vcc_lo, exec_lo, s30
	s_mov_b32 s20, 0
	s_cbranch_vccnz .LBB71_72
; %bb.68:                               ;   in Loop: Header=BB71_9 Depth=1
	v_dual_mov_b32 v1, 0 :: v_dual_mov_b32 v2, v0
	s_mov_b32 s36, 0
	s_mov_b64 s[20:21], s[12:13]
	s_mov_b64 s[22:23], s[0:1]
.LBB71_69:                              ;   Parent Loop BB71_9 Depth=1
                                        ; =>  This Inner Loop Header: Depth=2
	s_clause 0x1
	s_load_b256 s[40:47], s[20:21], 0x4
	s_load_b128 s[48:51], s[20:21], 0x24
	s_load_b128 s[52:55], s[22:23], 0x0
	s_add_u32 s20, s20, 48
	s_addc_u32 s21, s21, 0
	s_add_i32 s36, s36, 4
	s_add_u32 s22, s22, 16
	s_addc_u32 s23, s23, 0
	s_cmp_eq_u32 s31, s36
	s_waitcnt lgkmcnt(0)
	v_mul_hi_u32 v7, s41, v2
	s_delay_alu instid0(VALU_DEP_1) | instskip(NEXT) | instid1(VALU_DEP_1)
	v_add_nc_u32_e32 v7, v2, v7
	v_lshrrev_b32_e32 v7, s42, v7
	s_delay_alu instid0(VALU_DEP_1) | instskip(SKIP_1) | instid1(VALU_DEP_2)
	v_mul_hi_u32 v8, s44, v7
	v_mul_lo_u32 v16, v7, s40
	v_add_nc_u32_e32 v8, v7, v8
	s_delay_alu instid0(VALU_DEP_2) | instskip(NEXT) | instid1(VALU_DEP_2)
	v_sub_nc_u32_e32 v16, v2, v16
	v_lshrrev_b32_e32 v8, s45, v8
	s_delay_alu instid0(VALU_DEP_2) | instskip(NEXT) | instid1(VALU_DEP_2)
	v_mul_lo_u32 v16, v16, s52
	v_mul_hi_u32 v9, s47, v8
	v_mul_lo_u32 v40, v8, s43
	s_delay_alu instid0(VALU_DEP_2) | instskip(NEXT) | instid1(VALU_DEP_2)
	v_add_nc_u32_e32 v9, v8, v9
	v_sub_nc_u32_e32 v7, v7, v40
	s_delay_alu instid0(VALU_DEP_2) | instskip(NEXT) | instid1(VALU_DEP_2)
	v_lshrrev_b32_e32 v9, s48, v9
	v_mul_lo_u32 v7, v7, s53
	s_delay_alu instid0(VALU_DEP_2) | instskip(NEXT) | instid1(VALU_DEP_2)
	v_mul_hi_u32 v10, s50, v9
	v_add3_u32 v1, v16, v1, v7
	s_delay_alu instid0(VALU_DEP_2) | instskip(NEXT) | instid1(VALU_DEP_1)
	v_add_nc_u32_e32 v10, v9, v10
	v_lshrrev_b32_e32 v2, s51, v10
	v_mul_lo_u32 v10, v9, s46
	s_delay_alu instid0(VALU_DEP_2) | instskip(NEXT) | instid1(VALU_DEP_2)
	v_mul_lo_u32 v41, v2, s49
	v_sub_nc_u32_e32 v8, v8, v10
	s_delay_alu instid0(VALU_DEP_2) | instskip(NEXT) | instid1(VALU_DEP_2)
	v_sub_nc_u32_e32 v9, v9, v41
	v_mul_lo_u32 v8, v8, s54
	s_delay_alu instid0(VALU_DEP_2) | instskip(NEXT) | instid1(VALU_DEP_1)
	v_mul_lo_u32 v9, v9, s55
	v_add3_u32 v1, v8, v1, v9
	s_cbranch_scc0 .LBB71_69
; %bb.70:                               ;   in Loop: Header=BB71_9 Depth=1
	s_mov_b32 s20, s31
	s_and_not1_b32 vcc_lo, exec_lo, s34
	s_cbranch_vccz .LBB71_73
	s_branch .LBB71_75
.LBB71_71:                              ;   in Loop: Header=BB71_9 Depth=1
                                        ; implicit-def: $vgpr1
	s_branch .LBB71_76
.LBB71_72:                              ;   in Loop: Header=BB71_9 Depth=1
	v_mov_b32_e32 v2, v0
	s_and_not1_b32 vcc_lo, exec_lo, s34
	s_cbranch_vccnz .LBB71_75
.LBB71_73:                              ;   in Loop: Header=BB71_9 Depth=1
	s_lshl_b32 s21, s20, 2
	s_mul_i32 s22, s20, 12
	s_add_u32 s20, s0, s21
	s_addc_u32 s21, s1, 0
	s_add_u32 s22, s12, s22
	s_addc_u32 s23, s13, 0
	s_mov_b32 s36, s29
	.p2align	6
.LBB71_74:                              ;   Parent Loop BB71_9 Depth=1
                                        ; =>  This Inner Loop Header: Depth=2
	s_clause 0x1
	s_load_b64 s[38:39], s[22:23], 0x4
	s_load_b32 s37, s[22:23], 0xc
	s_add_u32 s22, s22, 12
	s_addc_u32 s23, s23, 0
	s_waitcnt lgkmcnt(0)
	v_mul_hi_u32 v7, s39, v2
	s_load_b32 s39, s[20:21], 0x0
	s_add_u32 s20, s20, 4
	s_addc_u32 s21, s21, 0
	s_add_i32 s36, s36, -1
	s_delay_alu instid0(SALU_CYCLE_1) | instskip(NEXT) | instid1(VALU_DEP_1)
	s_cmp_lg_u32 s36, 0
	v_add_nc_u32_e32 v7, v2, v7
	s_delay_alu instid0(VALU_DEP_1) | instskip(NEXT) | instid1(VALU_DEP_1)
	v_lshrrev_b32_e32 v9, s37, v7
	v_mul_lo_u32 v7, v9, s38
	s_delay_alu instid0(VALU_DEP_1) | instskip(SKIP_1) | instid1(VALU_DEP_1)
	v_sub_nc_u32_e32 v2, v2, v7
	s_waitcnt lgkmcnt(0)
	v_mad_u64_u32 v[7:8], null, v2, s39, v[1:2]
	s_delay_alu instid0(VALU_DEP_1)
	v_dual_mov_b32 v2, v9 :: v_dual_mov_b32 v1, v7
	s_cbranch_scc1 .LBB71_74
.LBB71_75:                              ;   in Loop: Header=BB71_9 Depth=1
	s_cbranch_execnz .LBB71_7
.LBB71_76:                              ;   in Loop: Header=BB71_9 Depth=1
	v_mul_hi_u32 v1, v0, s6
	s_and_not1_b32 vcc_lo, exec_lo, s4
	s_delay_alu instid0(VALU_DEP_1) | instskip(NEXT) | instid1(VALU_DEP_1)
	v_add_nc_u32_e32 v1, v1, v0
	v_lshrrev_b32_e32 v2, s7, v1
	s_delay_alu instid0(VALU_DEP_1) | instskip(NEXT) | instid1(VALU_DEP_1)
	v_mul_lo_u32 v1, v2, s5
	v_sub_nc_u32_e32 v0, v0, v1
	s_delay_alu instid0(VALU_DEP_1)
	v_mul_lo_u32 v1, v0, s14
	s_cbranch_vccnz .LBB71_7
; %bb.77:                               ;   in Loop: Header=BB71_9 Depth=1
	v_mul_hi_u32 v0, s9, v2
	s_delay_alu instid0(VALU_DEP_1) | instskip(NEXT) | instid1(VALU_DEP_1)
	v_add_nc_u32_e32 v0, v2, v0
	v_lshrrev_b32_e32 v0, s10, v0
	s_delay_alu instid0(VALU_DEP_1) | instskip(NEXT) | instid1(VALU_DEP_1)
	v_mul_lo_u32 v0, v0, s8
	v_sub_nc_u32_e32 v0, v2, v0
	s_delay_alu instid0(VALU_DEP_1) | instskip(NEXT) | instid1(VALU_DEP_1)
	v_mad_u64_u32 v[7:8], null, v0, s15, v[1:2]
	v_mov_b32_e32 v1, v7
	s_branch .LBB71_7
.LBB71_78:
	s_endpgm
.LBB71_79:
                                        ; implicit-def: $sgpr2_sgpr3
	s_branch .LBB71_4
	.section	.rodata,"a",@progbits
	.p2align	6, 0x0
	.amdhsa_kernel _ZN2at6native12_GLOBAL__N_143distribution_elementwise_grid_stride_kernelIjLi4EZZZNS0_9templates4cuda13random_kernelIPNS_17CUDAGeneratorImplEEEvRNS_18TensorIteratorBaseET_ENKUlvE_clEvENKUlvE_clEvEUlP25hiprandStatePhilox4_32_10E0_ZNS1_27distribution_nullary_kernelIhj15HIP_vector_typeIjLj4EES7_SF_ZZZNS5_IS7_EEvS9_SA_ENKSB_clEvENKSC_clEvEUljE_EEvS9_T2_RKT3_T4_EUlijE0_EEvlNS_15PhiloxCudaStateET1_SK_
		.amdhsa_group_segment_fixed_size 0
		.amdhsa_private_segment_fixed_size 0
		.amdhsa_kernarg_size 584
		.amdhsa_user_sgpr_count 15
		.amdhsa_user_sgpr_dispatch_ptr 0
		.amdhsa_user_sgpr_queue_ptr 0
		.amdhsa_user_sgpr_kernarg_segment_ptr 1
		.amdhsa_user_sgpr_dispatch_id 0
		.amdhsa_user_sgpr_private_segment_size 0
		.amdhsa_wavefront_size32 1
		.amdhsa_uses_dynamic_stack 0
		.amdhsa_enable_private_segment 0
		.amdhsa_system_sgpr_workgroup_id_x 1
		.amdhsa_system_sgpr_workgroup_id_y 0
		.amdhsa_system_sgpr_workgroup_id_z 0
		.amdhsa_system_sgpr_workgroup_info 0
		.amdhsa_system_vgpr_workitem_id 0
		.amdhsa_next_free_vgpr 44
		.amdhsa_next_free_sgpr 56
		.amdhsa_reserve_vcc 1
		.amdhsa_float_round_mode_32 0
		.amdhsa_float_round_mode_16_64 0
		.amdhsa_float_denorm_mode_32 3
		.amdhsa_float_denorm_mode_16_64 3
		.amdhsa_dx10_clamp 1
		.amdhsa_ieee_mode 1
		.amdhsa_fp16_overflow 0
		.amdhsa_workgroup_processor_mode 1
		.amdhsa_memory_ordered 1
		.amdhsa_forward_progress 0
		.amdhsa_shared_vgpr_count 0
		.amdhsa_exception_fp_ieee_invalid_op 0
		.amdhsa_exception_fp_denorm_src 0
		.amdhsa_exception_fp_ieee_div_zero 0
		.amdhsa_exception_fp_ieee_overflow 0
		.amdhsa_exception_fp_ieee_underflow 0
		.amdhsa_exception_fp_ieee_inexact 0
		.amdhsa_exception_int_div_zero 0
	.end_amdhsa_kernel
	.section	.text._ZN2at6native12_GLOBAL__N_143distribution_elementwise_grid_stride_kernelIjLi4EZZZNS0_9templates4cuda13random_kernelIPNS_17CUDAGeneratorImplEEEvRNS_18TensorIteratorBaseET_ENKUlvE_clEvENKUlvE_clEvEUlP25hiprandStatePhilox4_32_10E0_ZNS1_27distribution_nullary_kernelIhj15HIP_vector_typeIjLj4EES7_SF_ZZZNS5_IS7_EEvS9_SA_ENKSB_clEvENKSC_clEvEUljE_EEvS9_T2_RKT3_T4_EUlijE0_EEvlNS_15PhiloxCudaStateET1_SK_,"axG",@progbits,_ZN2at6native12_GLOBAL__N_143distribution_elementwise_grid_stride_kernelIjLi4EZZZNS0_9templates4cuda13random_kernelIPNS_17CUDAGeneratorImplEEEvRNS_18TensorIteratorBaseET_ENKUlvE_clEvENKUlvE_clEvEUlP25hiprandStatePhilox4_32_10E0_ZNS1_27distribution_nullary_kernelIhj15HIP_vector_typeIjLj4EES7_SF_ZZZNS5_IS7_EEvS9_SA_ENKSB_clEvENKSC_clEvEUljE_EEvS9_T2_RKT3_T4_EUlijE0_EEvlNS_15PhiloxCudaStateET1_SK_,comdat
.Lfunc_end71:
	.size	_ZN2at6native12_GLOBAL__N_143distribution_elementwise_grid_stride_kernelIjLi4EZZZNS0_9templates4cuda13random_kernelIPNS_17CUDAGeneratorImplEEEvRNS_18TensorIteratorBaseET_ENKUlvE_clEvENKUlvE_clEvEUlP25hiprandStatePhilox4_32_10E0_ZNS1_27distribution_nullary_kernelIhj15HIP_vector_typeIjLj4EES7_SF_ZZZNS5_IS7_EEvS9_SA_ENKSB_clEvENKSC_clEvEUljE_EEvS9_T2_RKT3_T4_EUlijE0_EEvlNS_15PhiloxCudaStateET1_SK_, .Lfunc_end71-_ZN2at6native12_GLOBAL__N_143distribution_elementwise_grid_stride_kernelIjLi4EZZZNS0_9templates4cuda13random_kernelIPNS_17CUDAGeneratorImplEEEvRNS_18TensorIteratorBaseET_ENKUlvE_clEvENKUlvE_clEvEUlP25hiprandStatePhilox4_32_10E0_ZNS1_27distribution_nullary_kernelIhj15HIP_vector_typeIjLj4EES7_SF_ZZZNS5_IS7_EEvS9_SA_ENKSB_clEvENKSC_clEvEUljE_EEvS9_T2_RKT3_T4_EUlijE0_EEvlNS_15PhiloxCudaStateET1_SK_
                                        ; -- End function
	.section	.AMDGPU.csdata,"",@progbits
; Kernel info:
; codeLenInByte = 5136
; NumSgprs: 58
; NumVgprs: 44
; ScratchSize: 0
; MemoryBound: 0
; FloatMode: 240
; IeeeMode: 1
; LDSByteSize: 0 bytes/workgroup (compile time only)
; SGPRBlocks: 7
; VGPRBlocks: 5
; NumSGPRsForWavesPerEU: 58
; NumVGPRsForWavesPerEU: 44
; Occupancy: 16
; WaveLimiterHint : 1
; COMPUTE_PGM_RSRC2:SCRATCH_EN: 0
; COMPUTE_PGM_RSRC2:USER_SGPR: 15
; COMPUTE_PGM_RSRC2:TRAP_HANDLER: 0
; COMPUTE_PGM_RSRC2:TGID_X_EN: 1
; COMPUTE_PGM_RSRC2:TGID_Y_EN: 0
; COMPUTE_PGM_RSRC2:TGID_Z_EN: 0
; COMPUTE_PGM_RSRC2:TIDIG_COMP_CNT: 0
	.section	.text._ZN2at6native12_GLOBAL__N_143distribution_elementwise_grid_stride_kernelImLi2EZZZNS0_9templates4cuda13random_kernelIPNS_17CUDAGeneratorImplEEEvRNS_18TensorIteratorBaseET_ENKUlvE_clEvENKUlvE0_clEvEUlP25hiprandStatePhilox4_32_10E_ZNS1_27distribution_nullary_kernelIam15HIP_vector_typeIyLj2EES7_SF_ZZZNS5_IS7_EEvS9_SA_ENKSB_clEvENKSC_clEvEUlmE_EEvS9_T2_RKT3_T4_EUlimE_EEvlNS_15PhiloxCudaStateET1_SK_,"axG",@progbits,_ZN2at6native12_GLOBAL__N_143distribution_elementwise_grid_stride_kernelImLi2EZZZNS0_9templates4cuda13random_kernelIPNS_17CUDAGeneratorImplEEEvRNS_18TensorIteratorBaseET_ENKUlvE_clEvENKUlvE0_clEvEUlP25hiprandStatePhilox4_32_10E_ZNS1_27distribution_nullary_kernelIam15HIP_vector_typeIyLj2EES7_SF_ZZZNS5_IS7_EEvS9_SA_ENKSB_clEvENKSC_clEvEUlmE_EEvS9_T2_RKT3_T4_EUlimE_EEvlNS_15PhiloxCudaStateET1_SK_,comdat
	.globl	_ZN2at6native12_GLOBAL__N_143distribution_elementwise_grid_stride_kernelImLi2EZZZNS0_9templates4cuda13random_kernelIPNS_17CUDAGeneratorImplEEEvRNS_18TensorIteratorBaseET_ENKUlvE_clEvENKUlvE0_clEvEUlP25hiprandStatePhilox4_32_10E_ZNS1_27distribution_nullary_kernelIam15HIP_vector_typeIyLj2EES7_SF_ZZZNS5_IS7_EEvS9_SA_ENKSB_clEvENKSC_clEvEUlmE_EEvS9_T2_RKT3_T4_EUlimE_EEvlNS_15PhiloxCudaStateET1_SK_ ; -- Begin function _ZN2at6native12_GLOBAL__N_143distribution_elementwise_grid_stride_kernelImLi2EZZZNS0_9templates4cuda13random_kernelIPNS_17CUDAGeneratorImplEEEvRNS_18TensorIteratorBaseET_ENKUlvE_clEvENKUlvE0_clEvEUlP25hiprandStatePhilox4_32_10E_ZNS1_27distribution_nullary_kernelIam15HIP_vector_typeIyLj2EES7_SF_ZZZNS5_IS7_EEvS9_SA_ENKSB_clEvENKSC_clEvEUlmE_EEvS9_T2_RKT3_T4_EUlimE_EEvlNS_15PhiloxCudaStateET1_SK_
	.p2align	8
	.type	_ZN2at6native12_GLOBAL__N_143distribution_elementwise_grid_stride_kernelImLi2EZZZNS0_9templates4cuda13random_kernelIPNS_17CUDAGeneratorImplEEEvRNS_18TensorIteratorBaseET_ENKUlvE_clEvENKUlvE0_clEvEUlP25hiprandStatePhilox4_32_10E_ZNS1_27distribution_nullary_kernelIam15HIP_vector_typeIyLj2EES7_SF_ZZZNS5_IS7_EEvS9_SA_ENKSB_clEvENKSC_clEvEUlmE_EEvS9_T2_RKT3_T4_EUlimE_EEvlNS_15PhiloxCudaStateET1_SK_,@function
_ZN2at6native12_GLOBAL__N_143distribution_elementwise_grid_stride_kernelImLi2EZZZNS0_9templates4cuda13random_kernelIPNS_17CUDAGeneratorImplEEEvRNS_18TensorIteratorBaseET_ENKUlvE_clEvENKUlvE0_clEvEUlP25hiprandStatePhilox4_32_10E_ZNS1_27distribution_nullary_kernelIam15HIP_vector_typeIyLj2EES7_SF_ZZZNS5_IS7_EEvS9_SA_ENKSB_clEvENKSC_clEvEUlmE_EEvS9_T2_RKT3_T4_EUlimE_EEvlNS_15PhiloxCudaStateET1_SK_: ; @_ZN2at6native12_GLOBAL__N_143distribution_elementwise_grid_stride_kernelImLi2EZZZNS0_9templates4cuda13random_kernelIPNS_17CUDAGeneratorImplEEEvRNS_18TensorIteratorBaseET_ENKUlvE_clEvENKUlvE0_clEvEUlP25hiprandStatePhilox4_32_10E_ZNS1_27distribution_nullary_kernelIam15HIP_vector_typeIyLj2EES7_SF_ZZZNS5_IS7_EEvS9_SA_ENKSB_clEvENKSC_clEvEUlmE_EEvS9_T2_RKT3_T4_EUlimE_EEvlNS_15PhiloxCudaStateET1_SK_
; %bb.0:
	s_clause 0x2
	s_load_b64 s[8:9], s[0:1], 0x10
	s_load_b128 s[4:7], s[0:1], 0x0
	s_load_b32 s2, s[0:1], 0x20
	s_waitcnt lgkmcnt(0)
	v_dual_mov_b32 v2, s8 :: v_dual_mov_b32 v3, s9
	v_dual_mov_b32 v11, s7 :: v_dual_mov_b32 v10, s6
	s_bitcmp0_b32 s2, 0
	s_mov_b32 s2, 0
	s_cbranch_scc1 .LBB72_2
; %bb.1:
	v_dual_mov_b32 v1, s8 :: v_dual_mov_b32 v2, s9
	v_dual_mov_b32 v4, s6 :: v_dual_mov_b32 v5, s7
	s_load_b64 s[6:7], s[0:1], 0x18
	flat_load_b64 v[2:3], v[1:2]
	flat_load_b64 v[10:11], v[4:5]
	s_waitcnt vmcnt(1) lgkmcnt(0)
	v_add_co_u32 v2, vcc_lo, v2, s6
	v_add_co_ci_u32_e32 v3, vcc_lo, s7, v3, vcc_lo
.LBB72_2:
	s_clause 0x1
	s_load_b32 s3, s[0:1], 0x4c
	s_load_b32 s11, s[0:1], 0x40
	s_waitcnt lgkmcnt(0)
	s_and_b32 s10, s3, 0xffff
	s_add_u32 s6, s4, -1
	s_mul_i32 s8, s11, s10
	s_addc_u32 s3, s5, -1
	s_lshl_b32 s9, s8, 1
	s_cmp_lg_u64 s[2:3], 0
	s_cbranch_scc0 .LBB72_23
; %bb.3:
	v_cvt_f32_ubyte0_e32 v1, 0
	v_cvt_f32_u32_e32 v4, s9
	s_sub_u32 s12, 0, s9
	s_subb_u32 s13, 0, 0
	s_delay_alu instid0(VALU_DEP_1) | instskip(NEXT) | instid1(VALU_DEP_1)
	v_fmamk_f32 v1, v1, 0x4f800000, v4
	v_rcp_f32_e32 v1, v1
	s_waitcnt_depctr 0xfff
	v_mul_f32_e32 v1, 0x5f7ffffc, v1
	s_delay_alu instid0(VALU_DEP_1) | instskip(NEXT) | instid1(VALU_DEP_1)
	v_mul_f32_e32 v4, 0x2f800000, v1
	v_trunc_f32_e32 v4, v4
	s_delay_alu instid0(VALU_DEP_1) | instskip(SKIP_1) | instid1(VALU_DEP_2)
	v_fmamk_f32 v1, v4, 0xcf800000, v1
	v_cvt_u32_f32_e32 v4, v4
	v_cvt_u32_f32_e32 v1, v1
	s_delay_alu instid0(VALU_DEP_2) | instskip(NEXT) | instid1(VALU_DEP_2)
	v_readfirstlane_b32 s2, v4
	v_readfirstlane_b32 s7, v1
	s_delay_alu instid0(VALU_DEP_2) | instskip(NEXT) | instid1(VALU_DEP_1)
	s_mul_i32 s14, s12, s2
	s_mul_hi_u32 s17, s12, s7
	s_mul_i32 s16, s13, s7
	s_add_i32 s14, s17, s14
	s_mul_i32 s18, s12, s7
	s_add_i32 s14, s14, s16
	s_mul_hi_u32 s17, s7, s18
	s_mul_hi_u32 s19, s2, s18
	s_mul_i32 s16, s2, s18
	s_mul_hi_u32 s18, s7, s14
	s_mul_i32 s7, s7, s14
	s_mul_hi_u32 s20, s2, s14
	s_add_u32 s7, s17, s7
	s_addc_u32 s17, 0, s18
	s_add_u32 s7, s7, s16
	s_mul_i32 s14, s2, s14
	s_addc_u32 s7, s17, s19
	s_addc_u32 s16, s20, 0
	s_add_u32 s7, s7, s14
	s_addc_u32 s14, 0, s16
	v_add_co_u32 v1, s7, v1, s7
	s_delay_alu instid0(VALU_DEP_1) | instskip(SKIP_1) | instid1(VALU_DEP_1)
	s_cmp_lg_u32 s7, 0
	s_addc_u32 s2, s2, s14
	v_readfirstlane_b32 s7, v1
	s_mul_i32 s14, s12, s2
	s_delay_alu instid0(VALU_DEP_1)
	s_mul_hi_u32 s16, s12, s7
	s_mul_i32 s13, s13, s7
	s_add_i32 s14, s16, s14
	s_mul_i32 s12, s12, s7
	s_add_i32 s14, s14, s13
	s_mul_hi_u32 s16, s2, s12
	s_mul_i32 s17, s2, s12
	s_mul_hi_u32 s12, s7, s12
	s_mul_hi_u32 s18, s7, s14
	s_mul_i32 s7, s7, s14
	s_mul_hi_u32 s13, s2, s14
	s_add_u32 s7, s12, s7
	s_addc_u32 s12, 0, s18
	s_add_u32 s7, s7, s17
	s_mul_i32 s14, s2, s14
	s_addc_u32 s7, s12, s16
	s_addc_u32 s12, s13, 0
	s_add_u32 s7, s7, s14
	s_addc_u32 s12, 0, s12
	v_add_co_u32 v1, s7, v1, s7
	s_delay_alu instid0(VALU_DEP_1) | instskip(SKIP_2) | instid1(VALU_DEP_1)
	s_cmp_lg_u32 s7, 0
	s_addc_u32 s7, s2, s12
	s_ashr_i32 s12, s3, 31
	v_readfirstlane_b32 s14, v1
	s_add_u32 s2, s6, s12
	s_mov_b32 s13, s12
	s_addc_u32 s3, s3, s12
	s_delay_alu instid0(SALU_CYCLE_1) | instskip(NEXT) | instid1(SALU_CYCLE_1)
	s_xor_b64 s[2:3], s[2:3], s[12:13]
	s_mul_i32 s17, s2, s7
	s_mul_hi_u32 s18, s2, s14
	s_mul_hi_u32 s16, s2, s7
	;; [unrolled: 1-line block ×3, first 2 shown]
	s_mul_i32 s14, s3, s14
	s_add_u32 s17, s18, s17
	s_addc_u32 s16, 0, s16
	s_mul_hi_u32 s19, s3, s7
	s_add_u32 s14, s17, s14
	s_mul_i32 s7, s3, s7
	s_addc_u32 s14, s16, s20
	s_addc_u32 s16, s19, 0
	s_add_u32 s7, s14, s7
	s_addc_u32 s14, 0, s16
	s_mul_i32 s17, s9, s7
	s_add_u32 s16, s7, 1
	v_sub_co_u32 v1, s2, s2, s17
	s_mul_hi_u32 s17, s9, s7
	s_addc_u32 s18, s14, 0
	s_mul_i32 s19, s9, s14
	s_delay_alu instid0(VALU_DEP_1)
	v_sub_co_u32 v4, s20, v1, s9
	s_add_u32 s21, s7, 2
	s_addc_u32 s22, s14, 0
	s_add_i32 s17, s17, s19
	s_cmp_lg_u32 s2, 0
	v_readfirstlane_b32 s2, v4
	s_subb_u32 s3, s3, s17
	s_cmp_lg_u32 s20, 0
	s_subb_u32 s17, s3, 0
	s_delay_alu instid0(VALU_DEP_1) | instskip(SKIP_4) | instid1(SALU_CYCLE_1)
	s_cmp_ge_u32 s2, s9
	s_cselect_b32 s2, -1, 0
	s_cmp_eq_u32 s17, 0
	v_readfirstlane_b32 s17, v1
	s_cselect_b32 s2, s2, -1
	s_cmp_lg_u32 s2, 0
	s_cselect_b32 s2, s21, s16
	s_cselect_b32 s16, s22, s18
	s_cmp_ge_u32 s17, s9
	s_cselect_b32 s17, -1, 0
	s_cmp_eq_u32 s3, 0
	s_cselect_b32 s3, s17, -1
	s_delay_alu instid0(SALU_CYCLE_1) | instskip(SKIP_2) | instid1(SALU_CYCLE_1)
	s_cmp_lg_u32 s3, 0
	s_cselect_b32 s3, s16, s14
	s_cselect_b32 s2, s2, s7
	s_xor_b64 s[2:3], s[2:3], s[12:13]
	s_delay_alu instid0(SALU_CYCLE_1)
	s_sub_u32 s2, s2, s12
	s_subb_u32 s3, s3, s12
	s_cbranch_execnz .LBB72_5
.LBB72_4:
	v_cvt_f32_u32_e32 v1, s9
	s_sub_i32 s3, 0, s9
	s_delay_alu instid0(VALU_DEP_1) | instskip(SKIP_2) | instid1(VALU_DEP_1)
	v_rcp_iflag_f32_e32 v1, v1
	s_waitcnt_depctr 0xfff
	v_mul_f32_e32 v1, 0x4f7ffffe, v1
	v_cvt_u32_f32_e32 v1, v1
	s_delay_alu instid0(VALU_DEP_1) | instskip(NEXT) | instid1(VALU_DEP_1)
	v_readfirstlane_b32 s2, v1
	s_mul_i32 s3, s3, s2
	s_delay_alu instid0(SALU_CYCLE_1) | instskip(NEXT) | instid1(SALU_CYCLE_1)
	s_mul_hi_u32 s3, s2, s3
	s_add_i32 s2, s2, s3
	s_delay_alu instid0(SALU_CYCLE_1) | instskip(NEXT) | instid1(SALU_CYCLE_1)
	s_mul_hi_u32 s2, s6, s2
	s_mul_i32 s3, s2, s9
	s_delay_alu instid0(SALU_CYCLE_1)
	s_sub_i32 s3, s6, s3
	s_add_i32 s6, s2, 1
	s_sub_i32 s7, s3, s9
	s_cmp_ge_u32 s3, s9
	s_cselect_b32 s2, s6, s2
	s_cselect_b32 s3, s7, s3
	s_add_i32 s6, s2, 1
	s_cmp_ge_u32 s3, s9
	s_mov_b32 s3, 0
	s_cselect_b32 s2, s6, s2
.LBB72_5:
	v_mov_b32_e32 v1, 0
	s_add_u32 s2, s2, 1
	s_addc_u32 s3, s3, 0
	s_mul_hi_u32 s6, s8, s2
	s_mul_i32 s3, s8, s3
	v_mad_u64_u32 v[12:13], null, s10, s15, v[0:1]
	s_mul_hi_u32 s7, s11, s10
	s_add_i32 s3, s6, s3
	s_mul_i32 s7, s7, s2
	s_mul_i32 s2, s8, s2
	s_add_i32 s3, s3, s7
	s_mov_b32 s6, exec_lo
	s_lshl_b64 s[2:3], s[2:3], 1
	s_delay_alu instid0(SALU_CYCLE_1)
	v_cmpx_gt_i64_e64 s[2:3], v[12:13]
	s_cbranch_execz .LBB72_22
; %bb.6:
	v_mad_u64_u32 v[4:5], null, 0xcd9e8d57, v12, 0
	v_alignbit_b32 v16, v3, v2, 2
	v_lshrrev_b32_e32 v17, 2, v3
	s_waitcnt vmcnt(0)
	v_dual_mov_b32 v33, v11 :: v_dual_and_b32 v34, 3, v2
	v_add_co_u32 v19, null, 0x9e3779b9, v10
	v_mad_u64_u32 v[6:7], null, 0xd2511f53, v16, 0
	v_xor3_b32 v1, v10, v5, v17
	s_delay_alu instid0(VALU_DEP_4) | instskip(SKIP_1) | instid1(VALU_DEP_3)
	v_add_co_u32 v18, null, 0xbb67ae85, v33
	v_add_co_u32 v20, null, 0x3c6ef372, v10
	v_mad_u64_u32 v[8:9], null, 0xd2511f53, v1, 0
	v_xor_b32_e32 v1, v7, v11
	v_add_co_u32 v21, null, 0x76cf5d0a, v33
	v_add_co_u32 v22, null, 0x32370b8f, v33
	s_delay_alu instid0(VALU_DEP_3) | instskip(SKIP_3) | instid1(VALU_DEP_4)
	v_xor_b32_e32 v1, v1, v13
	v_xor3_b32 v3, v18, v9, v6
	v_add_co_u32 v23, null, 0xdaa66d2b, v10
	v_add_co_u32 v24, null, 0x78dde6e4, v10
	v_mad_u64_u32 v[5:6], null, 0xcd9e8d57, v1, 0
	s_delay_alu instid0(VALU_DEP_4) | instskip(SKIP_2) | instid1(VALU_DEP_4)
	v_mad_u64_u32 v[14:15], null, 0xcd9e8d57, v3, 0
	v_add_co_u32 v25, null, 0xed9eba14, v33
	v_add_co_u32 v26, null, 0xa9066899, v33
	v_xor3_b32 v1, v19, v6, v4
	v_add_co_u32 v27, null, 0x1715609d, v10
	v_xor3_b32 v7, v20, v15, v5
	v_add_co_u32 v28, null, 0xb54cda56, v10
	s_delay_alu instid0(VALU_DEP_4) | instskip(NEXT) | instid1(VALU_DEP_3)
	v_mad_u64_u32 v[3:4], null, 0xd2511f53, v1, 0
	v_mad_u64_u32 v[5:6], null, 0xd2511f53, v7, 0
	v_add_co_u32 v29, null, 0x646e171e, v33
	v_add_co_u32 v30, null, 0x1fd5c5a3, v33
	s_delay_alu instid0(VALU_DEP_4)
	v_xor3_b32 v1, v21, v4, v8
	v_add_co_u32 v31, null, 0x5384540f, v10
	v_xor3_b32 v8, v22, v6, v3
	s_clause 0x1
	s_load_b64 s[6:7], s[0:1], 0x30
	s_load_b32 s0, s[0:1], 0x38
	v_mad_u64_u32 v[3:4], null, 0xcd9e8d57, v1, 0
	v_add_co_u32 v32, null, 0xf1bbcdc8, v10
	v_mad_u64_u32 v[6:7], null, 0xcd9e8d57, v8, 0
	v_add_co_u32 v33, null, 0xdb3d7428, v33
	s_delay_alu instid0(VALU_DEP_4) | instskip(SKIP_3) | instid1(VALU_DEP_4)
	v_xor3_b32 v1, v23, v4, v14
	v_dual_mov_b32 v39, v12 :: v_dual_add_nc_u32 v36, 0x96a522ad, v11
	v_dual_mov_b32 v40, v13 :: v_dual_add_nc_u32 v35, 0x8ff34781, v10
	v_xor3_b32 v9, v24, v7, v3
	v_mad_u64_u32 v[3:4], null, 0xd2511f53, v1, 0
	s_delay_alu instid0(VALU_DEP_2) | instskip(SKIP_2) | instid1(VALU_DEP_2)
	v_mad_u64_u32 v[7:8], null, 0xd2511f53, v9, 0
	s_waitcnt lgkmcnt(0)
	s_mul_i32 s1, s11, s0
	v_xor3_b32 v1, v25, v4, v5
	s_mul_i32 s1, s1, s10
	s_delay_alu instid0(SALU_CYCLE_1) | instskip(NEXT) | instid1(VALU_DEP_2)
	s_lshl_b32 s1, s1, 1
	v_xor3_b32 v5, v26, v8, v3
	s_delay_alu instid0(VALU_DEP_2) | instskip(NEXT) | instid1(VALU_DEP_2)
	v_mad_u64_u32 v[3:4], null, 0xcd9e8d57, v1, 0
	v_mad_u64_u32 v[8:9], null, 0xcd9e8d57, v5, 0
	s_delay_alu instid0(VALU_DEP_2) | instskip(NEXT) | instid1(VALU_DEP_2)
	v_xor3_b32 v1, v27, v4, v6
	v_xor3_b32 v9, v28, v9, v3
	s_delay_alu instid0(VALU_DEP_2) | instskip(NEXT) | instid1(VALU_DEP_2)
	v_mad_u64_u32 v[3:4], null, 0xd2511f53, v1, 0
	v_mad_u64_u32 v[5:6], null, 0xd2511f53, v9, 0
	s_delay_alu instid0(VALU_DEP_2) | instskip(NEXT) | instid1(VALU_DEP_2)
	v_xor3_b32 v1, v29, v4, v7
	v_xor3_b32 v9, v30, v6, v3
	s_delay_alu instid0(VALU_DEP_2) | instskip(SKIP_1) | instid1(VALU_DEP_3)
	v_mad_u64_u32 v[3:4], null, 0xcd9e8d57, v1, 0
	v_mad_u64_u32 v[14:15], null, s15, s10, v[0:1]
	;; [unrolled: 1-line block ×3, first 2 shown]
	s_add_i32 s15, s15, s11
	s_delay_alu instid0(VALU_DEP_3) | instskip(SKIP_1) | instid1(VALU_DEP_4)
	v_xor3_b32 v4, v31, v4, v8
	v_mad_u64_u32 v[8:9], null, s15, s10, v[0:1]
	v_mul_lo_u32 v37, s0, v14
	s_delay_alu instid0(VALU_DEP_4) | instskip(NEXT) | instid1(VALU_DEP_4)
	v_xor3_b32 v6, v32, v7, v3
	v_mad_u64_u32 v[0:1], null, 0xd2511f53, v4, 0
	s_mov_b32 s10, 0
	s_delay_alu instid0(VALU_DEP_2) | instskip(SKIP_2) | instid1(VALU_DEP_3)
	v_mad_u64_u32 v[3:4], null, 0xd2511f53, v6, 0
	v_mul_lo_u32 v38, s0, v8
	s_mov_b32 s0, 0
	v_xor3_b32 v5, v33, v1, v5
	s_delay_alu instid0(VALU_DEP_1) | instskip(NEXT) | instid1(VALU_DEP_4)
	v_mad_u64_u32 v[1:2], null, 0xcd9e8d57, v5, 0
	v_xor3_b32 v2, v4, v0, v36
	s_branch .LBB72_8
.LBB72_7:                               ;   in Loop: Header=BB72_8 Depth=1
	s_or_b32 exec_lo, exec_lo, s11
	v_add_co_u32 v12, vcc_lo, v12, s9
	v_add_co_ci_u32_e32 v13, vcc_lo, 0, v13, vcc_lo
	v_mov_b32_e32 v6, v14
	v_mov_b32_e32 v0, v3
	v_dual_mov_b32 v1, v4 :: v_dual_mov_b32 v2, v5
	s_delay_alu instid0(VALU_DEP_4) | instskip(NEXT) | instid1(VALU_DEP_4)
	v_cmp_le_i64_e32 vcc_lo, s[2:3], v[12:13]
	v_mov_b32_e32 v3, v6
	s_add_i32 s10, s10, s1
	s_waitcnt_vscnt null, 0x0
	s_barrier
	buffer_gl0_inv
	s_or_b32 s0, vcc_lo, s0
	s_delay_alu instid0(SALU_CYCLE_1)
	s_and_not1_b32 exec_lo, exec_lo, s0
	s_cbranch_execz .LBB72_22
.LBB72_8:                               ; =>This Inner Loop Header: Depth=1
	v_add_co_u32 v16, vcc_lo, v16, 1
	s_delay_alu instid0(VALU_DEP_1) | instskip(SKIP_1) | instid1(VALU_DEP_3)
	v_cndmask_b32_e64 v0, 0, 1, vcc_lo
	v_add_co_ci_u32_e32 v17, vcc_lo, 0, v17, vcc_lo
	v_mad_u64_u32 v[4:5], null, 0xd2511f53, v16, 0
	s_mov_b32 s11, exec_lo
	s_delay_alu instid0(VALU_DEP_2) | instskip(SKIP_1) | instid1(VALU_DEP_1)
	v_cmp_eq_u32_e32 vcc_lo, 0, v17
	v_cndmask_b32_e32 v0, 0, v0, vcc_lo
	v_add_nc_u32_e32 v39, v0, v39
	s_delay_alu instid0(VALU_DEP_1) | instskip(SKIP_2) | instid1(VALU_DEP_2)
	v_cmp_eq_u32_e32 vcc_lo, 0, v39
	v_cndmask_b32_e32 v0, 0, v0, vcc_lo
	v_mad_u64_u32 v[6:7], null, 0xcd9e8d57, v39, 0
	v_add_nc_u32_e32 v40, v0, v40
	v_xor_b32_e32 v0, v5, v11
	s_delay_alu instid0(VALU_DEP_3) | instskip(NEXT) | instid1(VALU_DEP_2)
	v_xor3_b32 v5, v7, v10, v17
	v_xor_b32_e32 v0, v40, v0
	s_delay_alu instid0(VALU_DEP_2) | instskip(NEXT) | instid1(VALU_DEP_2)
	v_mad_u64_u32 v[7:8], null, 0xd2511f53, v5, 0
	v_mad_u64_u32 v[14:15], null, 0xcd9e8d57, v0, 0
	s_delay_alu instid0(VALU_DEP_2) | instskip(NEXT) | instid1(VALU_DEP_2)
	v_xor3_b32 v0, v18, v8, v4
	v_xor3_b32 v6, v19, v15, v6
	s_delay_alu instid0(VALU_DEP_2) | instskip(NEXT) | instid1(VALU_DEP_2)
	v_mad_u64_u32 v[4:5], null, 0xcd9e8d57, v0, 0
	v_mad_u64_u32 v[8:9], null, 0xd2511f53, v6, 0
	s_delay_alu instid0(VALU_DEP_2) | instskip(NEXT) | instid1(VALU_DEP_2)
	v_xor3_b32 v0, v20, v5, v14
	v_xor3_b32 v7, v21, v9, v7
	;; [unrolled: 6-line block ×9, first 2 shown]
	s_delay_alu instid0(VALU_DEP_2)
	v_mov_b32_e32 v5, v8
	v_cmpx_lt_i32_e32 1, v34
	s_xor_b32 s11, exec_lo, s11
	s_cbranch_execnz .LBB72_14
; %bb.9:                                ;   in Loop: Header=BB72_8 Depth=1
	s_and_not1_saveexec_b32 s11, s11
	s_cbranch_execnz .LBB72_19
.LBB72_10:                              ;   in Loop: Header=BB72_8 Depth=1
	s_or_b32 exec_lo, exec_lo, s11
	s_delay_alu instid0(SALU_CYCLE_1)
	s_mov_b32 s11, exec_lo
	v_cmpx_gt_i64_e64 s[4:5], v[12:13]
	s_cbranch_execz .LBB72_12
.LBB72_11:                              ;   in Loop: Header=BB72_8 Depth=1
	v_add_nc_u32_e32 v0, s10, v37
	s_delay_alu instid0(VALU_DEP_1) | instskip(SKIP_2) | instid1(VALU_DEP_3)
	v_ashrrev_i32_e32 v2, 31, v0
	v_add_co_u32 v6, vcc_lo, s6, v0
	v_and_b32_e32 v0, 0x7f, v1
	v_add_co_ci_u32_e32 v7, vcc_lo, s7, v2, vcc_lo
	global_store_b8 v[6:7], v0, off
.LBB72_12:                              ;   in Loop: Header=BB72_8 Depth=1
	s_or_b32 exec_lo, exec_lo, s11
	v_add_co_u32 v0, vcc_lo, s8, v12
	v_add_co_ci_u32_e32 v1, vcc_lo, 0, v13, vcc_lo
	s_mov_b32 s11, exec_lo
	s_delay_alu instid0(VALU_DEP_1)
	v_cmpx_gt_i64_e64 s[4:5], v[0:1]
	s_cbranch_execz .LBB72_7
; %bb.13:                               ;   in Loop: Header=BB72_8 Depth=1
	v_add_nc_u32_e32 v0, s10, v38
	v_and_b32_e32 v2, 0x7f, v3
	s_delay_alu instid0(VALU_DEP_2) | instskip(SKIP_1) | instid1(VALU_DEP_2)
	v_ashrrev_i32_e32 v1, 31, v0
	v_add_co_u32 v0, vcc_lo, s6, v0
	v_add_co_ci_u32_e32 v1, vcc_lo, s7, v1, vcc_lo
	global_store_b8 v[0:1], v2, off
	s_branch .LBB72_7
.LBB72_14:                              ;   in Loop: Header=BB72_8 Depth=1
	s_mov_b32 s12, exec_lo
	v_cmpx_lt_i32_e32 2, v34
	s_xor_b32 s12, exec_lo, s12
; %bb.15:                               ;   in Loop: Header=BB72_8 Depth=1
	v_dual_mov_b32 v0, v5 :: v_dual_mov_b32 v1, v6
	v_dual_mov_b32 v2, v7 :: v_dual_mov_b32 v3, v8
; %bb.16:                               ;   in Loop: Header=BB72_8 Depth=1
	s_and_not1_saveexec_b32 s12, s12
; %bb.17:                               ;   in Loop: Header=BB72_8 Depth=1
	s_delay_alu instid0(VALU_DEP_1)
	v_mov_b32_e32 v1, v3
	v_mov_b32_e32 v3, v4
; %bb.18:                               ;   in Loop: Header=BB72_8 Depth=1
	s_or_b32 exec_lo, exec_lo, s12
                                        ; implicit-def: $vgpr6_vgpr7_vgpr8_vgpr9
	s_and_not1_saveexec_b32 s11, s11
	s_cbranch_execz .LBB72_10
.LBB72_19:                              ;   in Loop: Header=BB72_8 Depth=1
	s_mov_b32 s12, exec_lo
	v_cmpx_eq_u32_e32 1, v34
; %bb.20:                               ;   in Loop: Header=BB72_8 Depth=1
	v_mov_b32_e32 v1, v2
	v_mov_b32_e32 v3, v6
; %bb.21:                               ;   in Loop: Header=BB72_8 Depth=1
	s_or_b32 exec_lo, exec_lo, s12
	s_delay_alu instid0(SALU_CYCLE_1) | instskip(NEXT) | instid1(SALU_CYCLE_1)
	s_or_b32 exec_lo, exec_lo, s11
	s_mov_b32 s11, exec_lo
	v_cmpx_gt_i64_e64 s[4:5], v[12:13]
	s_cbranch_execnz .LBB72_11
	s_branch .LBB72_12
.LBB72_22:
	s_endpgm
.LBB72_23:
                                        ; implicit-def: $sgpr2_sgpr3
	s_branch .LBB72_4
	.section	.rodata,"a",@progbits
	.p2align	6, 0x0
	.amdhsa_kernel _ZN2at6native12_GLOBAL__N_143distribution_elementwise_grid_stride_kernelImLi2EZZZNS0_9templates4cuda13random_kernelIPNS_17CUDAGeneratorImplEEEvRNS_18TensorIteratorBaseET_ENKUlvE_clEvENKUlvE0_clEvEUlP25hiprandStatePhilox4_32_10E_ZNS1_27distribution_nullary_kernelIam15HIP_vector_typeIyLj2EES7_SF_ZZZNS5_IS7_EEvS9_SA_ENKSB_clEvENKSC_clEvEUlmE_EEvS9_T2_RKT3_T4_EUlimE_EEvlNS_15PhiloxCudaStateET1_SK_
		.amdhsa_group_segment_fixed_size 0
		.amdhsa_private_segment_fixed_size 0
		.amdhsa_kernarg_size 320
		.amdhsa_user_sgpr_count 15
		.amdhsa_user_sgpr_dispatch_ptr 0
		.amdhsa_user_sgpr_queue_ptr 0
		.amdhsa_user_sgpr_kernarg_segment_ptr 1
		.amdhsa_user_sgpr_dispatch_id 0
		.amdhsa_user_sgpr_private_segment_size 0
		.amdhsa_wavefront_size32 1
		.amdhsa_uses_dynamic_stack 0
		.amdhsa_enable_private_segment 0
		.amdhsa_system_sgpr_workgroup_id_x 1
		.amdhsa_system_sgpr_workgroup_id_y 0
		.amdhsa_system_sgpr_workgroup_id_z 0
		.amdhsa_system_sgpr_workgroup_info 0
		.amdhsa_system_vgpr_workitem_id 0
		.amdhsa_next_free_vgpr 43
		.amdhsa_next_free_sgpr 23
		.amdhsa_reserve_vcc 1
		.amdhsa_float_round_mode_32 0
		.amdhsa_float_round_mode_16_64 0
		.amdhsa_float_denorm_mode_32 3
		.amdhsa_float_denorm_mode_16_64 3
		.amdhsa_dx10_clamp 1
		.amdhsa_ieee_mode 1
		.amdhsa_fp16_overflow 0
		.amdhsa_workgroup_processor_mode 1
		.amdhsa_memory_ordered 1
		.amdhsa_forward_progress 0
		.amdhsa_shared_vgpr_count 0
		.amdhsa_exception_fp_ieee_invalid_op 0
		.amdhsa_exception_fp_denorm_src 0
		.amdhsa_exception_fp_ieee_div_zero 0
		.amdhsa_exception_fp_ieee_overflow 0
		.amdhsa_exception_fp_ieee_underflow 0
		.amdhsa_exception_fp_ieee_inexact 0
		.amdhsa_exception_int_div_zero 0
	.end_amdhsa_kernel
	.section	.text._ZN2at6native12_GLOBAL__N_143distribution_elementwise_grid_stride_kernelImLi2EZZZNS0_9templates4cuda13random_kernelIPNS_17CUDAGeneratorImplEEEvRNS_18TensorIteratorBaseET_ENKUlvE_clEvENKUlvE0_clEvEUlP25hiprandStatePhilox4_32_10E_ZNS1_27distribution_nullary_kernelIam15HIP_vector_typeIyLj2EES7_SF_ZZZNS5_IS7_EEvS9_SA_ENKSB_clEvENKSC_clEvEUlmE_EEvS9_T2_RKT3_T4_EUlimE_EEvlNS_15PhiloxCudaStateET1_SK_,"axG",@progbits,_ZN2at6native12_GLOBAL__N_143distribution_elementwise_grid_stride_kernelImLi2EZZZNS0_9templates4cuda13random_kernelIPNS_17CUDAGeneratorImplEEEvRNS_18TensorIteratorBaseET_ENKUlvE_clEvENKUlvE0_clEvEUlP25hiprandStatePhilox4_32_10E_ZNS1_27distribution_nullary_kernelIam15HIP_vector_typeIyLj2EES7_SF_ZZZNS5_IS7_EEvS9_SA_ENKSB_clEvENKSC_clEvEUlmE_EEvS9_T2_RKT3_T4_EUlimE_EEvlNS_15PhiloxCudaStateET1_SK_,comdat
.Lfunc_end72:
	.size	_ZN2at6native12_GLOBAL__N_143distribution_elementwise_grid_stride_kernelImLi2EZZZNS0_9templates4cuda13random_kernelIPNS_17CUDAGeneratorImplEEEvRNS_18TensorIteratorBaseET_ENKUlvE_clEvENKUlvE0_clEvEUlP25hiprandStatePhilox4_32_10E_ZNS1_27distribution_nullary_kernelIam15HIP_vector_typeIyLj2EES7_SF_ZZZNS5_IS7_EEvS9_SA_ENKSB_clEvENKSC_clEvEUlmE_EEvS9_T2_RKT3_T4_EUlimE_EEvlNS_15PhiloxCudaStateET1_SK_, .Lfunc_end72-_ZN2at6native12_GLOBAL__N_143distribution_elementwise_grid_stride_kernelImLi2EZZZNS0_9templates4cuda13random_kernelIPNS_17CUDAGeneratorImplEEEvRNS_18TensorIteratorBaseET_ENKUlvE_clEvENKUlvE0_clEvEUlP25hiprandStatePhilox4_32_10E_ZNS1_27distribution_nullary_kernelIam15HIP_vector_typeIyLj2EES7_SF_ZZZNS5_IS7_EEvS9_SA_ENKSB_clEvENKSC_clEvEUlmE_EEvS9_T2_RKT3_T4_EUlimE_EEvlNS_15PhiloxCudaStateET1_SK_
                                        ; -- End function
	.section	.AMDGPU.csdata,"",@progbits
; Kernel info:
; codeLenInByte = 2588
; NumSgprs: 25
; NumVgprs: 43
; ScratchSize: 0
; MemoryBound: 0
; FloatMode: 240
; IeeeMode: 1
; LDSByteSize: 0 bytes/workgroup (compile time only)
; SGPRBlocks: 3
; VGPRBlocks: 5
; NumSGPRsForWavesPerEU: 25
; NumVGPRsForWavesPerEU: 43
; Occupancy: 16
; WaveLimiterHint : 0
; COMPUTE_PGM_RSRC2:SCRATCH_EN: 0
; COMPUTE_PGM_RSRC2:USER_SGPR: 15
; COMPUTE_PGM_RSRC2:TRAP_HANDLER: 0
; COMPUTE_PGM_RSRC2:TGID_X_EN: 1
; COMPUTE_PGM_RSRC2:TGID_Y_EN: 0
; COMPUTE_PGM_RSRC2:TGID_Z_EN: 0
; COMPUTE_PGM_RSRC2:TIDIG_COMP_CNT: 0
	.section	.text._ZN2at6native12_GLOBAL__N_143distribution_elementwise_grid_stride_kernelImLi2EZZZNS0_9templates4cuda13random_kernelIPNS_17CUDAGeneratorImplEEEvRNS_18TensorIteratorBaseET_ENKUlvE_clEvENKUlvE0_clEvEUlP25hiprandStatePhilox4_32_10E_ZNS1_27distribution_nullary_kernelIam15HIP_vector_typeIyLj2EES7_SF_ZZZNS5_IS7_EEvS9_SA_ENKSB_clEvENKSC_clEvEUlmE_EEvS9_T2_RKT3_T4_EUlimE0_EEvlNS_15PhiloxCudaStateET1_SK_,"axG",@progbits,_ZN2at6native12_GLOBAL__N_143distribution_elementwise_grid_stride_kernelImLi2EZZZNS0_9templates4cuda13random_kernelIPNS_17CUDAGeneratorImplEEEvRNS_18TensorIteratorBaseET_ENKUlvE_clEvENKUlvE0_clEvEUlP25hiprandStatePhilox4_32_10E_ZNS1_27distribution_nullary_kernelIam15HIP_vector_typeIyLj2EES7_SF_ZZZNS5_IS7_EEvS9_SA_ENKSB_clEvENKSC_clEvEUlmE_EEvS9_T2_RKT3_T4_EUlimE0_EEvlNS_15PhiloxCudaStateET1_SK_,comdat
	.globl	_ZN2at6native12_GLOBAL__N_143distribution_elementwise_grid_stride_kernelImLi2EZZZNS0_9templates4cuda13random_kernelIPNS_17CUDAGeneratorImplEEEvRNS_18TensorIteratorBaseET_ENKUlvE_clEvENKUlvE0_clEvEUlP25hiprandStatePhilox4_32_10E_ZNS1_27distribution_nullary_kernelIam15HIP_vector_typeIyLj2EES7_SF_ZZZNS5_IS7_EEvS9_SA_ENKSB_clEvENKSC_clEvEUlmE_EEvS9_T2_RKT3_T4_EUlimE0_EEvlNS_15PhiloxCudaStateET1_SK_ ; -- Begin function _ZN2at6native12_GLOBAL__N_143distribution_elementwise_grid_stride_kernelImLi2EZZZNS0_9templates4cuda13random_kernelIPNS_17CUDAGeneratorImplEEEvRNS_18TensorIteratorBaseET_ENKUlvE_clEvENKUlvE0_clEvEUlP25hiprandStatePhilox4_32_10E_ZNS1_27distribution_nullary_kernelIam15HIP_vector_typeIyLj2EES7_SF_ZZZNS5_IS7_EEvS9_SA_ENKSB_clEvENKSC_clEvEUlmE_EEvS9_T2_RKT3_T4_EUlimE0_EEvlNS_15PhiloxCudaStateET1_SK_
	.p2align	8
	.type	_ZN2at6native12_GLOBAL__N_143distribution_elementwise_grid_stride_kernelImLi2EZZZNS0_9templates4cuda13random_kernelIPNS_17CUDAGeneratorImplEEEvRNS_18TensorIteratorBaseET_ENKUlvE_clEvENKUlvE0_clEvEUlP25hiprandStatePhilox4_32_10E_ZNS1_27distribution_nullary_kernelIam15HIP_vector_typeIyLj2EES7_SF_ZZZNS5_IS7_EEvS9_SA_ENKSB_clEvENKSC_clEvEUlmE_EEvS9_T2_RKT3_T4_EUlimE0_EEvlNS_15PhiloxCudaStateET1_SK_,@function
_ZN2at6native12_GLOBAL__N_143distribution_elementwise_grid_stride_kernelImLi2EZZZNS0_9templates4cuda13random_kernelIPNS_17CUDAGeneratorImplEEEvRNS_18TensorIteratorBaseET_ENKUlvE_clEvENKUlvE0_clEvEUlP25hiprandStatePhilox4_32_10E_ZNS1_27distribution_nullary_kernelIam15HIP_vector_typeIyLj2EES7_SF_ZZZNS5_IS7_EEvS9_SA_ENKSB_clEvENKSC_clEvEUlmE_EEvS9_T2_RKT3_T4_EUlimE0_EEvlNS_15PhiloxCudaStateET1_SK_: ; @_ZN2at6native12_GLOBAL__N_143distribution_elementwise_grid_stride_kernelImLi2EZZZNS0_9templates4cuda13random_kernelIPNS_17CUDAGeneratorImplEEEvRNS_18TensorIteratorBaseET_ENKUlvE_clEvENKUlvE0_clEvEUlP25hiprandStatePhilox4_32_10E_ZNS1_27distribution_nullary_kernelIam15HIP_vector_typeIyLj2EES7_SF_ZZZNS5_IS7_EEvS9_SA_ENKSB_clEvENKSC_clEvEUlmE_EEvS9_T2_RKT3_T4_EUlimE0_EEvlNS_15PhiloxCudaStateET1_SK_
; %bb.0:
	s_clause 0x2
	s_load_b64 s[4:5], s[0:1], 0x10
	s_load_b128 s[16:19], s[0:1], 0x0
	s_load_b32 s2, s[0:1], 0x20
	s_waitcnt lgkmcnt(0)
	v_dual_mov_b32 v2, s4 :: v_dual_mov_b32 v3, s5
	v_dual_mov_b32 v10, s18 :: v_dual_mov_b32 v11, s19
	s_bitcmp0_b32 s2, 0
	s_mov_b32 s2, 0
	s_cbranch_scc1 .LBB73_2
; %bb.1:
	v_dual_mov_b32 v1, s4 :: v_dual_mov_b32 v2, s5
	v_dual_mov_b32 v4, s18 :: v_dual_mov_b32 v5, s19
	s_load_b64 s[4:5], s[0:1], 0x18
	flat_load_b64 v[2:3], v[1:2]
	flat_load_b64 v[10:11], v[4:5]
	s_waitcnt vmcnt(1) lgkmcnt(0)
	v_add_co_u32 v2, vcc_lo, v2, s4
	v_add_co_ci_u32_e32 v3, vcc_lo, s5, v3, vcc_lo
.LBB73_2:
	s_clause 0x1
	s_load_b32 s3, s[0:1], 0x154
	s_load_b32 s4, s[0:1], 0x148
	s_waitcnt lgkmcnt(0)
	s_and_b32 s5, s3, 0xffff
	s_add_u32 s6, s16, -1
	s_mul_i32 s24, s4, s5
	s_addc_u32 s3, s17, -1
	s_lshl_b32 s25, s24, 1
	s_cmp_lg_u64 s[2:3], 0
	s_cbranch_scc0 .LBB73_49
; %bb.3:
	v_cvt_f32_ubyte0_e32 v1, 0
	v_cvt_f32_u32_e32 v4, s25
	s_sub_u32 s8, 0, s25
	s_subb_u32 s9, 0, 0
	s_delay_alu instid0(VALU_DEP_1) | instskip(NEXT) | instid1(VALU_DEP_1)
	v_fmamk_f32 v1, v1, 0x4f800000, v4
	v_rcp_f32_e32 v1, v1
	s_waitcnt_depctr 0xfff
	v_mul_f32_e32 v1, 0x5f7ffffc, v1
	s_delay_alu instid0(VALU_DEP_1) | instskip(NEXT) | instid1(VALU_DEP_1)
	v_mul_f32_e32 v4, 0x2f800000, v1
	v_trunc_f32_e32 v4, v4
	s_delay_alu instid0(VALU_DEP_1) | instskip(SKIP_1) | instid1(VALU_DEP_2)
	v_fmamk_f32 v1, v4, 0xcf800000, v1
	v_cvt_u32_f32_e32 v4, v4
	v_cvt_u32_f32_e32 v1, v1
	s_delay_alu instid0(VALU_DEP_2) | instskip(NEXT) | instid1(VALU_DEP_2)
	v_readfirstlane_b32 s2, v4
	v_readfirstlane_b32 s7, v1
	s_delay_alu instid0(VALU_DEP_2) | instskip(NEXT) | instid1(VALU_DEP_1)
	s_mul_i32 s10, s8, s2
	s_mul_hi_u32 s12, s8, s7
	s_mul_i32 s11, s9, s7
	s_add_i32 s10, s12, s10
	s_mul_i32 s13, s8, s7
	s_add_i32 s10, s10, s11
	s_mul_hi_u32 s12, s7, s13
	s_mul_hi_u32 s14, s2, s13
	s_mul_i32 s11, s2, s13
	s_mul_hi_u32 s13, s7, s10
	s_mul_i32 s7, s7, s10
	s_mul_hi_u32 s18, s2, s10
	s_add_u32 s7, s12, s7
	s_addc_u32 s12, 0, s13
	s_add_u32 s7, s7, s11
	s_mul_i32 s10, s2, s10
	s_addc_u32 s7, s12, s14
	s_addc_u32 s11, s18, 0
	s_add_u32 s7, s7, s10
	s_addc_u32 s10, 0, s11
	v_add_co_u32 v1, s7, v1, s7
	s_delay_alu instid0(VALU_DEP_1) | instskip(SKIP_1) | instid1(VALU_DEP_1)
	s_cmp_lg_u32 s7, 0
	s_addc_u32 s2, s2, s10
	v_readfirstlane_b32 s7, v1
	s_mul_i32 s10, s8, s2
	s_delay_alu instid0(VALU_DEP_1)
	s_mul_hi_u32 s11, s8, s7
	s_mul_i32 s9, s9, s7
	s_add_i32 s10, s11, s10
	s_mul_i32 s8, s8, s7
	s_add_i32 s10, s10, s9
	s_mul_hi_u32 s11, s2, s8
	s_mul_i32 s12, s2, s8
	s_mul_hi_u32 s8, s7, s8
	s_mul_hi_u32 s13, s7, s10
	s_mul_i32 s7, s7, s10
	s_mul_hi_u32 s9, s2, s10
	s_add_u32 s7, s8, s7
	s_addc_u32 s8, 0, s13
	s_add_u32 s7, s7, s12
	s_mul_i32 s10, s2, s10
	s_addc_u32 s7, s8, s11
	s_addc_u32 s8, s9, 0
	s_add_u32 s7, s7, s10
	s_addc_u32 s8, 0, s8
	v_add_co_u32 v1, s7, v1, s7
	s_delay_alu instid0(VALU_DEP_1) | instskip(SKIP_2) | instid1(VALU_DEP_1)
	s_cmp_lg_u32 s7, 0
	s_addc_u32 s7, s2, s8
	s_ashr_i32 s8, s3, 31
	v_readfirstlane_b32 s10, v1
	s_add_u32 s2, s6, s8
	s_mov_b32 s9, s8
	s_addc_u32 s3, s3, s8
	s_delay_alu instid0(SALU_CYCLE_1) | instskip(NEXT) | instid1(SALU_CYCLE_1)
	s_xor_b64 s[2:3], s[2:3], s[8:9]
	s_mul_i32 s12, s2, s7
	s_mul_hi_u32 s13, s2, s10
	s_mul_hi_u32 s11, s2, s7
	;; [unrolled: 1-line block ×3, first 2 shown]
	s_mul_i32 s10, s3, s10
	s_add_u32 s12, s13, s12
	s_addc_u32 s11, 0, s11
	s_mul_hi_u32 s14, s3, s7
	s_add_u32 s10, s12, s10
	s_mul_i32 s7, s3, s7
	s_addc_u32 s10, s11, s18
	s_addc_u32 s11, s14, 0
	s_add_u32 s7, s10, s7
	s_addc_u32 s10, 0, s11
	s_mul_i32 s12, s25, s7
	s_add_u32 s11, s7, 1
	v_sub_co_u32 v1, s2, s2, s12
	s_mul_hi_u32 s12, s25, s7
	s_addc_u32 s13, s10, 0
	s_mul_i32 s14, s25, s10
	s_delay_alu instid0(VALU_DEP_1)
	v_sub_co_u32 v4, s18, v1, s25
	s_add_u32 s19, s7, 2
	s_addc_u32 s20, s10, 0
	s_add_i32 s12, s12, s14
	s_cmp_lg_u32 s2, 0
	v_readfirstlane_b32 s2, v4
	s_subb_u32 s3, s3, s12
	s_cmp_lg_u32 s18, 0
	s_subb_u32 s12, s3, 0
	s_delay_alu instid0(VALU_DEP_1) | instskip(SKIP_4) | instid1(SALU_CYCLE_1)
	s_cmp_ge_u32 s2, s25
	s_cselect_b32 s2, -1, 0
	s_cmp_eq_u32 s12, 0
	v_readfirstlane_b32 s12, v1
	s_cselect_b32 s2, s2, -1
	s_cmp_lg_u32 s2, 0
	s_cselect_b32 s2, s19, s11
	s_cselect_b32 s11, s20, s13
	s_cmp_ge_u32 s12, s25
	s_cselect_b32 s12, -1, 0
	s_cmp_eq_u32 s3, 0
	s_cselect_b32 s3, s12, -1
	s_delay_alu instid0(SALU_CYCLE_1) | instskip(SKIP_2) | instid1(SALU_CYCLE_1)
	s_cmp_lg_u32 s3, 0
	s_cselect_b32 s3, s11, s10
	s_cselect_b32 s2, s2, s7
	s_xor_b64 s[2:3], s[2:3], s[8:9]
	s_delay_alu instid0(SALU_CYCLE_1)
	s_sub_u32 s2, s2, s8
	s_subb_u32 s3, s3, s8
	s_cbranch_execnz .LBB73_5
.LBB73_4:
	v_cvt_f32_u32_e32 v1, s25
	s_sub_i32 s3, 0, s25
	s_delay_alu instid0(VALU_DEP_1) | instskip(SKIP_2) | instid1(VALU_DEP_1)
	v_rcp_iflag_f32_e32 v1, v1
	s_waitcnt_depctr 0xfff
	v_mul_f32_e32 v1, 0x4f7ffffe, v1
	v_cvt_u32_f32_e32 v1, v1
	s_delay_alu instid0(VALU_DEP_1) | instskip(NEXT) | instid1(VALU_DEP_1)
	v_readfirstlane_b32 s2, v1
	s_mul_i32 s3, s3, s2
	s_delay_alu instid0(SALU_CYCLE_1) | instskip(NEXT) | instid1(SALU_CYCLE_1)
	s_mul_hi_u32 s3, s2, s3
	s_add_i32 s2, s2, s3
	s_delay_alu instid0(SALU_CYCLE_1) | instskip(NEXT) | instid1(SALU_CYCLE_1)
	s_mul_hi_u32 s2, s6, s2
	s_mul_i32 s3, s2, s25
	s_delay_alu instid0(SALU_CYCLE_1)
	s_sub_i32 s3, s6, s3
	s_add_i32 s6, s2, 1
	s_sub_i32 s7, s3, s25
	s_cmp_ge_u32 s3, s25
	s_cselect_b32 s2, s6, s2
	s_cselect_b32 s3, s7, s3
	s_add_i32 s6, s2, 1
	s_cmp_ge_u32 s3, s25
	s_mov_b32 s3, 0
	s_cselect_b32 s2, s6, s2
.LBB73_5:
	v_mov_b32_e32 v1, 0
	s_add_u32 s2, s2, 1
	s_addc_u32 s3, s3, 0
	s_mul_hi_u32 s6, s24, s2
	s_mul_i32 s3, s24, s3
	v_mad_u64_u32 v[12:13], null, s5, s15, v[0:1]
	s_mul_hi_u32 s4, s4, s5
	s_add_i32 s3, s6, s3
	s_mul_i32 s4, s4, s2
	s_mul_i32 s2, s24, s2
	s_add_i32 s3, s3, s4
	s_mov_b32 s4, exec_lo
	s_lshl_b64 s[2:3], s[2:3], 1
	s_delay_alu instid0(SALU_CYCLE_1)
	v_cmpx_gt_i64_e64 s[2:3], v[12:13]
	s_cbranch_execz .LBB73_48
; %bb.6:
	v_alignbit_b32 v16, v3, v2, 2
	v_mad_u64_u32 v[0:1], null, 0xcd9e8d57, v12, 0
	v_lshrrev_b32_e32 v17, 2, v3
	s_waitcnt vmcnt(0)
	v_dual_mov_b32 v9, v11 :: v_dual_and_b32 v26, 3, v2
	v_mad_u64_u32 v[3:4], null, 0xd2511f53, v16, 0
	v_add_co_u32 v19, null, 0x9e3779b9, v10
	v_xor3_b32 v1, v10, v1, v17
	s_delay_alu instid0(VALU_DEP_4) | instskip(SKIP_2) | instid1(VALU_DEP_4)
	v_add_co_u32 v18, null, 0xbb67ae85, v9
	v_add_co_u32 v20, null, 0x3c6ef372, v10
	v_xor_b32_e32 v6, v4, v11
	v_mad_u64_u32 v[4:5], null, 0xd2511f53, v1, 0
	v_add_co_u32 v21, null, 0x76cf5d0a, v9
	s_delay_alu instid0(VALU_DEP_3) | instskip(SKIP_3) | instid1(VALU_DEP_4)
	v_xor_b32_e32 v1, v6, v13
	v_add_co_u32 v22, null, 0x32370b8f, v9
	v_add_co_u32 v23, null, 0xdaa66d2b, v10
	v_xor3_b32 v3, v18, v5, v3
	v_mad_u64_u32 v[5:6], null, 0xcd9e8d57, v1, 0
	v_add_co_u32 v24, null, 0x78dde6e4, v10
	s_delay_alu instid0(VALU_DEP_3) | instskip(SKIP_1) | instid1(VALU_DEP_4)
	v_mad_u64_u32 v[7:8], null, 0xcd9e8d57, v3, 0
	v_add_co_u32 v25, null, 0xed9eba14, v9
	v_xor3_b32 v3, v19, v6, v0
	v_add_co_u32 v27, null, 0xa9066899, v9
	v_add_co_u32 v29, null, 0x1715609d, v10
	v_xor3_b32 v8, v20, v8, v5
	s_delay_alu instid0(VALU_DEP_4) | instskip(SKIP_1) | instid1(VALU_DEP_3)
	v_mad_u64_u32 v[0:1], null, 0xd2511f53, v3, 0
	v_add_co_u32 v30, null, 0xb54cda56, v10
	v_mad_u64_u32 v[5:6], null, 0xd2511f53, v8, 0
	v_add_co_u32 v32, null, 0x646e171e, v9
	s_delay_alu instid0(VALU_DEP_4) | instskip(SKIP_2) | instid1(VALU_DEP_4)
	v_xor3_b32 v3, v21, v1, v4
	s_load_b256 s[4:11], s[0:1], 0x30
	v_add_co_u32 v33, null, 0x1fd5c5a3, v9
	v_xor3_b32 v6, v22, v6, v0
	s_delay_alu instid0(VALU_DEP_3) | instskip(SKIP_1) | instid1(VALU_DEP_3)
	v_mad_u64_u32 v[0:1], null, 0xcd9e8d57, v3, 0
	v_add_co_u32 v28, null, 0x5384540f, v10
	v_mad_u64_u32 v[3:4], null, 0xcd9e8d57, v6, 0
	v_add_co_u32 v31, null, 0xf1bbcdc8, v10
	s_delay_alu instid0(VALU_DEP_4)
	v_xor3_b32 v6, v23, v1, v7
	s_add_u32 s12, s0, 48
	s_addc_u32 s13, s1, 0
	s_clause 0x1
	s_load_b64 s[14:15], s[0:1], 0xf4
	s_load_b64 s[18:19], s[0:1], 0x138
	v_xor3_b32 v4, v24, v4, v0
	v_mad_u64_u32 v[0:1], null, 0xd2511f53, v6, 0
	v_add_co_u32 v34, null, 0xdb3d7428, v9
	s_delay_alu instid0(VALU_DEP_3) | instskip(SKIP_3) | instid1(VALU_DEP_4)
	v_mad_u64_u32 v[6:7], null, 0xd2511f53, v4, 0
	s_waitcnt lgkmcnt(0)
	s_add_i32 s20, s4, -1
	v_dual_mov_b32 v37, v12 :: v_dual_add_nc_u32 v36, 0x96a522ad, v11
	v_xor3_b32 v2, v25, v1, v5
	s_cmp_gt_u32 s20, 1
	v_dual_mov_b32 v38, v13 :: v_dual_add_nc_u32 v35, 0x8ff34781, v10
	s_delay_alu instid0(VALU_DEP_4) | instskip(NEXT) | instid1(VALU_DEP_3)
	v_xor3_b32 v7, v27, v7, v0
	v_mad_u64_u32 v[0:1], null, 0xcd9e8d57, v2, 0
	s_cselect_b32 s11, -1, 0
	s_cmp_lg_u32 s4, 0
	s_delay_alu instid0(VALU_DEP_2) | instskip(SKIP_2) | instid1(VALU_DEP_2)
	v_mad_u64_u32 v[4:5], null, 0xcd9e8d57, v7, 0
	s_cselect_b32 s27, -1, 0
	s_add_u32 s0, s0, 0xf4
	v_xor3_b32 v2, v29, v1, v3
	s_addc_u32 s1, s1, 0
	s_min_u32 s21, s20, 15
	s_cmp_gt_u32 s4, 1
	s_delay_alu instid0(VALU_DEP_2) | instskip(SKIP_3) | instid1(VALU_DEP_2)
	v_xor3_b32 v5, v30, v5, v0
	v_mad_u64_u32 v[0:1], null, 0xd2511f53, v2, 0
	s_cselect_b32 s4, -1, 0
	s_add_i32 s21, s21, 1
	v_mad_u64_u32 v[2:3], null, 0xd2511f53, v5, 0
	s_and_b32 s28, s21, 3
	s_cmp_lg_u32 s20, 2
	s_delay_alu instid0(VALU_DEP_2) | instskip(SKIP_3) | instid1(VALU_DEP_2)
	v_xor3_b32 v5, v32, v1, v6
	s_cselect_b32 s29, -1, 0
	s_and_b32 s30, s21, 28
	s_cmp_lg_u32 s28, 0
	v_xor3_b32 v3, v33, v3, v0
	v_mad_u64_u32 v[0:1], null, 0xcd9e8d57, v5, 0
	s_mov_b32 s26, 0
	s_cselect_b32 s31, -1, 0
	s_delay_alu instid0(VALU_DEP_2) | instskip(NEXT) | instid1(VALU_DEP_2)
	v_mad_u64_u32 v[5:6], null, 0xcd9e8d57, v3, 0
	v_xor3_b32 v3, v28, v1, v4
	s_delay_alu instid0(VALU_DEP_2) | instskip(NEXT) | instid1(VALU_DEP_2)
	v_xor3_b32 v5, v31, v6, v0
	v_mad_u64_u32 v[0:1], null, 0xd2511f53, v3, 0
	s_delay_alu instid0(VALU_DEP_2) | instskip(NEXT) | instid1(VALU_DEP_2)
	v_mad_u64_u32 v[3:4], null, 0xd2511f53, v5, 0
	v_xor3_b32 v5, v34, v1, v2
	s_delay_alu instid0(VALU_DEP_1) | instskip(NEXT) | instid1(VALU_DEP_3)
	v_mad_u64_u32 v[1:2], null, 0xcd9e8d57, v5, 0
	v_xor3_b32 v2, v4, v0, v36
	s_branch .LBB73_9
.LBB73_7:                               ;   in Loop: Header=BB73_9 Depth=1
	v_and_b32_e32 v0, 0x7f, v3
	global_store_b8 v1, v0, s[18:19]
.LBB73_8:                               ;   in Loop: Header=BB73_9 Depth=1
	s_or_b32 exec_lo, exec_lo, s33
	v_add_co_u32 v12, vcc_lo, v12, s25
	v_add_co_ci_u32_e32 v13, vcc_lo, 0, v13, vcc_lo
	v_mov_b32_e32 v6, v14
	v_mov_b32_e32 v0, v3
	v_dual_mov_b32 v1, v4 :: v_dual_mov_b32 v2, v5
	s_delay_alu instid0(VALU_DEP_4) | instskip(NEXT) | instid1(VALU_DEP_4)
	v_cmp_le_i64_e32 vcc_lo, s[2:3], v[12:13]
	v_mov_b32_e32 v3, v6
	s_waitcnt_vscnt null, 0x0
	s_barrier
	buffer_gl0_inv
	s_or_b32 s26, vcc_lo, s26
	s_delay_alu instid0(SALU_CYCLE_1)
	s_and_not1_b32 exec_lo, exec_lo, s26
	s_cbranch_execz .LBB73_48
.LBB73_9:                               ; =>This Loop Header: Depth=1
                                        ;     Child Loop BB73_24 Depth 2
                                        ;     Child Loop BB73_29 Depth 2
	;; [unrolled: 1-line block ×4, first 2 shown]
	v_add_co_u32 v16, vcc_lo, v16, 1
	s_delay_alu instid0(VALU_DEP_1) | instskip(SKIP_1) | instid1(VALU_DEP_3)
	v_cndmask_b32_e64 v0, 0, 1, vcc_lo
	v_add_co_ci_u32_e32 v17, vcc_lo, 0, v17, vcc_lo
	v_mad_u64_u32 v[4:5], null, 0xd2511f53, v16, 0
	s_mov_b32 s20, exec_lo
	s_delay_alu instid0(VALU_DEP_2) | instskip(SKIP_1) | instid1(VALU_DEP_1)
	v_cmp_eq_u32_e32 vcc_lo, 0, v17
	v_cndmask_b32_e32 v0, 0, v0, vcc_lo
	v_add_nc_u32_e32 v37, v0, v37
	s_delay_alu instid0(VALU_DEP_1) | instskip(SKIP_2) | instid1(VALU_DEP_2)
	v_cmp_eq_u32_e32 vcc_lo, 0, v37
	v_cndmask_b32_e32 v0, 0, v0, vcc_lo
	v_mad_u64_u32 v[6:7], null, 0xcd9e8d57, v37, 0
	v_add_nc_u32_e32 v38, v0, v38
	v_xor_b32_e32 v0, v5, v11
	s_delay_alu instid0(VALU_DEP_3) | instskip(NEXT) | instid1(VALU_DEP_2)
	v_xor3_b32 v5, v7, v10, v17
	v_xor_b32_e32 v0, v38, v0
	s_delay_alu instid0(VALU_DEP_2) | instskip(NEXT) | instid1(VALU_DEP_2)
	v_mad_u64_u32 v[7:8], null, 0xd2511f53, v5, 0
	v_mad_u64_u32 v[14:15], null, 0xcd9e8d57, v0, 0
	s_delay_alu instid0(VALU_DEP_2) | instskip(NEXT) | instid1(VALU_DEP_2)
	v_xor3_b32 v0, v18, v8, v4
	v_xor3_b32 v6, v19, v15, v6
	s_delay_alu instid0(VALU_DEP_2) | instskip(NEXT) | instid1(VALU_DEP_2)
	v_mad_u64_u32 v[4:5], null, 0xcd9e8d57, v0, 0
	v_mad_u64_u32 v[8:9], null, 0xd2511f53, v6, 0
	s_delay_alu instid0(VALU_DEP_2) | instskip(NEXT) | instid1(VALU_DEP_2)
	v_xor3_b32 v0, v20, v5, v14
	v_xor3_b32 v7, v21, v9, v7
	;; [unrolled: 6-line block ×9, first 2 shown]
	s_delay_alu instid0(VALU_DEP_2)
	v_mov_b32_e32 v5, v8
	v_cmpx_lt_i32_e32 1, v26
	s_xor_b32 s20, exec_lo, s20
	s_cbranch_execnz .LBB73_12
; %bb.10:                               ;   in Loop: Header=BB73_9 Depth=1
	s_and_not1_saveexec_b32 s20, s20
	s_cbranch_execnz .LBB73_17
.LBB73_11:                              ;   in Loop: Header=BB73_9 Depth=1
	s_or_b32 exec_lo, exec_lo, s20
	s_delay_alu instid0(SALU_CYCLE_1)
	s_mov_b32 s33, exec_lo
	v_cmpx_gt_i64_e64 s[16:17], v[12:13]
	s_cbranch_execnz .LBB73_20
	s_branch .LBB73_34
.LBB73_12:                              ;   in Loop: Header=BB73_9 Depth=1
	s_mov_b32 s21, exec_lo
	v_cmpx_lt_i32_e32 2, v26
	s_xor_b32 s21, exec_lo, s21
; %bb.13:                               ;   in Loop: Header=BB73_9 Depth=1
	v_dual_mov_b32 v0, v5 :: v_dual_mov_b32 v1, v6
	v_dual_mov_b32 v2, v7 :: v_dual_mov_b32 v3, v8
; %bb.14:                               ;   in Loop: Header=BB73_9 Depth=1
	s_and_not1_saveexec_b32 s21, s21
; %bb.15:                               ;   in Loop: Header=BB73_9 Depth=1
	s_delay_alu instid0(VALU_DEP_1)
	v_mov_b32_e32 v1, v3
	v_mov_b32_e32 v3, v4
; %bb.16:                               ;   in Loop: Header=BB73_9 Depth=1
	s_or_b32 exec_lo, exec_lo, s21
                                        ; implicit-def: $vgpr6_vgpr7_vgpr8_vgpr9
	s_and_not1_saveexec_b32 s20, s20
	s_cbranch_execz .LBB73_11
.LBB73_17:                              ;   in Loop: Header=BB73_9 Depth=1
	s_mov_b32 s21, exec_lo
	v_cmpx_eq_u32_e32 1, v26
; %bb.18:                               ;   in Loop: Header=BB73_9 Depth=1
	v_mov_b32_e32 v1, v2
	v_mov_b32_e32 v3, v6
; %bb.19:                               ;   in Loop: Header=BB73_9 Depth=1
	s_or_b32 exec_lo, exec_lo, s21
	s_delay_alu instid0(SALU_CYCLE_1) | instskip(NEXT) | instid1(SALU_CYCLE_1)
	s_or_b32 exec_lo, exec_lo, s20
	s_mov_b32 s33, exec_lo
	v_cmpx_gt_i64_e64 s[16:17], v[12:13]
	s_cbranch_execz .LBB73_34
.LBB73_20:                              ;   in Loop: Header=BB73_9 Depth=1
	s_and_not1_b32 vcc_lo, exec_lo, s11
	s_cbranch_vccnz .LBB73_26
; %bb.21:                               ;   in Loop: Header=BB73_9 Depth=1
	v_mov_b32_e32 v0, 0
	s_and_not1_b32 vcc_lo, exec_lo, s27
	s_cbranch_vccnz .LBB73_30
; %bb.22:                               ;   in Loop: Header=BB73_9 Depth=1
	s_and_not1_b32 vcc_lo, exec_lo, s29
	s_mov_b32 s20, 0
	s_cbranch_vccnz .LBB73_27
; %bb.23:                               ;   in Loop: Header=BB73_9 Depth=1
	v_mov_b32_e32 v0, 0
	v_mov_b32_e32 v2, v12
	s_mov_b32 s34, 0
	s_mov_b64 s[20:21], s[12:13]
	s_mov_b64 s[22:23], s[0:1]
.LBB73_24:                              ;   Parent Loop BB73_9 Depth=1
                                        ; =>  This Inner Loop Header: Depth=2
	s_clause 0x1
	s_load_b256 s[36:43], s[20:21], 0x4
	s_load_b128 s[44:47], s[20:21], 0x24
	s_load_b128 s[48:51], s[22:23], 0x0
	s_add_u32 s20, s20, 48
	s_addc_u32 s21, s21, 0
	s_add_i32 s34, s34, 4
	s_add_u32 s22, s22, 16
	s_addc_u32 s23, s23, 0
	s_cmp_lg_u32 s30, s34
	s_waitcnt lgkmcnt(0)
	v_mul_hi_u32 v6, s37, v2
	s_delay_alu instid0(VALU_DEP_1) | instskip(NEXT) | instid1(VALU_DEP_1)
	v_add_nc_u32_e32 v6, v2, v6
	v_lshrrev_b32_e32 v6, s38, v6
	s_delay_alu instid0(VALU_DEP_1) | instskip(SKIP_1) | instid1(VALU_DEP_2)
	v_mul_hi_u32 v7, s40, v6
	v_mul_lo_u32 v15, v6, s36
	v_add_nc_u32_e32 v7, v6, v7
	s_delay_alu instid0(VALU_DEP_2) | instskip(NEXT) | instid1(VALU_DEP_2)
	v_sub_nc_u32_e32 v15, v2, v15
	v_lshrrev_b32_e32 v7, s41, v7
	s_delay_alu instid0(VALU_DEP_2) | instskip(NEXT) | instid1(VALU_DEP_2)
	v_mul_lo_u32 v15, v15, s48
	v_mul_hi_u32 v8, s43, v7
	v_mul_lo_u32 v39, v7, s39
	s_delay_alu instid0(VALU_DEP_2) | instskip(NEXT) | instid1(VALU_DEP_2)
	v_add_nc_u32_e32 v8, v7, v8
	v_sub_nc_u32_e32 v6, v6, v39
	s_delay_alu instid0(VALU_DEP_2) | instskip(NEXT) | instid1(VALU_DEP_2)
	v_lshrrev_b32_e32 v8, s44, v8
	v_mul_lo_u32 v6, v6, s49
	s_delay_alu instid0(VALU_DEP_2) | instskip(NEXT) | instid1(VALU_DEP_2)
	v_mul_hi_u32 v9, s46, v8
	v_add3_u32 v0, v15, v0, v6
	s_delay_alu instid0(VALU_DEP_2) | instskip(NEXT) | instid1(VALU_DEP_1)
	v_add_nc_u32_e32 v9, v8, v9
	v_lshrrev_b32_e32 v2, s47, v9
	v_mul_lo_u32 v9, v8, s42
	s_delay_alu instid0(VALU_DEP_2) | instskip(NEXT) | instid1(VALU_DEP_2)
	v_mul_lo_u32 v40, v2, s45
	v_sub_nc_u32_e32 v7, v7, v9
	s_delay_alu instid0(VALU_DEP_2) | instskip(NEXT) | instid1(VALU_DEP_2)
	v_sub_nc_u32_e32 v8, v8, v40
	v_mul_lo_u32 v7, v7, s50
	s_delay_alu instid0(VALU_DEP_2) | instskip(NEXT) | instid1(VALU_DEP_1)
	v_mul_lo_u32 v8, v8, s51
	v_add3_u32 v0, v7, v0, v8
	s_cbranch_scc1 .LBB73_24
; %bb.25:                               ;   in Loop: Header=BB73_9 Depth=1
	s_mov_b32 s20, s30
	s_and_not1_b32 vcc_lo, exec_lo, s31
	s_cbranch_vccz .LBB73_28
	s_branch .LBB73_30
.LBB73_26:                              ;   in Loop: Header=BB73_9 Depth=1
                                        ; implicit-def: $vgpr0
	s_branch .LBB73_31
.LBB73_27:                              ;   in Loop: Header=BB73_9 Depth=1
	v_mov_b32_e32 v2, v12
	s_and_not1_b32 vcc_lo, exec_lo, s31
	s_cbranch_vccnz .LBB73_30
.LBB73_28:                              ;   in Loop: Header=BB73_9 Depth=1
	s_lshl_b32 s21, s20, 2
	s_mul_i32 s22, s20, 12
	s_add_u32 s20, s0, s21
	s_addc_u32 s21, s1, 0
	s_add_u32 s22, s12, s22
	s_addc_u32 s23, s13, 0
	s_mov_b32 s34, s28
	.p2align	6
.LBB73_29:                              ;   Parent Loop BB73_9 Depth=1
                                        ; =>  This Inner Loop Header: Depth=2
	s_clause 0x1
	s_load_b64 s[36:37], s[22:23], 0x4
	s_load_b32 s35, s[22:23], 0xc
	s_add_u32 s22, s22, 12
	s_addc_u32 s23, s23, 0
	s_waitcnt lgkmcnt(0)
	v_mul_hi_u32 v6, s37, v2
	s_load_b32 s37, s[20:21], 0x0
	s_add_u32 s20, s20, 4
	s_addc_u32 s21, s21, 0
	s_add_i32 s34, s34, -1
	s_delay_alu instid0(SALU_CYCLE_1) | instskip(NEXT) | instid1(VALU_DEP_1)
	s_cmp_lg_u32 s34, 0
	v_add_nc_u32_e32 v6, v2, v6
	s_delay_alu instid0(VALU_DEP_1) | instskip(NEXT) | instid1(VALU_DEP_1)
	v_lshrrev_b32_e32 v8, s35, v6
	v_mul_lo_u32 v6, v8, s36
	s_delay_alu instid0(VALU_DEP_1) | instskip(SKIP_1) | instid1(VALU_DEP_1)
	v_sub_nc_u32_e32 v2, v2, v6
	s_waitcnt lgkmcnt(0)
	v_mad_u64_u32 v[6:7], null, v2, s37, v[0:1]
	v_mov_b32_e32 v2, v8
	s_delay_alu instid0(VALU_DEP_2)
	v_mov_b32_e32 v0, v6
	s_cbranch_scc1 .LBB73_29
.LBB73_30:                              ;   in Loop: Header=BB73_9 Depth=1
	s_cbranch_execnz .LBB73_33
.LBB73_31:                              ;   in Loop: Header=BB73_9 Depth=1
	v_mul_hi_u32 v0, v12, s6
	s_and_not1_b32 vcc_lo, exec_lo, s4
	s_delay_alu instid0(VALU_DEP_1) | instskip(NEXT) | instid1(VALU_DEP_1)
	v_add_nc_u32_e32 v0, v0, v12
	v_lshrrev_b32_e32 v2, s7, v0
	s_delay_alu instid0(VALU_DEP_1) | instskip(NEXT) | instid1(VALU_DEP_1)
	v_mul_lo_u32 v0, v2, s5
	v_sub_nc_u32_e32 v0, v12, v0
	s_delay_alu instid0(VALU_DEP_1)
	v_mul_lo_u32 v0, v0, s14
	s_cbranch_vccnz .LBB73_33
; %bb.32:                               ;   in Loop: Header=BB73_9 Depth=1
	v_mul_hi_u32 v6, s9, v2
	s_delay_alu instid0(VALU_DEP_1) | instskip(NEXT) | instid1(VALU_DEP_1)
	v_add_nc_u32_e32 v6, v2, v6
	v_lshrrev_b32_e32 v6, s10, v6
	s_delay_alu instid0(VALU_DEP_1) | instskip(NEXT) | instid1(VALU_DEP_1)
	v_mul_lo_u32 v6, v6, s8
	v_sub_nc_u32_e32 v2, v2, v6
	s_delay_alu instid0(VALU_DEP_1) | instskip(NEXT) | instid1(VALU_DEP_1)
	v_mad_u64_u32 v[6:7], null, v2, s15, v[0:1]
	v_mov_b32_e32 v0, v6
.LBB73_33:                              ;   in Loop: Header=BB73_9 Depth=1
	v_and_b32_e32 v1, 0x7f, v1
	global_store_b8 v0, v1, s[18:19]
.LBB73_34:                              ;   in Loop: Header=BB73_9 Depth=1
	s_or_b32 exec_lo, exec_lo, s33
	v_add_co_u32 v0, vcc_lo, v12, s24
	v_add_co_ci_u32_e32 v1, vcc_lo, 0, v13, vcc_lo
	s_mov_b32 s33, exec_lo
	s_delay_alu instid0(VALU_DEP_1)
	v_cmpx_gt_i64_e64 s[16:17], v[0:1]
	s_cbranch_execz .LBB73_8
; %bb.35:                               ;   in Loop: Header=BB73_9 Depth=1
	s_and_not1_b32 vcc_lo, exec_lo, s11
	s_cbranch_vccnz .LBB73_41
; %bb.36:                               ;   in Loop: Header=BB73_9 Depth=1
	v_mov_b32_e32 v1, 0
	s_and_not1_b32 vcc_lo, exec_lo, s27
	s_cbranch_vccnz .LBB73_45
; %bb.37:                               ;   in Loop: Header=BB73_9 Depth=1
	s_and_not1_b32 vcc_lo, exec_lo, s29
	s_mov_b32 s20, 0
	s_cbranch_vccnz .LBB73_42
; %bb.38:                               ;   in Loop: Header=BB73_9 Depth=1
	v_dual_mov_b32 v1, 0 :: v_dual_mov_b32 v2, v0
	s_mov_b32 s34, 0
	s_mov_b64 s[20:21], s[12:13]
	s_mov_b64 s[22:23], s[0:1]
.LBB73_39:                              ;   Parent Loop BB73_9 Depth=1
                                        ; =>  This Inner Loop Header: Depth=2
	s_clause 0x1
	s_load_b256 s[36:43], s[20:21], 0x4
	s_load_b128 s[44:47], s[20:21], 0x24
	s_load_b128 s[48:51], s[22:23], 0x0
	s_add_u32 s20, s20, 48
	s_addc_u32 s21, s21, 0
	s_add_i32 s34, s34, 4
	s_add_u32 s22, s22, 16
	s_addc_u32 s23, s23, 0
	s_cmp_eq_u32 s30, s34
	s_waitcnt lgkmcnt(0)
	v_mul_hi_u32 v6, s37, v2
	s_delay_alu instid0(VALU_DEP_1) | instskip(NEXT) | instid1(VALU_DEP_1)
	v_add_nc_u32_e32 v6, v2, v6
	v_lshrrev_b32_e32 v6, s38, v6
	s_delay_alu instid0(VALU_DEP_1) | instskip(SKIP_1) | instid1(VALU_DEP_2)
	v_mul_hi_u32 v7, s40, v6
	v_mul_lo_u32 v15, v6, s36
	v_add_nc_u32_e32 v7, v6, v7
	s_delay_alu instid0(VALU_DEP_2) | instskip(NEXT) | instid1(VALU_DEP_2)
	v_sub_nc_u32_e32 v15, v2, v15
	v_lshrrev_b32_e32 v7, s41, v7
	s_delay_alu instid0(VALU_DEP_2) | instskip(NEXT) | instid1(VALU_DEP_2)
	v_mul_lo_u32 v15, v15, s48
	v_mul_hi_u32 v8, s43, v7
	v_mul_lo_u32 v39, v7, s39
	s_delay_alu instid0(VALU_DEP_2) | instskip(NEXT) | instid1(VALU_DEP_2)
	v_add_nc_u32_e32 v8, v7, v8
	v_sub_nc_u32_e32 v6, v6, v39
	s_delay_alu instid0(VALU_DEP_2) | instskip(NEXT) | instid1(VALU_DEP_2)
	v_lshrrev_b32_e32 v8, s44, v8
	v_mul_lo_u32 v6, v6, s49
	s_delay_alu instid0(VALU_DEP_2) | instskip(NEXT) | instid1(VALU_DEP_2)
	v_mul_hi_u32 v9, s46, v8
	v_add3_u32 v1, v15, v1, v6
	s_delay_alu instid0(VALU_DEP_2) | instskip(NEXT) | instid1(VALU_DEP_1)
	v_add_nc_u32_e32 v9, v8, v9
	v_lshrrev_b32_e32 v2, s47, v9
	v_mul_lo_u32 v9, v8, s42
	s_delay_alu instid0(VALU_DEP_2) | instskip(NEXT) | instid1(VALU_DEP_2)
	v_mul_lo_u32 v40, v2, s45
	v_sub_nc_u32_e32 v7, v7, v9
	s_delay_alu instid0(VALU_DEP_2) | instskip(NEXT) | instid1(VALU_DEP_2)
	v_sub_nc_u32_e32 v8, v8, v40
	v_mul_lo_u32 v7, v7, s50
	s_delay_alu instid0(VALU_DEP_2) | instskip(NEXT) | instid1(VALU_DEP_1)
	v_mul_lo_u32 v8, v8, s51
	v_add3_u32 v1, v7, v1, v8
	s_cbranch_scc0 .LBB73_39
; %bb.40:                               ;   in Loop: Header=BB73_9 Depth=1
	s_mov_b32 s20, s30
	s_and_not1_b32 vcc_lo, exec_lo, s31
	s_cbranch_vccz .LBB73_43
	s_branch .LBB73_45
.LBB73_41:                              ;   in Loop: Header=BB73_9 Depth=1
                                        ; implicit-def: $vgpr1
	s_branch .LBB73_46
.LBB73_42:                              ;   in Loop: Header=BB73_9 Depth=1
	v_mov_b32_e32 v2, v0
	s_and_not1_b32 vcc_lo, exec_lo, s31
	s_cbranch_vccnz .LBB73_45
.LBB73_43:                              ;   in Loop: Header=BB73_9 Depth=1
	s_lshl_b32 s21, s20, 2
	s_mul_i32 s22, s20, 12
	s_add_u32 s20, s0, s21
	s_addc_u32 s21, s1, 0
	s_add_u32 s22, s12, s22
	s_addc_u32 s23, s13, 0
	s_mov_b32 s34, s28
	.p2align	6
.LBB73_44:                              ;   Parent Loop BB73_9 Depth=1
                                        ; =>  This Inner Loop Header: Depth=2
	s_clause 0x1
	s_load_b64 s[36:37], s[22:23], 0x4
	s_load_b32 s35, s[22:23], 0xc
	s_add_u32 s22, s22, 12
	s_addc_u32 s23, s23, 0
	s_waitcnt lgkmcnt(0)
	v_mul_hi_u32 v6, s37, v2
	s_load_b32 s37, s[20:21], 0x0
	s_add_u32 s20, s20, 4
	s_addc_u32 s21, s21, 0
	s_add_i32 s34, s34, -1
	s_delay_alu instid0(SALU_CYCLE_1) | instskip(NEXT) | instid1(VALU_DEP_1)
	s_cmp_lg_u32 s34, 0
	v_add_nc_u32_e32 v6, v2, v6
	s_delay_alu instid0(VALU_DEP_1) | instskip(NEXT) | instid1(VALU_DEP_1)
	v_lshrrev_b32_e32 v8, s35, v6
	v_mul_lo_u32 v6, v8, s36
	s_delay_alu instid0(VALU_DEP_1) | instskip(SKIP_1) | instid1(VALU_DEP_1)
	v_sub_nc_u32_e32 v2, v2, v6
	s_waitcnt lgkmcnt(0)
	v_mad_u64_u32 v[6:7], null, v2, s37, v[1:2]
	s_delay_alu instid0(VALU_DEP_1)
	v_dual_mov_b32 v2, v8 :: v_dual_mov_b32 v1, v6
	s_cbranch_scc1 .LBB73_44
.LBB73_45:                              ;   in Loop: Header=BB73_9 Depth=1
	s_cbranch_execnz .LBB73_7
.LBB73_46:                              ;   in Loop: Header=BB73_9 Depth=1
	v_mul_hi_u32 v1, v0, s6
	s_and_not1_b32 vcc_lo, exec_lo, s4
	s_delay_alu instid0(VALU_DEP_1) | instskip(NEXT) | instid1(VALU_DEP_1)
	v_add_nc_u32_e32 v1, v1, v0
	v_lshrrev_b32_e32 v2, s7, v1
	s_delay_alu instid0(VALU_DEP_1) | instskip(NEXT) | instid1(VALU_DEP_1)
	v_mul_lo_u32 v1, v2, s5
	v_sub_nc_u32_e32 v0, v0, v1
	s_delay_alu instid0(VALU_DEP_1)
	v_mul_lo_u32 v1, v0, s14
	s_cbranch_vccnz .LBB73_7
; %bb.47:                               ;   in Loop: Header=BB73_9 Depth=1
	v_mul_hi_u32 v0, s9, v2
	s_delay_alu instid0(VALU_DEP_1) | instskip(NEXT) | instid1(VALU_DEP_1)
	v_add_nc_u32_e32 v0, v2, v0
	v_lshrrev_b32_e32 v0, s10, v0
	s_delay_alu instid0(VALU_DEP_1) | instskip(NEXT) | instid1(VALU_DEP_1)
	v_mul_lo_u32 v0, v0, s8
	v_sub_nc_u32_e32 v0, v2, v0
	s_delay_alu instid0(VALU_DEP_1) | instskip(NEXT) | instid1(VALU_DEP_1)
	v_mad_u64_u32 v[6:7], null, v0, s15, v[1:2]
	v_mov_b32_e32 v1, v6
	s_branch .LBB73_7
.LBB73_48:
	s_endpgm
.LBB73_49:
                                        ; implicit-def: $sgpr2_sgpr3
	s_branch .LBB73_4
	.section	.rodata,"a",@progbits
	.p2align	6, 0x0
	.amdhsa_kernel _ZN2at6native12_GLOBAL__N_143distribution_elementwise_grid_stride_kernelImLi2EZZZNS0_9templates4cuda13random_kernelIPNS_17CUDAGeneratorImplEEEvRNS_18TensorIteratorBaseET_ENKUlvE_clEvENKUlvE0_clEvEUlP25hiprandStatePhilox4_32_10E_ZNS1_27distribution_nullary_kernelIam15HIP_vector_typeIyLj2EES7_SF_ZZZNS5_IS7_EEvS9_SA_ENKSB_clEvENKSC_clEvEUlmE_EEvS9_T2_RKT3_T4_EUlimE0_EEvlNS_15PhiloxCudaStateET1_SK_
		.amdhsa_group_segment_fixed_size 0
		.amdhsa_private_segment_fixed_size 0
		.amdhsa_kernarg_size 584
		.amdhsa_user_sgpr_count 15
		.amdhsa_user_sgpr_dispatch_ptr 0
		.amdhsa_user_sgpr_queue_ptr 0
		.amdhsa_user_sgpr_kernarg_segment_ptr 1
		.amdhsa_user_sgpr_dispatch_id 0
		.amdhsa_user_sgpr_private_segment_size 0
		.amdhsa_wavefront_size32 1
		.amdhsa_uses_dynamic_stack 0
		.amdhsa_enable_private_segment 0
		.amdhsa_system_sgpr_workgroup_id_x 1
		.amdhsa_system_sgpr_workgroup_id_y 0
		.amdhsa_system_sgpr_workgroup_id_z 0
		.amdhsa_system_sgpr_workgroup_info 0
		.amdhsa_system_vgpr_workitem_id 0
		.amdhsa_next_free_vgpr 41
		.amdhsa_next_free_sgpr 52
		.amdhsa_reserve_vcc 1
		.amdhsa_float_round_mode_32 0
		.amdhsa_float_round_mode_16_64 0
		.amdhsa_float_denorm_mode_32 3
		.amdhsa_float_denorm_mode_16_64 3
		.amdhsa_dx10_clamp 1
		.amdhsa_ieee_mode 1
		.amdhsa_fp16_overflow 0
		.amdhsa_workgroup_processor_mode 1
		.amdhsa_memory_ordered 1
		.amdhsa_forward_progress 0
		.amdhsa_shared_vgpr_count 0
		.amdhsa_exception_fp_ieee_invalid_op 0
		.amdhsa_exception_fp_denorm_src 0
		.amdhsa_exception_fp_ieee_div_zero 0
		.amdhsa_exception_fp_ieee_overflow 0
		.amdhsa_exception_fp_ieee_underflow 0
		.amdhsa_exception_fp_ieee_inexact 0
		.amdhsa_exception_int_div_zero 0
	.end_amdhsa_kernel
	.section	.text._ZN2at6native12_GLOBAL__N_143distribution_elementwise_grid_stride_kernelImLi2EZZZNS0_9templates4cuda13random_kernelIPNS_17CUDAGeneratorImplEEEvRNS_18TensorIteratorBaseET_ENKUlvE_clEvENKUlvE0_clEvEUlP25hiprandStatePhilox4_32_10E_ZNS1_27distribution_nullary_kernelIam15HIP_vector_typeIyLj2EES7_SF_ZZZNS5_IS7_EEvS9_SA_ENKSB_clEvENKSC_clEvEUlmE_EEvS9_T2_RKT3_T4_EUlimE0_EEvlNS_15PhiloxCudaStateET1_SK_,"axG",@progbits,_ZN2at6native12_GLOBAL__N_143distribution_elementwise_grid_stride_kernelImLi2EZZZNS0_9templates4cuda13random_kernelIPNS_17CUDAGeneratorImplEEEvRNS_18TensorIteratorBaseET_ENKUlvE_clEvENKUlvE0_clEvEUlP25hiprandStatePhilox4_32_10E_ZNS1_27distribution_nullary_kernelIam15HIP_vector_typeIyLj2EES7_SF_ZZZNS5_IS7_EEvS9_SA_ENKSB_clEvENKSC_clEvEUlmE_EEvS9_T2_RKT3_T4_EUlimE0_EEvlNS_15PhiloxCudaStateET1_SK_,comdat
.Lfunc_end73:
	.size	_ZN2at6native12_GLOBAL__N_143distribution_elementwise_grid_stride_kernelImLi2EZZZNS0_9templates4cuda13random_kernelIPNS_17CUDAGeneratorImplEEEvRNS_18TensorIteratorBaseET_ENKUlvE_clEvENKUlvE0_clEvEUlP25hiprandStatePhilox4_32_10E_ZNS1_27distribution_nullary_kernelIam15HIP_vector_typeIyLj2EES7_SF_ZZZNS5_IS7_EEvS9_SA_ENKSB_clEvENKSC_clEvEUlmE_EEvS9_T2_RKT3_T4_EUlimE0_EEvlNS_15PhiloxCudaStateET1_SK_, .Lfunc_end73-_ZN2at6native12_GLOBAL__N_143distribution_elementwise_grid_stride_kernelImLi2EZZZNS0_9templates4cuda13random_kernelIPNS_17CUDAGeneratorImplEEEvRNS_18TensorIteratorBaseET_ENKUlvE_clEvENKUlvE0_clEvEUlP25hiprandStatePhilox4_32_10E_ZNS1_27distribution_nullary_kernelIam15HIP_vector_typeIyLj2EES7_SF_ZZZNS5_IS7_EEvS9_SA_ENKSB_clEvENKSC_clEvEUlmE_EEvS9_T2_RKT3_T4_EUlimE0_EEvlNS_15PhiloxCudaStateET1_SK_
                                        ; -- End function
	.section	.AMDGPU.csdata,"",@progbits
; Kernel info:
; codeLenInByte = 3792
; NumSgprs: 54
; NumVgprs: 41
; ScratchSize: 0
; MemoryBound: 0
; FloatMode: 240
; IeeeMode: 1
; LDSByteSize: 0 bytes/workgroup (compile time only)
; SGPRBlocks: 6
; VGPRBlocks: 5
; NumSGPRsForWavesPerEU: 54
; NumVGPRsForWavesPerEU: 41
; Occupancy: 16
; WaveLimiterHint : 1
; COMPUTE_PGM_RSRC2:SCRATCH_EN: 0
; COMPUTE_PGM_RSRC2:USER_SGPR: 15
; COMPUTE_PGM_RSRC2:TRAP_HANDLER: 0
; COMPUTE_PGM_RSRC2:TGID_X_EN: 1
; COMPUTE_PGM_RSRC2:TGID_Y_EN: 0
; COMPUTE_PGM_RSRC2:TGID_Z_EN: 0
; COMPUTE_PGM_RSRC2:TIDIG_COMP_CNT: 0
	.section	.text._ZN2at6native12_GLOBAL__N_143distribution_elementwise_grid_stride_kernelIjLi4EZZZNS0_9templates4cuda13random_kernelIPNS_17CUDAGeneratorImplEEEvRNS_18TensorIteratorBaseET_ENKUlvE_clEvENKUlvE0_clEvEUlP25hiprandStatePhilox4_32_10E0_ZNS1_27distribution_nullary_kernelIaj15HIP_vector_typeIjLj4EES7_SF_ZZZNS5_IS7_EEvS9_SA_ENKSB_clEvENKSC_clEvEUljE_EEvS9_T2_RKT3_T4_EUlijE_EEvlNS_15PhiloxCudaStateET1_SK_,"axG",@progbits,_ZN2at6native12_GLOBAL__N_143distribution_elementwise_grid_stride_kernelIjLi4EZZZNS0_9templates4cuda13random_kernelIPNS_17CUDAGeneratorImplEEEvRNS_18TensorIteratorBaseET_ENKUlvE_clEvENKUlvE0_clEvEUlP25hiprandStatePhilox4_32_10E0_ZNS1_27distribution_nullary_kernelIaj15HIP_vector_typeIjLj4EES7_SF_ZZZNS5_IS7_EEvS9_SA_ENKSB_clEvENKSC_clEvEUljE_EEvS9_T2_RKT3_T4_EUlijE_EEvlNS_15PhiloxCudaStateET1_SK_,comdat
	.globl	_ZN2at6native12_GLOBAL__N_143distribution_elementwise_grid_stride_kernelIjLi4EZZZNS0_9templates4cuda13random_kernelIPNS_17CUDAGeneratorImplEEEvRNS_18TensorIteratorBaseET_ENKUlvE_clEvENKUlvE0_clEvEUlP25hiprandStatePhilox4_32_10E0_ZNS1_27distribution_nullary_kernelIaj15HIP_vector_typeIjLj4EES7_SF_ZZZNS5_IS7_EEvS9_SA_ENKSB_clEvENKSC_clEvEUljE_EEvS9_T2_RKT3_T4_EUlijE_EEvlNS_15PhiloxCudaStateET1_SK_ ; -- Begin function _ZN2at6native12_GLOBAL__N_143distribution_elementwise_grid_stride_kernelIjLi4EZZZNS0_9templates4cuda13random_kernelIPNS_17CUDAGeneratorImplEEEvRNS_18TensorIteratorBaseET_ENKUlvE_clEvENKUlvE0_clEvEUlP25hiprandStatePhilox4_32_10E0_ZNS1_27distribution_nullary_kernelIaj15HIP_vector_typeIjLj4EES7_SF_ZZZNS5_IS7_EEvS9_SA_ENKSB_clEvENKSC_clEvEUljE_EEvS9_T2_RKT3_T4_EUlijE_EEvlNS_15PhiloxCudaStateET1_SK_
	.p2align	8
	.type	_ZN2at6native12_GLOBAL__N_143distribution_elementwise_grid_stride_kernelIjLi4EZZZNS0_9templates4cuda13random_kernelIPNS_17CUDAGeneratorImplEEEvRNS_18TensorIteratorBaseET_ENKUlvE_clEvENKUlvE0_clEvEUlP25hiprandStatePhilox4_32_10E0_ZNS1_27distribution_nullary_kernelIaj15HIP_vector_typeIjLj4EES7_SF_ZZZNS5_IS7_EEvS9_SA_ENKSB_clEvENKSC_clEvEUljE_EEvS9_T2_RKT3_T4_EUlijE_EEvlNS_15PhiloxCudaStateET1_SK_,@function
_ZN2at6native12_GLOBAL__N_143distribution_elementwise_grid_stride_kernelIjLi4EZZZNS0_9templates4cuda13random_kernelIPNS_17CUDAGeneratorImplEEEvRNS_18TensorIteratorBaseET_ENKUlvE_clEvENKUlvE0_clEvEUlP25hiprandStatePhilox4_32_10E0_ZNS1_27distribution_nullary_kernelIaj15HIP_vector_typeIjLj4EES7_SF_ZZZNS5_IS7_EEvS9_SA_ENKSB_clEvENKSC_clEvEUljE_EEvS9_T2_RKT3_T4_EUlijE_EEvlNS_15PhiloxCudaStateET1_SK_: ; @_ZN2at6native12_GLOBAL__N_143distribution_elementwise_grid_stride_kernelIjLi4EZZZNS0_9templates4cuda13random_kernelIPNS_17CUDAGeneratorImplEEEvRNS_18TensorIteratorBaseET_ENKUlvE_clEvENKUlvE0_clEvEUlP25hiprandStatePhilox4_32_10E0_ZNS1_27distribution_nullary_kernelIaj15HIP_vector_typeIjLj4EES7_SF_ZZZNS5_IS7_EEvS9_SA_ENKSB_clEvENKSC_clEvEUljE_EEvS9_T2_RKT3_T4_EUlijE_EEvlNS_15PhiloxCudaStateET1_SK_
; %bb.0:
	s_clause 0x2
	s_load_b64 s[8:9], s[0:1], 0x10
	s_load_b128 s[4:7], s[0:1], 0x0
	s_load_b32 s2, s[0:1], 0x20
	s_waitcnt lgkmcnt(0)
	v_dual_mov_b32 v2, s8 :: v_dual_mov_b32 v3, s9
	v_dual_mov_b32 v12, s7 :: v_dual_mov_b32 v11, s6
	s_bitcmp0_b32 s2, 0
	s_mov_b32 s2, 0
	s_cbranch_scc1 .LBB74_2
; %bb.1:
	v_dual_mov_b32 v1, s8 :: v_dual_mov_b32 v2, s9
	v_dual_mov_b32 v4, s6 :: v_dual_mov_b32 v5, s7
	s_load_b64 s[6:7], s[0:1], 0x18
	flat_load_b64 v[2:3], v[1:2]
	flat_load_b64 v[11:12], v[4:5]
	s_waitcnt vmcnt(1) lgkmcnt(0)
	v_add_co_u32 v2, vcc_lo, v2, s6
	v_add_co_ci_u32_e32 v3, vcc_lo, s7, v3, vcc_lo
.LBB74_2:
	s_clause 0x1
	s_load_b32 s3, s[0:1], 0x4c
	s_load_b32 s11, s[0:1], 0x40
	s_waitcnt lgkmcnt(0)
	s_and_b32 s10, s3, 0xffff
	s_add_u32 s6, s4, -1
	s_mul_i32 s8, s11, s10
	s_addc_u32 s3, s5, -1
	s_lshl_b32 s9, s8, 2
	s_cmp_lg_u64 s[2:3], 0
	s_cbranch_scc0 .LBB74_27
; %bb.3:
	v_cvt_f32_ubyte0_e32 v1, 0
	v_cvt_f32_u32_e32 v4, s9
	s_sub_u32 s12, 0, s9
	s_subb_u32 s13, 0, 0
	s_delay_alu instid0(VALU_DEP_1) | instskip(NEXT) | instid1(VALU_DEP_1)
	v_fmamk_f32 v1, v1, 0x4f800000, v4
	v_rcp_f32_e32 v1, v1
	s_waitcnt_depctr 0xfff
	v_mul_f32_e32 v1, 0x5f7ffffc, v1
	s_delay_alu instid0(VALU_DEP_1) | instskip(NEXT) | instid1(VALU_DEP_1)
	v_mul_f32_e32 v4, 0x2f800000, v1
	v_trunc_f32_e32 v4, v4
	s_delay_alu instid0(VALU_DEP_1) | instskip(SKIP_1) | instid1(VALU_DEP_2)
	v_fmamk_f32 v1, v4, 0xcf800000, v1
	v_cvt_u32_f32_e32 v4, v4
	v_cvt_u32_f32_e32 v1, v1
	s_delay_alu instid0(VALU_DEP_2) | instskip(NEXT) | instid1(VALU_DEP_2)
	v_readfirstlane_b32 s2, v4
	v_readfirstlane_b32 s7, v1
	s_delay_alu instid0(VALU_DEP_2) | instskip(NEXT) | instid1(VALU_DEP_1)
	s_mul_i32 s14, s12, s2
	s_mul_hi_u32 s17, s12, s7
	s_mul_i32 s16, s13, s7
	s_add_i32 s14, s17, s14
	s_mul_i32 s18, s12, s7
	s_add_i32 s14, s14, s16
	s_mul_hi_u32 s17, s7, s18
	s_mul_hi_u32 s19, s2, s18
	s_mul_i32 s16, s2, s18
	s_mul_hi_u32 s18, s7, s14
	s_mul_i32 s7, s7, s14
	s_mul_hi_u32 s20, s2, s14
	s_add_u32 s7, s17, s7
	s_addc_u32 s17, 0, s18
	s_add_u32 s7, s7, s16
	s_mul_i32 s14, s2, s14
	s_addc_u32 s7, s17, s19
	s_addc_u32 s16, s20, 0
	s_add_u32 s7, s7, s14
	s_addc_u32 s14, 0, s16
	v_add_co_u32 v1, s7, v1, s7
	s_delay_alu instid0(VALU_DEP_1) | instskip(SKIP_1) | instid1(VALU_DEP_1)
	s_cmp_lg_u32 s7, 0
	s_addc_u32 s2, s2, s14
	v_readfirstlane_b32 s7, v1
	s_mul_i32 s14, s12, s2
	s_delay_alu instid0(VALU_DEP_1)
	s_mul_hi_u32 s16, s12, s7
	s_mul_i32 s13, s13, s7
	s_add_i32 s14, s16, s14
	s_mul_i32 s12, s12, s7
	s_add_i32 s14, s14, s13
	s_mul_hi_u32 s16, s2, s12
	s_mul_i32 s17, s2, s12
	s_mul_hi_u32 s12, s7, s12
	s_mul_hi_u32 s18, s7, s14
	s_mul_i32 s7, s7, s14
	s_mul_hi_u32 s13, s2, s14
	s_add_u32 s7, s12, s7
	s_addc_u32 s12, 0, s18
	s_add_u32 s7, s7, s17
	s_mul_i32 s14, s2, s14
	s_addc_u32 s7, s12, s16
	s_addc_u32 s12, s13, 0
	s_add_u32 s7, s7, s14
	s_addc_u32 s12, 0, s12
	v_add_co_u32 v1, s7, v1, s7
	s_delay_alu instid0(VALU_DEP_1) | instskip(SKIP_2) | instid1(VALU_DEP_1)
	s_cmp_lg_u32 s7, 0
	s_addc_u32 s7, s2, s12
	s_ashr_i32 s12, s3, 31
	v_readfirstlane_b32 s14, v1
	s_add_u32 s2, s6, s12
	s_mov_b32 s13, s12
	s_addc_u32 s3, s3, s12
	s_delay_alu instid0(SALU_CYCLE_1) | instskip(NEXT) | instid1(SALU_CYCLE_1)
	s_xor_b64 s[2:3], s[2:3], s[12:13]
	s_mul_i32 s17, s2, s7
	s_mul_hi_u32 s18, s2, s14
	s_mul_hi_u32 s16, s2, s7
	;; [unrolled: 1-line block ×3, first 2 shown]
	s_mul_i32 s14, s3, s14
	s_add_u32 s17, s18, s17
	s_addc_u32 s16, 0, s16
	s_mul_hi_u32 s19, s3, s7
	s_add_u32 s14, s17, s14
	s_mul_i32 s7, s3, s7
	s_addc_u32 s14, s16, s20
	s_addc_u32 s16, s19, 0
	s_add_u32 s7, s14, s7
	s_addc_u32 s14, 0, s16
	s_mul_i32 s17, s9, s7
	s_add_u32 s16, s7, 1
	v_sub_co_u32 v1, s2, s2, s17
	s_mul_hi_u32 s17, s9, s7
	s_addc_u32 s18, s14, 0
	s_mul_i32 s19, s9, s14
	s_delay_alu instid0(VALU_DEP_1)
	v_sub_co_u32 v4, s20, v1, s9
	s_add_u32 s21, s7, 2
	s_addc_u32 s22, s14, 0
	s_add_i32 s17, s17, s19
	s_cmp_lg_u32 s2, 0
	v_readfirstlane_b32 s2, v4
	s_subb_u32 s3, s3, s17
	s_cmp_lg_u32 s20, 0
	s_subb_u32 s17, s3, 0
	s_delay_alu instid0(VALU_DEP_1) | instskip(SKIP_4) | instid1(SALU_CYCLE_1)
	s_cmp_ge_u32 s2, s9
	s_cselect_b32 s2, -1, 0
	s_cmp_eq_u32 s17, 0
	v_readfirstlane_b32 s17, v1
	s_cselect_b32 s2, s2, -1
	s_cmp_lg_u32 s2, 0
	s_cselect_b32 s2, s21, s16
	s_cselect_b32 s16, s22, s18
	s_cmp_ge_u32 s17, s9
	s_cselect_b32 s17, -1, 0
	s_cmp_eq_u32 s3, 0
	s_cselect_b32 s3, s17, -1
	s_delay_alu instid0(SALU_CYCLE_1) | instskip(SKIP_2) | instid1(SALU_CYCLE_1)
	s_cmp_lg_u32 s3, 0
	s_cselect_b32 s3, s16, s14
	s_cselect_b32 s2, s2, s7
	s_xor_b64 s[2:3], s[2:3], s[12:13]
	s_delay_alu instid0(SALU_CYCLE_1)
	s_sub_u32 s2, s2, s12
	s_subb_u32 s3, s3, s12
	s_cbranch_execnz .LBB74_5
.LBB74_4:
	v_cvt_f32_u32_e32 v1, s9
	s_sub_i32 s3, 0, s9
	s_delay_alu instid0(VALU_DEP_1) | instskip(SKIP_2) | instid1(VALU_DEP_1)
	v_rcp_iflag_f32_e32 v1, v1
	s_waitcnt_depctr 0xfff
	v_mul_f32_e32 v1, 0x4f7ffffe, v1
	v_cvt_u32_f32_e32 v1, v1
	s_delay_alu instid0(VALU_DEP_1) | instskip(NEXT) | instid1(VALU_DEP_1)
	v_readfirstlane_b32 s2, v1
	s_mul_i32 s3, s3, s2
	s_delay_alu instid0(SALU_CYCLE_1) | instskip(NEXT) | instid1(SALU_CYCLE_1)
	s_mul_hi_u32 s3, s2, s3
	s_add_i32 s2, s2, s3
	s_delay_alu instid0(SALU_CYCLE_1) | instskip(NEXT) | instid1(SALU_CYCLE_1)
	s_mul_hi_u32 s2, s6, s2
	s_mul_i32 s3, s2, s9
	s_delay_alu instid0(SALU_CYCLE_1)
	s_sub_i32 s3, s6, s3
	s_add_i32 s6, s2, 1
	s_sub_i32 s7, s3, s9
	s_cmp_ge_u32 s3, s9
	s_cselect_b32 s2, s6, s2
	s_cselect_b32 s3, s7, s3
	s_add_i32 s6, s2, 1
	s_cmp_ge_u32 s3, s9
	s_mov_b32 s3, 0
	s_cselect_b32 s2, s6, s2
.LBB74_5:
	v_mov_b32_e32 v1, 0
	s_add_u32 s2, s2, 1
	s_addc_u32 s3, s3, 0
	s_mul_hi_u32 s6, s8, s2
	s_mul_i32 s3, s8, s3
	v_mad_u64_u32 v[13:14], null, s10, s15, v[0:1]
	s_mul_hi_u32 s7, s11, s10
	s_add_i32 s3, s6, s3
	s_mul_i32 s7, s7, s2
	s_mul_i32 s2, s8, s2
	s_add_i32 s3, s3, s7
	s_mov_b32 s6, exec_lo
	s_lshl_b64 s[2:3], s[2:3], 2
	s_delay_alu instid0(SALU_CYCLE_1)
	v_cmpx_gt_i64_e64 s[2:3], v[13:14]
	s_cbranch_execz .LBB74_26
; %bb.6:
	v_alignbit_b32 v17, v3, v2, 2
	v_mad_u64_u32 v[6:7], null, 0xcd9e8d57, v13, 0
	v_lshrrev_b32_e32 v18, 2, v3
	s_waitcnt vmcnt(0)
	v_dual_mov_b32 v15, v12 :: v_dual_add_nc_u32 v30, 0x8ff34781, v11
	v_mad_u64_u32 v[4:5], null, 0xd2511f53, v17, 0
	v_add_co_u32 v20, null, 0x9e3779b9, v11
	v_xor3_b32 v3, v11, v7, v18
	s_delay_alu instid0(VALU_DEP_4) | instskip(SKIP_2) | instid1(VALU_DEP_4)
	v_add_co_u32 v19, null, 0xbb67ae85, v15
	v_add_co_u32 v21, null, 0x3c6ef372, v11
	v_xor_b32_e32 v1, v5, v12
	v_mad_u64_u32 v[7:8], null, 0xd2511f53, v3, 0
	v_add_co_u32 v22, null, 0x76cf5d0a, v15
	s_delay_alu instid0(VALU_DEP_3) | instskip(SKIP_2) | instid1(VALU_DEP_3)
	v_xor_b32_e32 v1, v1, v14
	v_add_co_u32 v23, null, 0x32370b8f, v15
	v_add_co_u32 v24, null, 0xdaa66d2b, v11
	v_mad_u64_u32 v[9:10], null, 0xcd9e8d57, v1, 0
	v_xor3_b32 v1, v19, v8, v4
	v_add_co_u32 v25, null, 0x78dde6e4, v11
	v_add_co_u32 v26, null, 0xed9eba14, v15
	s_delay_alu instid0(VALU_DEP_3) | instskip(SKIP_3) | instid1(VALU_DEP_3)
	v_mad_u64_u32 v[3:4], null, 0xcd9e8d57, v1, 0
	v_xor3_b32 v8, v20, v10, v6
	v_add_co_u32 v27, null, 0xa9066899, v15
	v_add_co_u32 v28, null, 0x1715609d, v11
	v_mad_u64_u32 v[5:6], null, 0xd2511f53, v8, 0
	v_xor3_b32 v1, v21, v4, v9
	v_and_b32_e32 v29, 3, v2
	v_add_co_u32 v33, null, 0xb54cda56, v11
	v_add_co_u32 v34, null, 0x646e171e, v15
	v_xor3_b32 v4, v22, v6, v7
	v_mad_u64_u32 v[6:7], null, 0xd2511f53, v1, 0
	v_add_co_u32 v36, null, 0x1fd5c5a3, v15
	s_delay_alu instid0(VALU_DEP_3) | instskip(SKIP_1) | instid1(VALU_DEP_4)
	v_mad_u64_u32 v[8:9], null, 0xcd9e8d57, v4, 0
	v_add_co_u32 v32, null, 0x5384540f, v11
	v_xor3_b32 v1, v23, v7, v5
	s_clause 0x1
	s_load_b64 s[6:7], s[0:1], 0x30
	s_load_b32 s12, s[0:1], 0x38
	v_add_co_u32 v35, null, 0xf1bbcdc8, v11
	s_delay_alu instid0(VALU_DEP_4) | instskip(SKIP_3) | instid1(VALU_DEP_2)
	v_xor3_b32 v5, v24, v9, v3
	v_mad_u64_u32 v[3:4], null, 0xcd9e8d57, v1, 0
	s_mul_i32 s13, s11, 3
	s_add_i32 s16, s15, s11
	v_mad_u64_u32 v[9:10], null, 0xd2511f53, v5, 0
	s_add_i32 s13, s15, s13
	v_add_co_u32 v38, null, 0xdb3d7428, v15
	s_delay_alu instid0(VALU_DEP_3) | instskip(SKIP_2) | instid1(VALU_DEP_4)
	v_xor3_b32 v1, v25, v4, v8
	s_lshl_b32 s14, s11, 1
	v_add_nc_u32_e32 v31, 0x96a522ad, v12
	v_xor3_b32 v8, v26, v10, v6
	v_mov_b32_e32 v37, v13
	v_mad_u64_u32 v[4:5], null, 0xd2511f53, v1, 0
	s_waitcnt lgkmcnt(0)
	s_mul_i32 s11, s11, s12
	v_mad_u64_u32 v[6:7], null, 0xcd9e8d57, v8, 0
	v_mov_b32_e32 v43, v14
	s_mul_i32 s11, s11, s10
	s_mov_b32 s0, 0
	s_delay_alu instid0(VALU_DEP_3) | instskip(SKIP_2) | instid1(VALU_DEP_3)
	v_xor3_b32 v5, v27, v5, v9
	s_lshl_b32 s1, s8, 1
	s_lshl_b32 s11, s11, 2
	v_xor3_b32 v3, v28, v7, v3
	s_delay_alu instid0(VALU_DEP_2) | instskip(NEXT) | instid1(VALU_DEP_2)
	v_mad_u64_u32 v[1:2], null, 0xcd9e8d57, v5, 0
	v_mad_u64_u32 v[7:8], null, 0xd2511f53, v3, 0
	s_delay_alu instid0(VALU_DEP_2) | instskip(NEXT) | instid1(VALU_DEP_2)
	v_xor3_b32 v2, v33, v2, v6
	v_xor3_b32 v6, v34, v8, v4
	s_delay_alu instid0(VALU_DEP_4) | instskip(NEXT) | instid1(VALU_DEP_3)
	v_mad_u64_u32 v[3:4], null, s15, s10, v[0:1]
	v_mad_u64_u32 v[4:5], null, 0xd2511f53, v2, 0
	s_delay_alu instid0(VALU_DEP_3) | instskip(SKIP_1) | instid1(VALU_DEP_3)
	v_mad_u64_u32 v[8:9], null, 0xcd9e8d57, v6, 0
	s_add_i32 s15, s15, s14
	v_mul_lo_u32 v39, s12, v3
	s_delay_alu instid0(VALU_DEP_3) | instskip(NEXT) | instid1(VALU_DEP_3)
	v_xor3_b32 v2, v36, v5, v7
	v_xor3_b32 v1, v32, v9, v1
	s_delay_alu instid0(VALU_DEP_2) | instskip(NEXT) | instid1(VALU_DEP_2)
	v_mad_u64_u32 v[5:6], null, 0xcd9e8d57, v2, 0
	v_mad_u64_u32 v[9:10], null, 0xd2511f53, v1, 0
	;; [unrolled: 1-line block ×4, first 2 shown]
	s_delay_alu instid0(VALU_DEP_4) | instskip(NEXT) | instid1(VALU_DEP_4)
	v_xor3_b32 v1, v35, v6, v8
	v_xor3_b32 v4, v38, v10, v4
	s_delay_alu instid0(VALU_DEP_4) | instskip(NEXT) | instid1(VALU_DEP_3)
	v_mul_lo_u32 v42, s12, v15
	v_mad_u64_u32 v[6:7], null, s15, s10, v[0:1]
	v_mad_u64_u32 v[7:8], null, 0xd2511f53, v1, 0
	s_delay_alu instid0(VALU_DEP_4) | instskip(SKIP_2) | instid1(VALU_DEP_4)
	v_mad_u64_u32 v[1:2], null, 0xcd9e8d57, v4, 0
	v_mul_lo_u32 v40, s12, v40
	s_mul_i32 s10, s8, 3
	v_mul_lo_u32 v41, s12, v6
	s_mov_b32 s12, 0
	s_delay_alu instid0(VALU_DEP_4) | instskip(NEXT) | instid1(VALU_DEP_4)
	v_mov_b32_e32 v3, v7
	v_xor3_b32 v0, v2, v5, v30
	v_xor3_b32 v2, v8, v9, v31
	s_branch .LBB74_8
.LBB74_7:                               ;   in Loop: Header=BB74_8 Depth=1
	s_or_b32 exec_lo, exec_lo, s13
	v_add_co_u32 v13, vcc_lo, v13, s9
	v_add_co_ci_u32_e32 v14, vcc_lo, 0, v14, vcc_lo
	v_mov_b32_e32 v7, v15
	v_dual_mov_b32 v0, v4 :: v_dual_mov_b32 v1, v5
	s_delay_alu instid0(VALU_DEP_3) | instskip(NEXT) | instid1(VALU_DEP_3)
	v_cmp_le_i64_e32 vcc_lo, s[2:3], v[13:14]
	v_dual_mov_b32 v2, v6 :: v_dual_mov_b32 v3, v7
	s_add_i32 s12, s12, s11
	s_waitcnt_vscnt null, 0x0
	s_barrier
	s_or_b32 s0, vcc_lo, s0
	buffer_gl0_inv
	s_and_not1_b32 exec_lo, exec_lo, s0
	s_cbranch_execz .LBB74_26
.LBB74_8:                               ; =>This Inner Loop Header: Depth=1
	v_add_co_u32 v17, vcc_lo, v17, 1
	s_delay_alu instid0(VALU_DEP_1) | instskip(SKIP_2) | instid1(VALU_DEP_1)
	v_cndmask_b32_e64 v4, 0, 1, vcc_lo
	v_add_co_ci_u32_e32 v18, vcc_lo, 0, v18, vcc_lo
	s_mov_b32 s13, exec_lo
	v_cmp_eq_u32_e32 vcc_lo, 0, v18
	s_delay_alu instid0(VALU_DEP_3) | instskip(NEXT) | instid1(VALU_DEP_1)
	v_cndmask_b32_e32 v4, 0, v4, vcc_lo
	v_add_nc_u32_e32 v37, v4, v37
	s_delay_alu instid0(VALU_DEP_1) | instskip(SKIP_2) | instid1(VALU_DEP_2)
	v_cmp_eq_u32_e32 vcc_lo, 0, v37
	v_cndmask_b32_e32 v4, 0, v4, vcc_lo
	v_mad_u64_u32 v[6:7], null, 0xcd9e8d57, v37, 0
	v_add_nc_u32_e32 v43, v4, v43
	v_mad_u64_u32 v[4:5], null, 0xd2511f53, v17, 0
	s_delay_alu instid0(VALU_DEP_3) | instskip(NEXT) | instid1(VALU_DEP_2)
	v_xor3_b32 v9, v7, v11, v18
	v_xor_b32_e32 v5, v5, v12
	s_delay_alu instid0(VALU_DEP_2) | instskip(NEXT) | instid1(VALU_DEP_2)
	v_mad_u64_u32 v[7:8], null, 0xd2511f53, v9, 0
	v_xor_b32_e32 v5, v43, v5
	s_delay_alu instid0(VALU_DEP_2) | instskip(NEXT) | instid1(VALU_DEP_2)
	v_xor3_b32 v8, v19, v8, v4
	v_mad_u64_u32 v[9:10], null, 0xcd9e8d57, v5, 0
	s_delay_alu instid0(VALU_DEP_2) | instskip(NEXT) | instid1(VALU_DEP_2)
	v_mad_u64_u32 v[4:5], null, 0xcd9e8d57, v8, 0
	v_xor3_b32 v6, v20, v10, v6
	s_delay_alu instid0(VALU_DEP_2) | instskip(NEXT) | instid1(VALU_DEP_2)
	v_xor3_b32 v8, v21, v5, v9
	v_mad_u64_u32 v[15:16], null, 0xd2511f53, v6, 0
	s_delay_alu instid0(VALU_DEP_2) | instskip(NEXT) | instid1(VALU_DEP_2)
	v_mad_u64_u32 v[5:6], null, 0xd2511f53, v8, 0
	v_xor3_b32 v9, v22, v16, v7
	s_delay_alu instid0(VALU_DEP_2) | instskip(NEXT) | instid1(VALU_DEP_2)
	v_xor3_b32 v6, v23, v6, v15
	v_mad_u64_u32 v[7:8], null, 0xcd9e8d57, v9, 0
	s_delay_alu instid0(VALU_DEP_1) | instskip(NEXT) | instid1(VALU_DEP_3)
	v_xor3_b32 v4, v24, v8, v4
	v_mad_u64_u32 v[8:9], null, 0xcd9e8d57, v6, 0
	s_delay_alu instid0(VALU_DEP_2) | instskip(NEXT) | instid1(VALU_DEP_2)
	v_mad_u64_u32 v[15:16], null, 0xd2511f53, v4, 0
	v_xor3_b32 v6, v25, v9, v7
	s_delay_alu instid0(VALU_DEP_2) | instskip(NEXT) | instid1(VALU_DEP_2)
	v_xor3_b32 v9, v26, v16, v5
	v_mad_u64_u32 v[4:5], null, 0xd2511f53, v6, 0
	s_delay_alu instid0(VALU_DEP_2) | instskip(NEXT) | instid1(VALU_DEP_2)
	v_mad_u64_u32 v[6:7], null, 0xcd9e8d57, v9, 0
	v_xor3_b32 v5, v27, v5, v15
	s_delay_alu instid0(VALU_DEP_2) | instskip(NEXT) | instid1(VALU_DEP_2)
	;; [unrolled: 6-line block ×6, first 2 shown]
	v_xor3_b32 v4, v6, v7, v30
	v_mov_b32_e32 v6, v10
	v_cmpx_lt_i32_e32 1, v29
	s_xor_b32 s13, exec_lo, s13
	s_cbranch_execnz .LBB74_18
; %bb.9:                                ;   in Loop: Header=BB74_8 Depth=1
	s_and_not1_saveexec_b32 s13, s13
	s_cbranch_execnz .LBB74_23
.LBB74_10:                              ;   in Loop: Header=BB74_8 Depth=1
	s_or_b32 exec_lo, exec_lo, s13
	s_delay_alu instid0(SALU_CYCLE_1)
	s_mov_b32 s13, exec_lo
	v_cmpx_gt_i64_e64 s[4:5], v[13:14]
	s_cbranch_execz .LBB74_12
.LBB74_11:                              ;   in Loop: Header=BB74_8 Depth=1
	v_add_nc_u32_e32 v7, s12, v39
	v_and_b32_e32 v0, 0x7f, v0
	s_delay_alu instid0(VALU_DEP_2) | instskip(SKIP_1) | instid1(VALU_DEP_2)
	v_ashrrev_i32_e32 v8, 31, v7
	v_add_co_u32 v7, vcc_lo, s6, v7
	v_add_co_ci_u32_e32 v8, vcc_lo, s7, v8, vcc_lo
	global_store_b8 v[7:8], v0, off
.LBB74_12:                              ;   in Loop: Header=BB74_8 Depth=1
	s_or_b32 exec_lo, exec_lo, s13
	v_add_co_u32 v7, vcc_lo, s8, v13
	v_add_co_ci_u32_e32 v8, vcc_lo, 0, v14, vcc_lo
	s_mov_b32 s13, exec_lo
	s_delay_alu instid0(VALU_DEP_1)
	v_cmpx_gt_i64_e64 s[4:5], v[7:8]
	s_cbranch_execz .LBB74_14
; %bb.13:                               ;   in Loop: Header=BB74_8 Depth=1
	v_add_nc_u32_e32 v0, s12, v42
	s_delay_alu instid0(VALU_DEP_1) | instskip(SKIP_2) | instid1(VALU_DEP_3)
	v_ashrrev_i32_e32 v8, 31, v0
	v_add_co_u32 v7, vcc_lo, s6, v0
	v_and_b32_e32 v0, 0x7f, v1
	v_add_co_ci_u32_e32 v8, vcc_lo, s7, v8, vcc_lo
	global_store_b8 v[7:8], v0, off
.LBB74_14:                              ;   in Loop: Header=BB74_8 Depth=1
	s_or_b32 exec_lo, exec_lo, s13
	v_add_co_u32 v0, vcc_lo, s1, v13
	v_add_co_ci_u32_e32 v1, vcc_lo, 0, v14, vcc_lo
	s_mov_b32 s13, exec_lo
	s_delay_alu instid0(VALU_DEP_1)
	v_cmpx_gt_i64_e64 s[4:5], v[0:1]
	s_cbranch_execz .LBB74_16
; %bb.15:                               ;   in Loop: Header=BB74_8 Depth=1
	v_add_nc_u32_e32 v0, s12, v41
	v_and_b32_e32 v2, 0x7f, v2
	s_delay_alu instid0(VALU_DEP_2) | instskip(SKIP_1) | instid1(VALU_DEP_2)
	v_ashrrev_i32_e32 v1, 31, v0
	v_add_co_u32 v0, vcc_lo, s6, v0
	v_add_co_ci_u32_e32 v1, vcc_lo, s7, v1, vcc_lo
	global_store_b8 v[0:1], v2, off
.LBB74_16:                              ;   in Loop: Header=BB74_8 Depth=1
	s_or_b32 exec_lo, exec_lo, s13
	v_add_co_u32 v0, vcc_lo, s10, v13
	v_add_co_ci_u32_e32 v1, vcc_lo, 0, v14, vcc_lo
	s_mov_b32 s13, exec_lo
	s_delay_alu instid0(VALU_DEP_1)
	v_cmpx_gt_i64_e64 s[4:5], v[0:1]
	s_cbranch_execz .LBB74_7
; %bb.17:                               ;   in Loop: Header=BB74_8 Depth=1
	v_add_nc_u32_e32 v0, s12, v40
	v_and_b32_e32 v2, 0x7f, v3
	s_delay_alu instid0(VALU_DEP_2) | instskip(SKIP_1) | instid1(VALU_DEP_2)
	v_ashrrev_i32_e32 v1, 31, v0
	v_add_co_u32 v0, vcc_lo, s6, v0
	v_add_co_ci_u32_e32 v1, vcc_lo, s7, v1, vcc_lo
	global_store_b8 v[0:1], v2, off
	s_branch .LBB74_7
.LBB74_18:                              ;   in Loop: Header=BB74_8 Depth=1
	s_mov_b32 s14, exec_lo
	v_cmpx_lt_i32_e32 2, v29
	s_xor_b32 s14, exec_lo, s14
; %bb.19:                               ;   in Loop: Header=BB74_8 Depth=1
	v_dual_mov_b32 v7, v3 :: v_dual_mov_b32 v8, v4
	v_mov_b32_e32 v9, v5
	s_delay_alu instid0(VALU_DEP_2) | instskip(NEXT) | instid1(VALU_DEP_2)
	v_dual_mov_b32 v0, v7 :: v_dual_mov_b32 v1, v8
	v_dual_mov_b32 v2, v9 :: v_dual_mov_b32 v3, v10
; %bb.20:                               ;   in Loop: Header=BB74_8 Depth=1
	s_and_not1_saveexec_b32 s14, s14
; %bb.21:                               ;   in Loop: Header=BB74_8 Depth=1
	s_delay_alu instid0(VALU_DEP_1)
	v_dual_mov_b32 v0, v2 :: v_dual_mov_b32 v1, v3
	v_dual_mov_b32 v2, v4 :: v_dual_mov_b32 v3, v5
; %bb.22:                               ;   in Loop: Header=BB74_8 Depth=1
	s_or_b32 exec_lo, exec_lo, s14
	s_and_not1_saveexec_b32 s13, s13
	s_cbranch_execz .LBB74_10
.LBB74_23:                              ;   in Loop: Header=BB74_8 Depth=1
	s_mov_b32 s14, exec_lo
	v_cmpx_eq_u32_e32 1, v29
; %bb.24:                               ;   in Loop: Header=BB74_8 Depth=1
	v_dual_mov_b32 v0, v1 :: v_dual_mov_b32 v1, v2
	v_dual_mov_b32 v2, v3 :: v_dual_mov_b32 v3, v4
; %bb.25:                               ;   in Loop: Header=BB74_8 Depth=1
	s_or_b32 exec_lo, exec_lo, s14
	s_delay_alu instid0(SALU_CYCLE_1) | instskip(NEXT) | instid1(SALU_CYCLE_1)
	s_or_b32 exec_lo, exec_lo, s13
	s_mov_b32 s13, exec_lo
	v_cmpx_gt_i64_e64 s[4:5], v[13:14]
	s_cbranch_execnz .LBB74_11
	s_branch .LBB74_12
.LBB74_26:
	s_endpgm
.LBB74_27:
                                        ; implicit-def: $sgpr2_sgpr3
	s_branch .LBB74_4
	.section	.rodata,"a",@progbits
	.p2align	6, 0x0
	.amdhsa_kernel _ZN2at6native12_GLOBAL__N_143distribution_elementwise_grid_stride_kernelIjLi4EZZZNS0_9templates4cuda13random_kernelIPNS_17CUDAGeneratorImplEEEvRNS_18TensorIteratorBaseET_ENKUlvE_clEvENKUlvE0_clEvEUlP25hiprandStatePhilox4_32_10E0_ZNS1_27distribution_nullary_kernelIaj15HIP_vector_typeIjLj4EES7_SF_ZZZNS5_IS7_EEvS9_SA_ENKSB_clEvENKSC_clEvEUljE_EEvS9_T2_RKT3_T4_EUlijE_EEvlNS_15PhiloxCudaStateET1_SK_
		.amdhsa_group_segment_fixed_size 0
		.amdhsa_private_segment_fixed_size 0
		.amdhsa_kernarg_size 320
		.amdhsa_user_sgpr_count 15
		.amdhsa_user_sgpr_dispatch_ptr 0
		.amdhsa_user_sgpr_queue_ptr 0
		.amdhsa_user_sgpr_kernarg_segment_ptr 1
		.amdhsa_user_sgpr_dispatch_id 0
		.amdhsa_user_sgpr_private_segment_size 0
		.amdhsa_wavefront_size32 1
		.amdhsa_uses_dynamic_stack 0
		.amdhsa_enable_private_segment 0
		.amdhsa_system_sgpr_workgroup_id_x 1
		.amdhsa_system_sgpr_workgroup_id_y 0
		.amdhsa_system_sgpr_workgroup_id_z 0
		.amdhsa_system_sgpr_workgroup_info 0
		.amdhsa_system_vgpr_workitem_id 0
		.amdhsa_next_free_vgpr 44
		.amdhsa_next_free_sgpr 23
		.amdhsa_reserve_vcc 1
		.amdhsa_float_round_mode_32 0
		.amdhsa_float_round_mode_16_64 0
		.amdhsa_float_denorm_mode_32 3
		.amdhsa_float_denorm_mode_16_64 3
		.amdhsa_dx10_clamp 1
		.amdhsa_ieee_mode 1
		.amdhsa_fp16_overflow 0
		.amdhsa_workgroup_processor_mode 1
		.amdhsa_memory_ordered 1
		.amdhsa_forward_progress 0
		.amdhsa_shared_vgpr_count 0
		.amdhsa_exception_fp_ieee_invalid_op 0
		.amdhsa_exception_fp_denorm_src 0
		.amdhsa_exception_fp_ieee_div_zero 0
		.amdhsa_exception_fp_ieee_overflow 0
		.amdhsa_exception_fp_ieee_underflow 0
		.amdhsa_exception_fp_ieee_inexact 0
		.amdhsa_exception_int_div_zero 0
	.end_amdhsa_kernel
	.section	.text._ZN2at6native12_GLOBAL__N_143distribution_elementwise_grid_stride_kernelIjLi4EZZZNS0_9templates4cuda13random_kernelIPNS_17CUDAGeneratorImplEEEvRNS_18TensorIteratorBaseET_ENKUlvE_clEvENKUlvE0_clEvEUlP25hiprandStatePhilox4_32_10E0_ZNS1_27distribution_nullary_kernelIaj15HIP_vector_typeIjLj4EES7_SF_ZZZNS5_IS7_EEvS9_SA_ENKSB_clEvENKSC_clEvEUljE_EEvS9_T2_RKT3_T4_EUlijE_EEvlNS_15PhiloxCudaStateET1_SK_,"axG",@progbits,_ZN2at6native12_GLOBAL__N_143distribution_elementwise_grid_stride_kernelIjLi4EZZZNS0_9templates4cuda13random_kernelIPNS_17CUDAGeneratorImplEEEvRNS_18TensorIteratorBaseET_ENKUlvE_clEvENKUlvE0_clEvEUlP25hiprandStatePhilox4_32_10E0_ZNS1_27distribution_nullary_kernelIaj15HIP_vector_typeIjLj4EES7_SF_ZZZNS5_IS7_EEvS9_SA_ENKSB_clEvENKSC_clEvEUljE_EEvS9_T2_RKT3_T4_EUlijE_EEvlNS_15PhiloxCudaStateET1_SK_,comdat
.Lfunc_end74:
	.size	_ZN2at6native12_GLOBAL__N_143distribution_elementwise_grid_stride_kernelIjLi4EZZZNS0_9templates4cuda13random_kernelIPNS_17CUDAGeneratorImplEEEvRNS_18TensorIteratorBaseET_ENKUlvE_clEvENKUlvE0_clEvEUlP25hiprandStatePhilox4_32_10E0_ZNS1_27distribution_nullary_kernelIaj15HIP_vector_typeIjLj4EES7_SF_ZZZNS5_IS7_EEvS9_SA_ENKSB_clEvENKSC_clEvEUljE_EEvS9_T2_RKT3_T4_EUlijE_EEvlNS_15PhiloxCudaStateET1_SK_, .Lfunc_end74-_ZN2at6native12_GLOBAL__N_143distribution_elementwise_grid_stride_kernelIjLi4EZZZNS0_9templates4cuda13random_kernelIPNS_17CUDAGeneratorImplEEEvRNS_18TensorIteratorBaseET_ENKUlvE_clEvENKUlvE0_clEvEUlP25hiprandStatePhilox4_32_10E0_ZNS1_27distribution_nullary_kernelIaj15HIP_vector_typeIjLj4EES7_SF_ZZZNS5_IS7_EEvS9_SA_ENKSB_clEvENKSC_clEvEUljE_EEvS9_T2_RKT3_T4_EUlijE_EEvlNS_15PhiloxCudaStateET1_SK_
                                        ; -- End function
	.section	.AMDGPU.csdata,"",@progbits
; Kernel info:
; codeLenInByte = 2836
; NumSgprs: 25
; NumVgprs: 44
; ScratchSize: 0
; MemoryBound: 0
; FloatMode: 240
; IeeeMode: 1
; LDSByteSize: 0 bytes/workgroup (compile time only)
; SGPRBlocks: 3
; VGPRBlocks: 5
; NumSGPRsForWavesPerEU: 25
; NumVGPRsForWavesPerEU: 44
; Occupancy: 16
; WaveLimiterHint : 0
; COMPUTE_PGM_RSRC2:SCRATCH_EN: 0
; COMPUTE_PGM_RSRC2:USER_SGPR: 15
; COMPUTE_PGM_RSRC2:TRAP_HANDLER: 0
; COMPUTE_PGM_RSRC2:TGID_X_EN: 1
; COMPUTE_PGM_RSRC2:TGID_Y_EN: 0
; COMPUTE_PGM_RSRC2:TGID_Z_EN: 0
; COMPUTE_PGM_RSRC2:TIDIG_COMP_CNT: 0
	.section	.text._ZN2at6native12_GLOBAL__N_143distribution_elementwise_grid_stride_kernelIjLi4EZZZNS0_9templates4cuda13random_kernelIPNS_17CUDAGeneratorImplEEEvRNS_18TensorIteratorBaseET_ENKUlvE_clEvENKUlvE0_clEvEUlP25hiprandStatePhilox4_32_10E0_ZNS1_27distribution_nullary_kernelIaj15HIP_vector_typeIjLj4EES7_SF_ZZZNS5_IS7_EEvS9_SA_ENKSB_clEvENKSC_clEvEUljE_EEvS9_T2_RKT3_T4_EUlijE0_EEvlNS_15PhiloxCudaStateET1_SK_,"axG",@progbits,_ZN2at6native12_GLOBAL__N_143distribution_elementwise_grid_stride_kernelIjLi4EZZZNS0_9templates4cuda13random_kernelIPNS_17CUDAGeneratorImplEEEvRNS_18TensorIteratorBaseET_ENKUlvE_clEvENKUlvE0_clEvEUlP25hiprandStatePhilox4_32_10E0_ZNS1_27distribution_nullary_kernelIaj15HIP_vector_typeIjLj4EES7_SF_ZZZNS5_IS7_EEvS9_SA_ENKSB_clEvENKSC_clEvEUljE_EEvS9_T2_RKT3_T4_EUlijE0_EEvlNS_15PhiloxCudaStateET1_SK_,comdat
	.globl	_ZN2at6native12_GLOBAL__N_143distribution_elementwise_grid_stride_kernelIjLi4EZZZNS0_9templates4cuda13random_kernelIPNS_17CUDAGeneratorImplEEEvRNS_18TensorIteratorBaseET_ENKUlvE_clEvENKUlvE0_clEvEUlP25hiprandStatePhilox4_32_10E0_ZNS1_27distribution_nullary_kernelIaj15HIP_vector_typeIjLj4EES7_SF_ZZZNS5_IS7_EEvS9_SA_ENKSB_clEvENKSC_clEvEUljE_EEvS9_T2_RKT3_T4_EUlijE0_EEvlNS_15PhiloxCudaStateET1_SK_ ; -- Begin function _ZN2at6native12_GLOBAL__N_143distribution_elementwise_grid_stride_kernelIjLi4EZZZNS0_9templates4cuda13random_kernelIPNS_17CUDAGeneratorImplEEEvRNS_18TensorIteratorBaseET_ENKUlvE_clEvENKUlvE0_clEvEUlP25hiprandStatePhilox4_32_10E0_ZNS1_27distribution_nullary_kernelIaj15HIP_vector_typeIjLj4EES7_SF_ZZZNS5_IS7_EEvS9_SA_ENKSB_clEvENKSC_clEvEUljE_EEvS9_T2_RKT3_T4_EUlijE0_EEvlNS_15PhiloxCudaStateET1_SK_
	.p2align	8
	.type	_ZN2at6native12_GLOBAL__N_143distribution_elementwise_grid_stride_kernelIjLi4EZZZNS0_9templates4cuda13random_kernelIPNS_17CUDAGeneratorImplEEEvRNS_18TensorIteratorBaseET_ENKUlvE_clEvENKUlvE0_clEvEUlP25hiprandStatePhilox4_32_10E0_ZNS1_27distribution_nullary_kernelIaj15HIP_vector_typeIjLj4EES7_SF_ZZZNS5_IS7_EEvS9_SA_ENKSB_clEvENKSC_clEvEUljE_EEvS9_T2_RKT3_T4_EUlijE0_EEvlNS_15PhiloxCudaStateET1_SK_,@function
_ZN2at6native12_GLOBAL__N_143distribution_elementwise_grid_stride_kernelIjLi4EZZZNS0_9templates4cuda13random_kernelIPNS_17CUDAGeneratorImplEEEvRNS_18TensorIteratorBaseET_ENKUlvE_clEvENKUlvE0_clEvEUlP25hiprandStatePhilox4_32_10E0_ZNS1_27distribution_nullary_kernelIaj15HIP_vector_typeIjLj4EES7_SF_ZZZNS5_IS7_EEvS9_SA_ENKSB_clEvENKSC_clEvEUljE_EEvS9_T2_RKT3_T4_EUlijE0_EEvlNS_15PhiloxCudaStateET1_SK_: ; @_ZN2at6native12_GLOBAL__N_143distribution_elementwise_grid_stride_kernelIjLi4EZZZNS0_9templates4cuda13random_kernelIPNS_17CUDAGeneratorImplEEEvRNS_18TensorIteratorBaseET_ENKUlvE_clEvENKUlvE0_clEvEUlP25hiprandStatePhilox4_32_10E0_ZNS1_27distribution_nullary_kernelIaj15HIP_vector_typeIjLj4EES7_SF_ZZZNS5_IS7_EEvS9_SA_ENKSB_clEvENKSC_clEvEUljE_EEvS9_T2_RKT3_T4_EUlijE0_EEvlNS_15PhiloxCudaStateET1_SK_
; %bb.0:
	s_clause 0x2
	s_load_b64 s[4:5], s[0:1], 0x10
	s_load_b128 s[16:19], s[0:1], 0x0
	s_load_b32 s2, s[0:1], 0x20
	s_waitcnt lgkmcnt(0)
	v_dual_mov_b32 v2, s4 :: v_dual_mov_b32 v3, s5
	v_dual_mov_b32 v11, s18 :: v_dual_mov_b32 v12, s19
	s_bitcmp0_b32 s2, 0
	s_mov_b32 s2, 0
	s_cbranch_scc1 .LBB75_2
; %bb.1:
	v_dual_mov_b32 v1, s4 :: v_dual_mov_b32 v2, s5
	v_dual_mov_b32 v4, s18 :: v_dual_mov_b32 v5, s19
	s_load_b64 s[4:5], s[0:1], 0x18
	flat_load_b64 v[2:3], v[1:2]
	flat_load_b64 v[11:12], v[4:5]
	s_waitcnt vmcnt(1) lgkmcnt(0)
	v_add_co_u32 v2, vcc_lo, v2, s4
	v_add_co_ci_u32_e32 v3, vcc_lo, s5, v3, vcc_lo
.LBB75_2:
	s_clause 0x1
	s_load_b32 s3, s[0:1], 0x154
	s_load_b32 s4, s[0:1], 0x148
	s_waitcnt lgkmcnt(0)
	s_and_b32 s5, s3, 0xffff
	s_add_u32 s6, s16, -1
	s_mul_i32 s24, s4, s5
	s_addc_u32 s3, s17, -1
	s_lshl_b32 s25, s24, 2
	s_cmp_lg_u64 s[2:3], 0
	s_cbranch_scc0 .LBB75_79
; %bb.3:
	v_cvt_f32_ubyte0_e32 v1, 0
	v_cvt_f32_u32_e32 v4, s25
	s_sub_u32 s8, 0, s25
	s_subb_u32 s9, 0, 0
	s_delay_alu instid0(VALU_DEP_1) | instskip(NEXT) | instid1(VALU_DEP_1)
	v_fmamk_f32 v1, v1, 0x4f800000, v4
	v_rcp_f32_e32 v1, v1
	s_waitcnt_depctr 0xfff
	v_mul_f32_e32 v1, 0x5f7ffffc, v1
	s_delay_alu instid0(VALU_DEP_1) | instskip(NEXT) | instid1(VALU_DEP_1)
	v_mul_f32_e32 v4, 0x2f800000, v1
	v_trunc_f32_e32 v4, v4
	s_delay_alu instid0(VALU_DEP_1) | instskip(SKIP_1) | instid1(VALU_DEP_2)
	v_fmamk_f32 v1, v4, 0xcf800000, v1
	v_cvt_u32_f32_e32 v4, v4
	v_cvt_u32_f32_e32 v1, v1
	s_delay_alu instid0(VALU_DEP_2) | instskip(NEXT) | instid1(VALU_DEP_2)
	v_readfirstlane_b32 s2, v4
	v_readfirstlane_b32 s7, v1
	s_delay_alu instid0(VALU_DEP_2) | instskip(NEXT) | instid1(VALU_DEP_1)
	s_mul_i32 s10, s8, s2
	s_mul_hi_u32 s12, s8, s7
	s_mul_i32 s11, s9, s7
	s_add_i32 s10, s12, s10
	s_mul_i32 s13, s8, s7
	s_add_i32 s10, s10, s11
	s_mul_hi_u32 s12, s7, s13
	s_mul_hi_u32 s14, s2, s13
	s_mul_i32 s11, s2, s13
	s_mul_hi_u32 s13, s7, s10
	s_mul_i32 s7, s7, s10
	s_mul_hi_u32 s18, s2, s10
	s_add_u32 s7, s12, s7
	s_addc_u32 s12, 0, s13
	s_add_u32 s7, s7, s11
	s_mul_i32 s10, s2, s10
	s_addc_u32 s7, s12, s14
	s_addc_u32 s11, s18, 0
	s_add_u32 s7, s7, s10
	s_addc_u32 s10, 0, s11
	v_add_co_u32 v1, s7, v1, s7
	s_delay_alu instid0(VALU_DEP_1) | instskip(SKIP_1) | instid1(VALU_DEP_1)
	s_cmp_lg_u32 s7, 0
	s_addc_u32 s2, s2, s10
	v_readfirstlane_b32 s7, v1
	s_mul_i32 s10, s8, s2
	s_delay_alu instid0(VALU_DEP_1)
	s_mul_hi_u32 s11, s8, s7
	s_mul_i32 s9, s9, s7
	s_add_i32 s10, s11, s10
	s_mul_i32 s8, s8, s7
	s_add_i32 s10, s10, s9
	s_mul_hi_u32 s11, s2, s8
	s_mul_i32 s12, s2, s8
	s_mul_hi_u32 s8, s7, s8
	s_mul_hi_u32 s13, s7, s10
	s_mul_i32 s7, s7, s10
	s_mul_hi_u32 s9, s2, s10
	s_add_u32 s7, s8, s7
	s_addc_u32 s8, 0, s13
	s_add_u32 s7, s7, s12
	s_mul_i32 s10, s2, s10
	s_addc_u32 s7, s8, s11
	s_addc_u32 s8, s9, 0
	s_add_u32 s7, s7, s10
	s_addc_u32 s8, 0, s8
	v_add_co_u32 v1, s7, v1, s7
	s_delay_alu instid0(VALU_DEP_1) | instskip(SKIP_2) | instid1(VALU_DEP_1)
	s_cmp_lg_u32 s7, 0
	s_addc_u32 s7, s2, s8
	s_ashr_i32 s8, s3, 31
	v_readfirstlane_b32 s10, v1
	s_add_u32 s2, s6, s8
	s_mov_b32 s9, s8
	s_addc_u32 s3, s3, s8
	s_delay_alu instid0(SALU_CYCLE_1) | instskip(NEXT) | instid1(SALU_CYCLE_1)
	s_xor_b64 s[2:3], s[2:3], s[8:9]
	s_mul_i32 s12, s2, s7
	s_mul_hi_u32 s13, s2, s10
	s_mul_hi_u32 s11, s2, s7
	;; [unrolled: 1-line block ×3, first 2 shown]
	s_mul_i32 s10, s3, s10
	s_add_u32 s12, s13, s12
	s_addc_u32 s11, 0, s11
	s_mul_hi_u32 s14, s3, s7
	s_add_u32 s10, s12, s10
	s_mul_i32 s7, s3, s7
	s_addc_u32 s10, s11, s18
	s_addc_u32 s11, s14, 0
	s_add_u32 s7, s10, s7
	s_addc_u32 s10, 0, s11
	s_mul_i32 s12, s25, s7
	s_add_u32 s11, s7, 1
	v_sub_co_u32 v1, s2, s2, s12
	s_mul_hi_u32 s12, s25, s7
	s_addc_u32 s13, s10, 0
	s_mul_i32 s14, s25, s10
	s_delay_alu instid0(VALU_DEP_1)
	v_sub_co_u32 v4, s18, v1, s25
	s_add_u32 s19, s7, 2
	s_addc_u32 s20, s10, 0
	s_add_i32 s12, s12, s14
	s_cmp_lg_u32 s2, 0
	v_readfirstlane_b32 s2, v4
	s_subb_u32 s3, s3, s12
	s_cmp_lg_u32 s18, 0
	s_subb_u32 s12, s3, 0
	s_delay_alu instid0(VALU_DEP_1) | instskip(SKIP_4) | instid1(SALU_CYCLE_1)
	s_cmp_ge_u32 s2, s25
	s_cselect_b32 s2, -1, 0
	s_cmp_eq_u32 s12, 0
	v_readfirstlane_b32 s12, v1
	s_cselect_b32 s2, s2, -1
	s_cmp_lg_u32 s2, 0
	s_cselect_b32 s2, s19, s11
	s_cselect_b32 s11, s20, s13
	s_cmp_ge_u32 s12, s25
	s_cselect_b32 s12, -1, 0
	s_cmp_eq_u32 s3, 0
	s_cselect_b32 s3, s12, -1
	s_delay_alu instid0(SALU_CYCLE_1) | instskip(SKIP_2) | instid1(SALU_CYCLE_1)
	s_cmp_lg_u32 s3, 0
	s_cselect_b32 s3, s11, s10
	s_cselect_b32 s2, s2, s7
	s_xor_b64 s[2:3], s[2:3], s[8:9]
	s_delay_alu instid0(SALU_CYCLE_1)
	s_sub_u32 s2, s2, s8
	s_subb_u32 s3, s3, s8
	s_cbranch_execnz .LBB75_5
.LBB75_4:
	v_cvt_f32_u32_e32 v1, s25
	s_sub_i32 s3, 0, s25
	s_delay_alu instid0(VALU_DEP_1) | instskip(SKIP_2) | instid1(VALU_DEP_1)
	v_rcp_iflag_f32_e32 v1, v1
	s_waitcnt_depctr 0xfff
	v_mul_f32_e32 v1, 0x4f7ffffe, v1
	v_cvt_u32_f32_e32 v1, v1
	s_delay_alu instid0(VALU_DEP_1) | instskip(NEXT) | instid1(VALU_DEP_1)
	v_readfirstlane_b32 s2, v1
	s_mul_i32 s3, s3, s2
	s_delay_alu instid0(SALU_CYCLE_1) | instskip(NEXT) | instid1(SALU_CYCLE_1)
	s_mul_hi_u32 s3, s2, s3
	s_add_i32 s2, s2, s3
	s_delay_alu instid0(SALU_CYCLE_1) | instskip(NEXT) | instid1(SALU_CYCLE_1)
	s_mul_hi_u32 s2, s6, s2
	s_mul_i32 s3, s2, s25
	s_delay_alu instid0(SALU_CYCLE_1)
	s_sub_i32 s3, s6, s3
	s_add_i32 s6, s2, 1
	s_sub_i32 s7, s3, s25
	s_cmp_ge_u32 s3, s25
	s_cselect_b32 s2, s6, s2
	s_cselect_b32 s3, s7, s3
	s_add_i32 s6, s2, 1
	s_cmp_ge_u32 s3, s25
	s_mov_b32 s3, 0
	s_cselect_b32 s2, s6, s2
.LBB75_5:
	v_mov_b32_e32 v1, 0
	s_add_u32 s2, s2, 1
	s_addc_u32 s3, s3, 0
	s_mul_hi_u32 s6, s24, s2
	s_mul_i32 s3, s24, s3
	v_mad_u64_u32 v[13:14], null, s5, s15, v[0:1]
	s_mul_hi_u32 s4, s4, s5
	s_add_i32 s3, s6, s3
	s_mul_i32 s4, s4, s2
	s_mul_i32 s2, s24, s2
	s_add_i32 s3, s3, s4
	s_mov_b32 s4, exec_lo
	s_lshl_b64 s[2:3], s[2:3], 2
	s_delay_alu instid0(SALU_CYCLE_1)
	v_cmpx_gt_i64_e64 s[2:3], v[13:14]
	s_cbranch_execz .LBB75_78
; %bb.6:
	v_alignbit_b32 v17, v3, v2, 2
	v_mad_u64_u32 v[4:5], null, 0xcd9e8d57, v13, 0
	v_lshrrev_b32_e32 v18, 2, v3
	s_waitcnt vmcnt(0)
	v_dual_mov_b32 v9, v12 :: v_dual_and_b32 v26, 3, v2
	v_mad_u64_u32 v[0:1], null, 0xd2511f53, v17, 0
	v_add_co_u32 v20, null, 0x9e3779b9, v11
	v_xor3_b32 v3, v11, v5, v18
	s_delay_alu instid0(VALU_DEP_4) | instskip(SKIP_2) | instid1(VALU_DEP_4)
	v_add_co_u32 v19, null, 0xbb67ae85, v9
	v_add_co_u32 v21, null, 0x3c6ef372, v11
	v_xor_b32_e32 v1, v1, v12
	v_mad_u64_u32 v[5:6], null, 0xd2511f53, v3, 0
	v_add_co_u32 v22, null, 0x76cf5d0a, v9
	s_delay_alu instid0(VALU_DEP_3) | instskip(SKIP_2) | instid1(VALU_DEP_3)
	v_xor_b32_e32 v1, v1, v14
	v_add_co_u32 v23, null, 0x32370b8f, v9
	v_add_co_u32 v24, null, 0xdaa66d2b, v11
	v_mad_u64_u32 v[7:8], null, 0xcd9e8d57, v1, 0
	v_xor3_b32 v3, v19, v6, v0
	v_add_co_u32 v25, null, 0x78dde6e4, v11
	v_add_co_u32 v27, null, 0xed9eba14, v9
	s_delay_alu instid0(VALU_DEP_3) | instskip(SKIP_3) | instid1(VALU_DEP_3)
	v_mad_u64_u32 v[0:1], null, 0xcd9e8d57, v3, 0
	v_xor3_b32 v6, v20, v8, v4
	v_add_co_u32 v30, null, 0xa9066899, v9
	v_add_co_u32 v31, null, 0x1715609d, v11
	v_mad_u64_u32 v[3:4], null, 0xd2511f53, v6, 0
	v_xor3_b32 v1, v21, v1, v7
	v_add_co_u32 v33, null, 0xb54cda56, v11
	v_add_co_u32 v35, null, 0x646e171e, v9
	s_load_b256 s[4:11], s[0:1], 0x30
	s_delay_alu instid0(VALU_DEP_4) | instskip(SKIP_2) | instid1(VALU_DEP_3)
	v_xor3_b32 v8, v22, v4, v5
	v_mad_u64_u32 v[4:5], null, 0xd2511f53, v1, 0
	v_add_co_u32 v32, null, 0x5384540f, v11
	v_mad_u64_u32 v[6:7], null, 0xcd9e8d57, v8, 0
	v_add_co_u32 v37, null, 0x1fd5c5a3, v9
	s_delay_alu instid0(VALU_DEP_4) | instskip(SKIP_3) | instid1(VALU_DEP_4)
	v_xor3_b32 v3, v23, v5, v3
	v_add_co_u32 v34, null, 0xf1bbcdc8, v11
	v_add_co_u32 v38, null, 0xdb3d7428, v9
	v_xor3_b32 v5, v24, v7, v0
	v_mad_u64_u32 v[0:1], null, 0xcd9e8d57, v3, 0
	s_add_u32 s12, s0, 48
	s_clause 0x1
	s_load_b64 s[14:15], s[0:1], 0xf4
	s_load_b64 s[18:19], s[0:1], 0x138
	v_mad_u64_u32 v[7:8], null, 0xd2511f53, v5, 0
	s_addc_u32 s13, s1, 0
	s_waitcnt lgkmcnt(0)
	s_add_i32 s20, s4, -1
	v_xor3_b32 v3, v25, v1, v6
	s_cmp_gt_u32 s20, 1
	v_dual_mov_b32 v36, v13 :: v_dual_add_nc_u32 v29, 0x96a522ad, v12
	s_delay_alu instid0(VALU_DEP_3) | instskip(NEXT) | instid1(VALU_DEP_3)
	v_xor3_b32 v5, v27, v8, v4
	v_mad_u64_u32 v[1:2], null, 0xd2511f53, v3, 0
	s_cselect_b32 s11, -1, 0
	s_cmp_lg_u32 s4, 0
	s_delay_alu instid0(VALU_DEP_2) | instskip(SKIP_2) | instid1(VALU_DEP_2)
	v_mad_u64_u32 v[3:4], null, 0xcd9e8d57, v5, 0
	s_cselect_b32 s27, -1, 0
	s_add_u32 s0, s0, 0xf4
	v_xor3_b32 v2, v30, v2, v7
	s_addc_u32 s1, s1, 0
	s_min_u32 s21, s20, 15
	s_cmp_gt_u32 s4, 1
	s_delay_alu instid0(VALU_DEP_2) | instskip(SKIP_3) | instid1(VALU_DEP_2)
	v_xor3_b32 v0, v31, v4, v0
	v_mad_u64_u32 v[4:5], null, 0xcd9e8d57, v2, 0
	s_cselect_b32 s4, -1, 0
	s_add_i32 s21, s21, 1
	v_mad_u64_u32 v[6:7], null, 0xd2511f53, v0, 0
	s_lshl_b32 s28, s24, 1
	s_and_b32 s29, s21, 3
	s_delay_alu instid0(VALU_DEP_2) | instskip(SKIP_3) | instid1(VALU_DEP_3)
	v_xor3_b32 v2, v33, v5, v3
	s_cmp_lg_u32 s20, 2
	v_mov_b32_e32 v39, v14
	s_cselect_b32 s30, -1, 0
	v_xor3_b32 v5, v35, v7, v1
	v_mad_u64_u32 v[0:1], null, 0xd2511f53, v2, 0
	s_and_b32 s31, s21, 28
	s_cmp_lg_u32 s29, 0
	s_delay_alu instid0(VALU_DEP_2) | instskip(SKIP_2) | instid1(VALU_DEP_2)
	v_mad_u64_u32 v[2:3], null, 0xcd9e8d57, v5, 0
	s_mov_b32 s26, 0
	s_mul_i32 s33, s24, 3
	v_xor3_b32 v1, v37, v1, v6
	s_cselect_b32 s34, -1, 0
	s_delay_alu instid0(VALU_DEP_2) | instskip(NEXT) | instid1(VALU_DEP_2)
	v_xor3_b32 v3, v32, v3, v4
	v_mad_u64_u32 v[4:5], null, 0xcd9e8d57, v1, 0
	s_delay_alu instid0(VALU_DEP_2) | instskip(NEXT) | instid1(VALU_DEP_2)
	v_mad_u64_u32 v[6:7], null, 0xd2511f53, v3, 0
	v_xor3_b32 v1, v34, v5, v2
	s_delay_alu instid0(VALU_DEP_2) | instskip(NEXT) | instid1(VALU_DEP_2)
	v_xor3_b32 v0, v38, v7, v0
	v_mad_u64_u32 v[7:8], null, 0xd2511f53, v1, 0
	v_add_nc_u32_e32 v28, 0x8ff34781, v11
	s_delay_alu instid0(VALU_DEP_3) | instskip(NEXT) | instid1(VALU_DEP_3)
	v_mad_u64_u32 v[1:2], null, 0xcd9e8d57, v0, 0
	v_mov_b32_e32 v3, v7
	s_delay_alu instid0(VALU_DEP_2)
	v_xor3_b32 v0, v2, v4, v28
	v_xor3_b32 v2, v8, v6, v29
	s_branch .LBB75_9
.LBB75_7:                               ;   in Loop: Header=BB75_9 Depth=1
	v_and_b32_e32 v0, 0x7f, v3
	global_store_b8 v1, v0, s[18:19]
.LBB75_8:                               ;   in Loop: Header=BB75_9 Depth=1
	s_or_b32 exec_lo, exec_lo, s35
	v_add_co_u32 v13, vcc_lo, v13, s25
	v_add_co_ci_u32_e32 v14, vcc_lo, 0, v14, vcc_lo
	v_mov_b32_e32 v7, v15
	v_dual_mov_b32 v0, v4 :: v_dual_mov_b32 v1, v5
	s_delay_alu instid0(VALU_DEP_3) | instskip(NEXT) | instid1(VALU_DEP_3)
	v_cmp_le_i64_e32 vcc_lo, s[2:3], v[13:14]
	v_dual_mov_b32 v2, v6 :: v_dual_mov_b32 v3, v7
	s_waitcnt_vscnt null, 0x0
	s_barrier
	buffer_gl0_inv
	s_or_b32 s26, vcc_lo, s26
	s_delay_alu instid0(SALU_CYCLE_1)
	s_and_not1_b32 exec_lo, exec_lo, s26
	s_cbranch_execz .LBB75_78
.LBB75_9:                               ; =>This Loop Header: Depth=1
                                        ;     Child Loop BB75_24 Depth 2
                                        ;     Child Loop BB75_29 Depth 2
	;; [unrolled: 1-line block ×8, first 2 shown]
	v_add_co_u32 v17, vcc_lo, v17, 1
	s_delay_alu instid0(VALU_DEP_1) | instskip(SKIP_2) | instid1(VALU_DEP_1)
	v_cndmask_b32_e64 v4, 0, 1, vcc_lo
	v_add_co_ci_u32_e32 v18, vcc_lo, 0, v18, vcc_lo
	s_mov_b32 s20, exec_lo
	v_cmp_eq_u32_e32 vcc_lo, 0, v18
	s_delay_alu instid0(VALU_DEP_3) | instskip(NEXT) | instid1(VALU_DEP_1)
	v_cndmask_b32_e32 v4, 0, v4, vcc_lo
	v_add_nc_u32_e32 v36, v4, v36
	s_delay_alu instid0(VALU_DEP_1) | instskip(SKIP_2) | instid1(VALU_DEP_2)
	v_cmp_eq_u32_e32 vcc_lo, 0, v36
	v_mad_u64_u32 v[6:7], null, 0xcd9e8d57, v36, 0
	v_cndmask_b32_e32 v4, 0, v4, vcc_lo
	v_xor3_b32 v9, v7, v11, v18
	s_delay_alu instid0(VALU_DEP_2) | instskip(SKIP_1) | instid1(VALU_DEP_3)
	v_add_nc_u32_e32 v39, v4, v39
	v_mad_u64_u32 v[4:5], null, 0xd2511f53, v17, 0
	v_mad_u64_u32 v[7:8], null, 0xd2511f53, v9, 0
	s_delay_alu instid0(VALU_DEP_2) | instskip(NEXT) | instid1(VALU_DEP_2)
	v_xor_b32_e32 v5, v5, v12
	v_xor3_b32 v8, v19, v8, v4
	s_delay_alu instid0(VALU_DEP_2) | instskip(NEXT) | instid1(VALU_DEP_1)
	v_xor_b32_e32 v5, v39, v5
	v_mad_u64_u32 v[9:10], null, 0xcd9e8d57, v5, 0
	s_delay_alu instid0(VALU_DEP_3) | instskip(NEXT) | instid1(VALU_DEP_2)
	v_mad_u64_u32 v[4:5], null, 0xcd9e8d57, v8, 0
	v_xor3_b32 v6, v20, v10, v6
	s_delay_alu instid0(VALU_DEP_2) | instskip(NEXT) | instid1(VALU_DEP_2)
	v_xor3_b32 v8, v21, v5, v9
	v_mad_u64_u32 v[15:16], null, 0xd2511f53, v6, 0
	s_delay_alu instid0(VALU_DEP_2) | instskip(NEXT) | instid1(VALU_DEP_2)
	v_mad_u64_u32 v[5:6], null, 0xd2511f53, v8, 0
	v_xor3_b32 v9, v22, v16, v7
	s_delay_alu instid0(VALU_DEP_2) | instskip(NEXT) | instid1(VALU_DEP_2)
	v_xor3_b32 v6, v23, v6, v15
	v_mad_u64_u32 v[7:8], null, 0xcd9e8d57, v9, 0
	s_delay_alu instid0(VALU_DEP_1) | instskip(NEXT) | instid1(VALU_DEP_3)
	v_xor3_b32 v4, v24, v8, v4
	v_mad_u64_u32 v[8:9], null, 0xcd9e8d57, v6, 0
	s_delay_alu instid0(VALU_DEP_2) | instskip(NEXT) | instid1(VALU_DEP_2)
	v_mad_u64_u32 v[15:16], null, 0xd2511f53, v4, 0
	v_xor3_b32 v6, v25, v9, v7
	s_delay_alu instid0(VALU_DEP_2) | instskip(NEXT) | instid1(VALU_DEP_2)
	v_xor3_b32 v9, v27, v16, v5
	v_mad_u64_u32 v[4:5], null, 0xd2511f53, v6, 0
	s_delay_alu instid0(VALU_DEP_2) | instskip(NEXT) | instid1(VALU_DEP_2)
	v_mad_u64_u32 v[6:7], null, 0xcd9e8d57, v9, 0
	v_xor3_b32 v5, v30, v5, v15
	s_delay_alu instid0(VALU_DEP_2) | instskip(NEXT) | instid1(VALU_DEP_2)
	v_xor3_b32 v15, v31, v7, v8
	v_mad_u64_u32 v[7:8], null, 0xcd9e8d57, v5, 0
	s_delay_alu instid0(VALU_DEP_2) | instskip(NEXT) | instid1(VALU_DEP_2)
	v_mad_u64_u32 v[9:10], null, 0xd2511f53, v15, 0
	v_xor3_b32 v6, v33, v8, v6
	s_delay_alu instid0(VALU_DEP_2) | instskip(NEXT) | instid1(VALU_DEP_2)
	v_xor3_b32 v8, v35, v10, v4
	v_mad_u64_u32 v[4:5], null, 0xd2511f53, v6, 0
	s_delay_alu instid0(VALU_DEP_2) | instskip(NEXT) | instid1(VALU_DEP_2)
	v_mad_u64_u32 v[15:16], null, 0xcd9e8d57, v8, 0
	v_xor3_b32 v5, v37, v5, v9
	s_delay_alu instid0(VALU_DEP_2) | instskip(NEXT) | instid1(VALU_DEP_2)
	v_xor3_b32 v6, v32, v16, v7
	v_mad_u64_u32 v[7:8], null, 0xcd9e8d57, v5, 0
	s_delay_alu instid0(VALU_DEP_2) | instskip(NEXT) | instid1(VALU_DEP_2)
	v_mad_u64_u32 v[9:10], null, 0xd2511f53, v6, 0
	v_xor3_b32 v5, v34, v8, v15
	s_delay_alu instid0(VALU_DEP_2) | instskip(NEXT) | instid1(VALU_DEP_2)
	v_xor3_b32 v4, v38, v10, v4
	v_mad_u64_u32 v[15:16], null, 0xd2511f53, v5, 0
	s_delay_alu instid0(VALU_DEP_2) | instskip(NEXT) | instid1(VALU_DEP_2)
	v_mad_u64_u32 v[5:6], null, 0xcd9e8d57, v4, 0
	v_xor3_b32 v10, v16, v9, v29
	s_delay_alu instid0(VALU_DEP_2) | instskip(NEXT) | instid1(VALU_DEP_2)
	v_xor3_b32 v4, v6, v7, v28
	v_mov_b32_e32 v6, v10
	v_cmpx_lt_i32_e32 1, v26
	s_xor_b32 s20, exec_lo, s20
	s_cbranch_execnz .LBB75_12
; %bb.10:                               ;   in Loop: Header=BB75_9 Depth=1
	s_and_not1_saveexec_b32 s20, s20
	s_cbranch_execnz .LBB75_17
.LBB75_11:                              ;   in Loop: Header=BB75_9 Depth=1
	s_or_b32 exec_lo, exec_lo, s20
	s_delay_alu instid0(SALU_CYCLE_1)
	s_mov_b32 s35, exec_lo
	v_cmpx_gt_i64_e64 s[16:17], v[13:14]
	s_cbranch_execnz .LBB75_20
	s_branch .LBB75_34
.LBB75_12:                              ;   in Loop: Header=BB75_9 Depth=1
	s_mov_b32 s21, exec_lo
	v_cmpx_lt_i32_e32 2, v26
	s_xor_b32 s21, exec_lo, s21
; %bb.13:                               ;   in Loop: Header=BB75_9 Depth=1
	v_dual_mov_b32 v7, v3 :: v_dual_mov_b32 v8, v4
	v_mov_b32_e32 v9, v5
	s_delay_alu instid0(VALU_DEP_2) | instskip(NEXT) | instid1(VALU_DEP_2)
	v_dual_mov_b32 v0, v7 :: v_dual_mov_b32 v1, v8
	v_dual_mov_b32 v2, v9 :: v_dual_mov_b32 v3, v10
; %bb.14:                               ;   in Loop: Header=BB75_9 Depth=1
	s_and_not1_saveexec_b32 s21, s21
; %bb.15:                               ;   in Loop: Header=BB75_9 Depth=1
	s_delay_alu instid0(VALU_DEP_1)
	v_dual_mov_b32 v0, v2 :: v_dual_mov_b32 v1, v3
	v_dual_mov_b32 v2, v4 :: v_dual_mov_b32 v3, v5
; %bb.16:                               ;   in Loop: Header=BB75_9 Depth=1
	s_or_b32 exec_lo, exec_lo, s21
	s_and_not1_saveexec_b32 s20, s20
	s_cbranch_execz .LBB75_11
.LBB75_17:                              ;   in Loop: Header=BB75_9 Depth=1
	s_mov_b32 s21, exec_lo
	v_cmpx_eq_u32_e32 1, v26
; %bb.18:                               ;   in Loop: Header=BB75_9 Depth=1
	v_dual_mov_b32 v0, v1 :: v_dual_mov_b32 v1, v2
	v_dual_mov_b32 v2, v3 :: v_dual_mov_b32 v3, v4
; %bb.19:                               ;   in Loop: Header=BB75_9 Depth=1
	s_or_b32 exec_lo, exec_lo, s21
	s_delay_alu instid0(SALU_CYCLE_1) | instskip(NEXT) | instid1(SALU_CYCLE_1)
	s_or_b32 exec_lo, exec_lo, s20
	s_mov_b32 s35, exec_lo
	v_cmpx_gt_i64_e64 s[16:17], v[13:14]
	s_cbranch_execz .LBB75_34
.LBB75_20:                              ;   in Loop: Header=BB75_9 Depth=1
	s_and_not1_b32 vcc_lo, exec_lo, s11
	s_cbranch_vccnz .LBB75_26
; %bb.21:                               ;   in Loop: Header=BB75_9 Depth=1
	v_mov_b32_e32 v7, 0
	s_and_not1_b32 vcc_lo, exec_lo, s27
	s_cbranch_vccnz .LBB75_30
; %bb.22:                               ;   in Loop: Header=BB75_9 Depth=1
	s_and_not1_b32 vcc_lo, exec_lo, s30
	s_mov_b32 s20, 0
	s_cbranch_vccnz .LBB75_27
; %bb.23:                               ;   in Loop: Header=BB75_9 Depth=1
	v_dual_mov_b32 v7, 0 :: v_dual_mov_b32 v8, v13
	s_mov_b32 s36, 0
	s_mov_b64 s[20:21], s[12:13]
	s_mov_b64 s[22:23], s[0:1]
.LBB75_24:                              ;   Parent Loop BB75_9 Depth=1
                                        ; =>  This Inner Loop Header: Depth=2
	s_clause 0x1
	s_load_b256 s[40:47], s[20:21], 0x4
	s_load_b128 s[48:51], s[20:21], 0x24
	s_load_b128 s[52:55], s[22:23], 0x0
	s_add_u32 s20, s20, 48
	s_addc_u32 s21, s21, 0
	s_add_i32 s36, s36, 4
	s_add_u32 s22, s22, 16
	s_addc_u32 s23, s23, 0
	s_cmp_lg_u32 s31, s36
	s_waitcnt lgkmcnt(0)
	v_mul_hi_u32 v9, s41, v8
	s_delay_alu instid0(VALU_DEP_1) | instskip(NEXT) | instid1(VALU_DEP_1)
	v_add_nc_u32_e32 v9, v8, v9
	v_lshrrev_b32_e32 v9, s42, v9
	s_delay_alu instid0(VALU_DEP_1) | instskip(SKIP_1) | instid1(VALU_DEP_2)
	v_mul_hi_u32 v10, s44, v9
	v_mul_lo_u32 v41, v9, s40
	v_add_nc_u32_e32 v10, v9, v10
	s_delay_alu instid0(VALU_DEP_2) | instskip(NEXT) | instid1(VALU_DEP_2)
	v_sub_nc_u32_e32 v41, v8, v41
	v_lshrrev_b32_e32 v10, s45, v10
	s_delay_alu instid0(VALU_DEP_2) | instskip(NEXT) | instid1(VALU_DEP_2)
	v_mul_lo_u32 v41, v41, s52
	v_mul_hi_u32 v16, s47, v10
	v_mul_lo_u32 v42, v10, s43
	s_delay_alu instid0(VALU_DEP_2) | instskip(NEXT) | instid1(VALU_DEP_2)
	v_add_nc_u32_e32 v16, v10, v16
	v_sub_nc_u32_e32 v9, v9, v42
	s_delay_alu instid0(VALU_DEP_2) | instskip(NEXT) | instid1(VALU_DEP_2)
	v_lshrrev_b32_e32 v16, s48, v16
	v_mul_lo_u32 v9, v9, s53
	s_delay_alu instid0(VALU_DEP_2) | instskip(NEXT) | instid1(VALU_DEP_2)
	v_mul_hi_u32 v40, s50, v16
	v_add3_u32 v7, v41, v7, v9
	s_delay_alu instid0(VALU_DEP_2) | instskip(NEXT) | instid1(VALU_DEP_1)
	v_add_nc_u32_e32 v40, v16, v40
	v_lshrrev_b32_e32 v8, s51, v40
	v_mul_lo_u32 v40, v16, s46
	s_delay_alu instid0(VALU_DEP_2) | instskip(NEXT) | instid1(VALU_DEP_2)
	v_mul_lo_u32 v43, v8, s49
	v_sub_nc_u32_e32 v10, v10, v40
	s_delay_alu instid0(VALU_DEP_2) | instskip(NEXT) | instid1(VALU_DEP_2)
	v_sub_nc_u32_e32 v16, v16, v43
	v_mul_lo_u32 v10, v10, s54
	s_delay_alu instid0(VALU_DEP_2) | instskip(NEXT) | instid1(VALU_DEP_1)
	v_mul_lo_u32 v16, v16, s55
	v_add3_u32 v7, v10, v7, v16
	s_cbranch_scc1 .LBB75_24
; %bb.25:                               ;   in Loop: Header=BB75_9 Depth=1
	s_mov_b32 s20, s31
	s_and_not1_b32 vcc_lo, exec_lo, s34
	s_cbranch_vccz .LBB75_28
	s_branch .LBB75_30
.LBB75_26:                              ;   in Loop: Header=BB75_9 Depth=1
                                        ; implicit-def: $vgpr7
	s_branch .LBB75_31
.LBB75_27:                              ;   in Loop: Header=BB75_9 Depth=1
	v_mov_b32_e32 v8, v13
	s_and_not1_b32 vcc_lo, exec_lo, s34
	s_cbranch_vccnz .LBB75_30
.LBB75_28:                              ;   in Loop: Header=BB75_9 Depth=1
	s_lshl_b32 s21, s20, 2
	s_mul_i32 s22, s20, 12
	s_add_u32 s20, s0, s21
	s_addc_u32 s21, s1, 0
	s_add_u32 s22, s12, s22
	s_addc_u32 s23, s13, 0
	s_mov_b32 s36, s29
	.p2align	6
.LBB75_29:                              ;   Parent Loop BB75_9 Depth=1
                                        ; =>  This Inner Loop Header: Depth=2
	s_clause 0x1
	s_load_b64 s[38:39], s[22:23], 0x4
	s_load_b32 s37, s[22:23], 0xc
	s_add_u32 s22, s22, 12
	s_addc_u32 s23, s23, 0
	s_waitcnt lgkmcnt(0)
	v_mul_hi_u32 v9, s39, v8
	s_load_b32 s39, s[20:21], 0x0
	s_add_u32 s20, s20, 4
	s_addc_u32 s21, s21, 0
	s_add_i32 s36, s36, -1
	s_delay_alu instid0(SALU_CYCLE_1) | instskip(NEXT) | instid1(VALU_DEP_1)
	s_cmp_lg_u32 s36, 0
	v_add_nc_u32_e32 v9, v8, v9
	s_delay_alu instid0(VALU_DEP_1) | instskip(NEXT) | instid1(VALU_DEP_1)
	v_lshrrev_b32_e32 v16, s37, v9
	v_mul_lo_u32 v9, v16, s38
	s_delay_alu instid0(VALU_DEP_1) | instskip(SKIP_1) | instid1(VALU_DEP_1)
	v_sub_nc_u32_e32 v8, v8, v9
	s_waitcnt lgkmcnt(0)
	v_mad_u64_u32 v[9:10], null, v8, s39, v[7:8]
	s_delay_alu instid0(VALU_DEP_1)
	v_dual_mov_b32 v8, v16 :: v_dual_mov_b32 v7, v9
	s_cbranch_scc1 .LBB75_29
.LBB75_30:                              ;   in Loop: Header=BB75_9 Depth=1
	s_cbranch_execnz .LBB75_33
.LBB75_31:                              ;   in Loop: Header=BB75_9 Depth=1
	v_mul_hi_u32 v7, v13, s6
	s_and_not1_b32 vcc_lo, exec_lo, s4
	s_delay_alu instid0(VALU_DEP_1) | instskip(NEXT) | instid1(VALU_DEP_1)
	v_add_nc_u32_e32 v7, v7, v13
	v_lshrrev_b32_e32 v8, s7, v7
	s_delay_alu instid0(VALU_DEP_1) | instskip(NEXT) | instid1(VALU_DEP_1)
	v_mul_lo_u32 v7, v8, s5
	v_sub_nc_u32_e32 v7, v13, v7
	s_delay_alu instid0(VALU_DEP_1)
	v_mul_lo_u32 v7, v7, s14
	s_cbranch_vccnz .LBB75_33
; %bb.32:                               ;   in Loop: Header=BB75_9 Depth=1
	v_mul_hi_u32 v9, s9, v8
	s_delay_alu instid0(VALU_DEP_1) | instskip(NEXT) | instid1(VALU_DEP_1)
	v_add_nc_u32_e32 v9, v8, v9
	v_lshrrev_b32_e32 v9, s10, v9
	s_delay_alu instid0(VALU_DEP_1) | instskip(NEXT) | instid1(VALU_DEP_1)
	v_mul_lo_u32 v9, v9, s8
	v_sub_nc_u32_e32 v10, v8, v9
	s_delay_alu instid0(VALU_DEP_1) | instskip(NEXT) | instid1(VALU_DEP_1)
	v_mad_u64_u32 v[8:9], null, v10, s15, v[7:8]
	v_mov_b32_e32 v7, v8
.LBB75_33:                              ;   in Loop: Header=BB75_9 Depth=1
	v_and_b32_e32 v0, 0x7f, v0
	global_store_b8 v7, v0, s[18:19]
.LBB75_34:                              ;   in Loop: Header=BB75_9 Depth=1
	s_or_b32 exec_lo, exec_lo, s35
	v_add_co_u32 v7, vcc_lo, v13, s24
	v_add_co_ci_u32_e32 v8, vcc_lo, 0, v14, vcc_lo
	s_mov_b32 s35, exec_lo
	s_delay_alu instid0(VALU_DEP_1)
	v_cmpx_gt_i64_e64 s[16:17], v[7:8]
	s_cbranch_execz .LBB75_49
; %bb.35:                               ;   in Loop: Header=BB75_9 Depth=1
	s_and_not1_b32 vcc_lo, exec_lo, s11
	s_cbranch_vccnz .LBB75_41
; %bb.36:                               ;   in Loop: Header=BB75_9 Depth=1
	v_mov_b32_e32 v0, 0
	s_and_not1_b32 vcc_lo, exec_lo, s27
	s_cbranch_vccnz .LBB75_45
; %bb.37:                               ;   in Loop: Header=BB75_9 Depth=1
	s_and_not1_b32 vcc_lo, exec_lo, s30
	s_mov_b32 s20, 0
	s_cbranch_vccnz .LBB75_42
; %bb.38:                               ;   in Loop: Header=BB75_9 Depth=1
	v_mov_b32_e32 v0, 0
	v_mov_b32_e32 v8, v7
	s_mov_b32 s36, 0
	s_mov_b64 s[20:21], s[12:13]
	s_mov_b64 s[22:23], s[0:1]
.LBB75_39:                              ;   Parent Loop BB75_9 Depth=1
                                        ; =>  This Inner Loop Header: Depth=2
	s_clause 0x1
	s_load_b256 s[40:47], s[20:21], 0x4
	s_load_b128 s[48:51], s[20:21], 0x24
	s_load_b128 s[52:55], s[22:23], 0x0
	s_add_u32 s20, s20, 48
	s_addc_u32 s21, s21, 0
	s_add_i32 s36, s36, 4
	s_add_u32 s22, s22, 16
	s_addc_u32 s23, s23, 0
	s_cmp_eq_u32 s31, s36
	s_waitcnt lgkmcnt(0)
	v_mul_hi_u32 v9, s41, v8
	s_delay_alu instid0(VALU_DEP_1) | instskip(NEXT) | instid1(VALU_DEP_1)
	v_add_nc_u32_e32 v9, v8, v9
	v_lshrrev_b32_e32 v9, s42, v9
	s_delay_alu instid0(VALU_DEP_1) | instskip(SKIP_1) | instid1(VALU_DEP_2)
	v_mul_hi_u32 v10, s44, v9
	v_mul_lo_u32 v41, v9, s40
	v_add_nc_u32_e32 v10, v9, v10
	s_delay_alu instid0(VALU_DEP_2) | instskip(NEXT) | instid1(VALU_DEP_2)
	v_sub_nc_u32_e32 v41, v8, v41
	v_lshrrev_b32_e32 v10, s45, v10
	s_delay_alu instid0(VALU_DEP_2) | instskip(NEXT) | instid1(VALU_DEP_2)
	v_mul_lo_u32 v41, v41, s52
	v_mul_hi_u32 v16, s47, v10
	v_mul_lo_u32 v42, v10, s43
	s_delay_alu instid0(VALU_DEP_2) | instskip(NEXT) | instid1(VALU_DEP_2)
	v_add_nc_u32_e32 v16, v10, v16
	v_sub_nc_u32_e32 v9, v9, v42
	s_delay_alu instid0(VALU_DEP_2) | instskip(NEXT) | instid1(VALU_DEP_2)
	v_lshrrev_b32_e32 v16, s48, v16
	v_mul_lo_u32 v9, v9, s53
	s_delay_alu instid0(VALU_DEP_2) | instskip(NEXT) | instid1(VALU_DEP_2)
	v_mul_hi_u32 v40, s50, v16
	v_add3_u32 v0, v41, v0, v9
	s_delay_alu instid0(VALU_DEP_2) | instskip(NEXT) | instid1(VALU_DEP_1)
	v_add_nc_u32_e32 v40, v16, v40
	v_lshrrev_b32_e32 v8, s51, v40
	v_mul_lo_u32 v40, v16, s46
	s_delay_alu instid0(VALU_DEP_2) | instskip(NEXT) | instid1(VALU_DEP_2)
	v_mul_lo_u32 v43, v8, s49
	v_sub_nc_u32_e32 v10, v10, v40
	s_delay_alu instid0(VALU_DEP_2) | instskip(NEXT) | instid1(VALU_DEP_2)
	v_sub_nc_u32_e32 v16, v16, v43
	v_mul_lo_u32 v10, v10, s54
	s_delay_alu instid0(VALU_DEP_2) | instskip(NEXT) | instid1(VALU_DEP_1)
	v_mul_lo_u32 v16, v16, s55
	v_add3_u32 v0, v10, v0, v16
	s_cbranch_scc0 .LBB75_39
; %bb.40:                               ;   in Loop: Header=BB75_9 Depth=1
	s_mov_b32 s20, s31
	s_and_not1_b32 vcc_lo, exec_lo, s34
	s_cbranch_vccz .LBB75_43
	s_branch .LBB75_45
.LBB75_41:                              ;   in Loop: Header=BB75_9 Depth=1
                                        ; implicit-def: $vgpr0
	s_branch .LBB75_46
.LBB75_42:                              ;   in Loop: Header=BB75_9 Depth=1
	v_mov_b32_e32 v8, v7
	s_and_not1_b32 vcc_lo, exec_lo, s34
	s_cbranch_vccnz .LBB75_45
.LBB75_43:                              ;   in Loop: Header=BB75_9 Depth=1
	s_lshl_b32 s21, s20, 2
	s_mul_i32 s22, s20, 12
	s_add_u32 s20, s0, s21
	s_addc_u32 s21, s1, 0
	s_add_u32 s22, s12, s22
	s_addc_u32 s23, s13, 0
	s_mov_b32 s36, s29
	.p2align	6
.LBB75_44:                              ;   Parent Loop BB75_9 Depth=1
                                        ; =>  This Inner Loop Header: Depth=2
	s_clause 0x1
	s_load_b64 s[38:39], s[22:23], 0x4
	s_load_b32 s37, s[22:23], 0xc
	s_add_u32 s22, s22, 12
	s_addc_u32 s23, s23, 0
	s_waitcnt lgkmcnt(0)
	v_mul_hi_u32 v9, s39, v8
	s_load_b32 s39, s[20:21], 0x0
	s_add_u32 s20, s20, 4
	s_addc_u32 s21, s21, 0
	s_add_i32 s36, s36, -1
	s_delay_alu instid0(SALU_CYCLE_1) | instskip(NEXT) | instid1(VALU_DEP_1)
	s_cmp_lg_u32 s36, 0
	v_add_nc_u32_e32 v9, v8, v9
	s_delay_alu instid0(VALU_DEP_1) | instskip(NEXT) | instid1(VALU_DEP_1)
	v_lshrrev_b32_e32 v16, s37, v9
	v_mul_lo_u32 v9, v16, s38
	s_delay_alu instid0(VALU_DEP_1) | instskip(SKIP_1) | instid1(VALU_DEP_1)
	v_sub_nc_u32_e32 v8, v8, v9
	s_waitcnt lgkmcnt(0)
	v_mad_u64_u32 v[9:10], null, v8, s39, v[0:1]
	v_mov_b32_e32 v8, v16
	s_delay_alu instid0(VALU_DEP_2)
	v_mov_b32_e32 v0, v9
	s_cbranch_scc1 .LBB75_44
.LBB75_45:                              ;   in Loop: Header=BB75_9 Depth=1
	s_cbranch_execnz .LBB75_48
.LBB75_46:                              ;   in Loop: Header=BB75_9 Depth=1
	v_mul_hi_u32 v0, v7, s6
	s_and_not1_b32 vcc_lo, exec_lo, s4
	s_delay_alu instid0(VALU_DEP_1) | instskip(NEXT) | instid1(VALU_DEP_1)
	v_add_nc_u32_e32 v0, v0, v7
	v_lshrrev_b32_e32 v8, s7, v0
	s_delay_alu instid0(VALU_DEP_1) | instskip(NEXT) | instid1(VALU_DEP_1)
	v_mul_lo_u32 v0, v8, s5
	v_sub_nc_u32_e32 v0, v7, v0
	s_delay_alu instid0(VALU_DEP_1)
	v_mul_lo_u32 v0, v0, s14
	s_cbranch_vccnz .LBB75_48
; %bb.47:                               ;   in Loop: Header=BB75_9 Depth=1
	v_mul_hi_u32 v7, s9, v8
	s_delay_alu instid0(VALU_DEP_1) | instskip(NEXT) | instid1(VALU_DEP_1)
	v_add_nc_u32_e32 v7, v8, v7
	v_lshrrev_b32_e32 v7, s10, v7
	s_delay_alu instid0(VALU_DEP_1) | instskip(NEXT) | instid1(VALU_DEP_1)
	v_mul_lo_u32 v7, v7, s8
	v_sub_nc_u32_e32 v9, v8, v7
	s_delay_alu instid0(VALU_DEP_1) | instskip(NEXT) | instid1(VALU_DEP_1)
	v_mad_u64_u32 v[7:8], null, v9, s15, v[0:1]
	v_mov_b32_e32 v0, v7
.LBB75_48:                              ;   in Loop: Header=BB75_9 Depth=1
	v_and_b32_e32 v1, 0x7f, v1
	global_store_b8 v0, v1, s[18:19]
.LBB75_49:                              ;   in Loop: Header=BB75_9 Depth=1
	s_or_b32 exec_lo, exec_lo, s35
	v_add_co_u32 v0, vcc_lo, v13, s28
	v_add_co_ci_u32_e32 v1, vcc_lo, 0, v14, vcc_lo
	s_mov_b32 s35, exec_lo
	s_delay_alu instid0(VALU_DEP_1)
	v_cmpx_gt_i64_e64 s[16:17], v[0:1]
	s_cbranch_execz .LBB75_64
; %bb.50:                               ;   in Loop: Header=BB75_9 Depth=1
	s_and_not1_b32 vcc_lo, exec_lo, s11
	s_cbranch_vccnz .LBB75_56
; %bb.51:                               ;   in Loop: Header=BB75_9 Depth=1
	v_mov_b32_e32 v1, 0
	s_and_not1_b32 vcc_lo, exec_lo, s27
	s_cbranch_vccnz .LBB75_60
; %bb.52:                               ;   in Loop: Header=BB75_9 Depth=1
	s_and_not1_b32 vcc_lo, exec_lo, s30
	s_mov_b32 s20, 0
	s_cbranch_vccnz .LBB75_57
; %bb.53:                               ;   in Loop: Header=BB75_9 Depth=1
	v_mov_b32_e32 v1, 0
	v_mov_b32_e32 v7, v0
	s_mov_b32 s36, 0
	s_mov_b64 s[20:21], s[12:13]
	s_mov_b64 s[22:23], s[0:1]
.LBB75_54:                              ;   Parent Loop BB75_9 Depth=1
                                        ; =>  This Inner Loop Header: Depth=2
	s_clause 0x1
	s_load_b256 s[40:47], s[20:21], 0x4
	s_load_b128 s[48:51], s[20:21], 0x24
	s_load_b128 s[52:55], s[22:23], 0x0
	s_add_u32 s20, s20, 48
	s_addc_u32 s21, s21, 0
	s_add_i32 s36, s36, 4
	s_add_u32 s22, s22, 16
	s_addc_u32 s23, s23, 0
	s_cmp_eq_u32 s31, s36
	s_waitcnt lgkmcnt(0)
	v_mul_hi_u32 v8, s41, v7
	s_delay_alu instid0(VALU_DEP_1) | instskip(NEXT) | instid1(VALU_DEP_1)
	v_add_nc_u32_e32 v8, v7, v8
	v_lshrrev_b32_e32 v8, s42, v8
	s_delay_alu instid0(VALU_DEP_1) | instskip(SKIP_1) | instid1(VALU_DEP_2)
	v_mul_hi_u32 v9, s44, v8
	v_mul_lo_u32 v40, v8, s40
	v_add_nc_u32_e32 v9, v8, v9
	s_delay_alu instid0(VALU_DEP_2) | instskip(NEXT) | instid1(VALU_DEP_2)
	v_sub_nc_u32_e32 v40, v7, v40
	v_lshrrev_b32_e32 v9, s45, v9
	s_delay_alu instid0(VALU_DEP_2) | instskip(NEXT) | instid1(VALU_DEP_2)
	v_mul_lo_u32 v40, v40, s52
	v_mul_hi_u32 v10, s47, v9
	v_mul_lo_u32 v41, v9, s43
	s_delay_alu instid0(VALU_DEP_2) | instskip(NEXT) | instid1(VALU_DEP_2)
	v_add_nc_u32_e32 v10, v9, v10
	v_sub_nc_u32_e32 v8, v8, v41
	s_delay_alu instid0(VALU_DEP_2) | instskip(NEXT) | instid1(VALU_DEP_2)
	v_lshrrev_b32_e32 v10, s48, v10
	v_mul_lo_u32 v8, v8, s53
	s_delay_alu instid0(VALU_DEP_2) | instskip(NEXT) | instid1(VALU_DEP_2)
	v_mul_hi_u32 v16, s50, v10
	v_add3_u32 v1, v40, v1, v8
	s_delay_alu instid0(VALU_DEP_2) | instskip(NEXT) | instid1(VALU_DEP_1)
	v_add_nc_u32_e32 v16, v10, v16
	v_lshrrev_b32_e32 v7, s51, v16
	v_mul_lo_u32 v16, v10, s46
	s_delay_alu instid0(VALU_DEP_2) | instskip(NEXT) | instid1(VALU_DEP_2)
	v_mul_lo_u32 v42, v7, s49
	v_sub_nc_u32_e32 v9, v9, v16
	s_delay_alu instid0(VALU_DEP_2) | instskip(NEXT) | instid1(VALU_DEP_2)
	v_sub_nc_u32_e32 v10, v10, v42
	v_mul_lo_u32 v9, v9, s54
	s_delay_alu instid0(VALU_DEP_2) | instskip(NEXT) | instid1(VALU_DEP_1)
	v_mul_lo_u32 v10, v10, s55
	v_add3_u32 v1, v9, v1, v10
	s_cbranch_scc0 .LBB75_54
; %bb.55:                               ;   in Loop: Header=BB75_9 Depth=1
	s_mov_b32 s20, s31
	s_and_not1_b32 vcc_lo, exec_lo, s34
	s_cbranch_vccz .LBB75_58
	s_branch .LBB75_60
.LBB75_56:                              ;   in Loop: Header=BB75_9 Depth=1
                                        ; implicit-def: $vgpr1
	s_branch .LBB75_61
.LBB75_57:                              ;   in Loop: Header=BB75_9 Depth=1
	v_mov_b32_e32 v7, v0
	s_and_not1_b32 vcc_lo, exec_lo, s34
	s_cbranch_vccnz .LBB75_60
.LBB75_58:                              ;   in Loop: Header=BB75_9 Depth=1
	s_lshl_b32 s21, s20, 2
	s_mul_i32 s22, s20, 12
	s_add_u32 s20, s0, s21
	s_addc_u32 s21, s1, 0
	s_add_u32 s22, s12, s22
	s_addc_u32 s23, s13, 0
	s_mov_b32 s36, s29
	.p2align	6
.LBB75_59:                              ;   Parent Loop BB75_9 Depth=1
                                        ; =>  This Inner Loop Header: Depth=2
	s_clause 0x1
	s_load_b64 s[38:39], s[22:23], 0x4
	s_load_b32 s37, s[22:23], 0xc
	s_add_u32 s22, s22, 12
	s_addc_u32 s23, s23, 0
	s_waitcnt lgkmcnt(0)
	v_mul_hi_u32 v8, s39, v7
	s_load_b32 s39, s[20:21], 0x0
	s_add_u32 s20, s20, 4
	s_addc_u32 s21, s21, 0
	s_add_i32 s36, s36, -1
	s_delay_alu instid0(SALU_CYCLE_1) | instskip(NEXT) | instid1(VALU_DEP_1)
	s_cmp_lg_u32 s36, 0
	v_add_nc_u32_e32 v8, v7, v8
	s_delay_alu instid0(VALU_DEP_1) | instskip(NEXT) | instid1(VALU_DEP_1)
	v_lshrrev_b32_e32 v10, s37, v8
	v_mul_lo_u32 v8, v10, s38
	s_delay_alu instid0(VALU_DEP_1) | instskip(SKIP_1) | instid1(VALU_DEP_1)
	v_sub_nc_u32_e32 v7, v7, v8
	s_waitcnt lgkmcnt(0)
	v_mad_u64_u32 v[8:9], null, v7, s39, v[1:2]
	v_mov_b32_e32 v7, v10
	s_delay_alu instid0(VALU_DEP_2)
	v_mov_b32_e32 v1, v8
	s_cbranch_scc1 .LBB75_59
.LBB75_60:                              ;   in Loop: Header=BB75_9 Depth=1
	s_cbranch_execnz .LBB75_63
.LBB75_61:                              ;   in Loop: Header=BB75_9 Depth=1
	v_mul_hi_u32 v1, v0, s6
	s_and_not1_b32 vcc_lo, exec_lo, s4
	s_delay_alu instid0(VALU_DEP_1) | instskip(NEXT) | instid1(VALU_DEP_1)
	v_add_nc_u32_e32 v1, v1, v0
	v_lshrrev_b32_e32 v7, s7, v1
	s_delay_alu instid0(VALU_DEP_1) | instskip(NEXT) | instid1(VALU_DEP_1)
	v_mul_lo_u32 v1, v7, s5
	v_sub_nc_u32_e32 v0, v0, v1
	s_delay_alu instid0(VALU_DEP_1)
	v_mul_lo_u32 v1, v0, s14
	s_cbranch_vccnz .LBB75_63
; %bb.62:                               ;   in Loop: Header=BB75_9 Depth=1
	v_mul_hi_u32 v0, s9, v7
	s_delay_alu instid0(VALU_DEP_1) | instskip(NEXT) | instid1(VALU_DEP_1)
	v_add_nc_u32_e32 v0, v7, v0
	v_lshrrev_b32_e32 v0, s10, v0
	s_delay_alu instid0(VALU_DEP_1) | instskip(NEXT) | instid1(VALU_DEP_1)
	v_mul_lo_u32 v0, v0, s8
	v_sub_nc_u32_e32 v0, v7, v0
	s_delay_alu instid0(VALU_DEP_1) | instskip(NEXT) | instid1(VALU_DEP_1)
	v_mad_u64_u32 v[7:8], null, v0, s15, v[1:2]
	v_mov_b32_e32 v1, v7
.LBB75_63:                              ;   in Loop: Header=BB75_9 Depth=1
	v_and_b32_e32 v0, 0x7f, v2
	global_store_b8 v1, v0, s[18:19]
.LBB75_64:                              ;   in Loop: Header=BB75_9 Depth=1
	s_or_b32 exec_lo, exec_lo, s35
	v_add_co_u32 v0, vcc_lo, v13, s33
	v_add_co_ci_u32_e32 v1, vcc_lo, 0, v14, vcc_lo
	s_mov_b32 s35, exec_lo
	s_delay_alu instid0(VALU_DEP_1)
	v_cmpx_gt_i64_e64 s[16:17], v[0:1]
	s_cbranch_execz .LBB75_8
; %bb.65:                               ;   in Loop: Header=BB75_9 Depth=1
	s_and_not1_b32 vcc_lo, exec_lo, s11
	s_cbranch_vccnz .LBB75_71
; %bb.66:                               ;   in Loop: Header=BB75_9 Depth=1
	v_mov_b32_e32 v1, 0
	s_and_not1_b32 vcc_lo, exec_lo, s27
	s_cbranch_vccnz .LBB75_75
; %bb.67:                               ;   in Loop: Header=BB75_9 Depth=1
	s_and_not1_b32 vcc_lo, exec_lo, s30
	s_mov_b32 s20, 0
	s_cbranch_vccnz .LBB75_72
; %bb.68:                               ;   in Loop: Header=BB75_9 Depth=1
	v_dual_mov_b32 v1, 0 :: v_dual_mov_b32 v2, v0
	s_mov_b32 s36, 0
	s_mov_b64 s[20:21], s[12:13]
	s_mov_b64 s[22:23], s[0:1]
.LBB75_69:                              ;   Parent Loop BB75_9 Depth=1
                                        ; =>  This Inner Loop Header: Depth=2
	s_clause 0x1
	s_load_b256 s[40:47], s[20:21], 0x4
	s_load_b128 s[48:51], s[20:21], 0x24
	s_load_b128 s[52:55], s[22:23], 0x0
	s_add_u32 s20, s20, 48
	s_addc_u32 s21, s21, 0
	s_add_i32 s36, s36, 4
	s_add_u32 s22, s22, 16
	s_addc_u32 s23, s23, 0
	s_cmp_eq_u32 s31, s36
	s_waitcnt lgkmcnt(0)
	v_mul_hi_u32 v7, s41, v2
	s_delay_alu instid0(VALU_DEP_1) | instskip(NEXT) | instid1(VALU_DEP_1)
	v_add_nc_u32_e32 v7, v2, v7
	v_lshrrev_b32_e32 v7, s42, v7
	s_delay_alu instid0(VALU_DEP_1) | instskip(SKIP_1) | instid1(VALU_DEP_2)
	v_mul_hi_u32 v8, s44, v7
	v_mul_lo_u32 v16, v7, s40
	v_add_nc_u32_e32 v8, v7, v8
	s_delay_alu instid0(VALU_DEP_2) | instskip(NEXT) | instid1(VALU_DEP_2)
	v_sub_nc_u32_e32 v16, v2, v16
	v_lshrrev_b32_e32 v8, s45, v8
	s_delay_alu instid0(VALU_DEP_2) | instskip(NEXT) | instid1(VALU_DEP_2)
	v_mul_lo_u32 v16, v16, s52
	v_mul_hi_u32 v9, s47, v8
	v_mul_lo_u32 v40, v8, s43
	s_delay_alu instid0(VALU_DEP_2) | instskip(NEXT) | instid1(VALU_DEP_2)
	v_add_nc_u32_e32 v9, v8, v9
	v_sub_nc_u32_e32 v7, v7, v40
	s_delay_alu instid0(VALU_DEP_2) | instskip(NEXT) | instid1(VALU_DEP_2)
	v_lshrrev_b32_e32 v9, s48, v9
	v_mul_lo_u32 v7, v7, s53
	s_delay_alu instid0(VALU_DEP_2) | instskip(NEXT) | instid1(VALU_DEP_2)
	v_mul_hi_u32 v10, s50, v9
	v_add3_u32 v1, v16, v1, v7
	s_delay_alu instid0(VALU_DEP_2) | instskip(NEXT) | instid1(VALU_DEP_1)
	v_add_nc_u32_e32 v10, v9, v10
	v_lshrrev_b32_e32 v2, s51, v10
	v_mul_lo_u32 v10, v9, s46
	s_delay_alu instid0(VALU_DEP_2) | instskip(NEXT) | instid1(VALU_DEP_2)
	v_mul_lo_u32 v41, v2, s49
	v_sub_nc_u32_e32 v8, v8, v10
	s_delay_alu instid0(VALU_DEP_2) | instskip(NEXT) | instid1(VALU_DEP_2)
	v_sub_nc_u32_e32 v9, v9, v41
	v_mul_lo_u32 v8, v8, s54
	s_delay_alu instid0(VALU_DEP_2) | instskip(NEXT) | instid1(VALU_DEP_1)
	v_mul_lo_u32 v9, v9, s55
	v_add3_u32 v1, v8, v1, v9
	s_cbranch_scc0 .LBB75_69
; %bb.70:                               ;   in Loop: Header=BB75_9 Depth=1
	s_mov_b32 s20, s31
	s_and_not1_b32 vcc_lo, exec_lo, s34
	s_cbranch_vccz .LBB75_73
	s_branch .LBB75_75
.LBB75_71:                              ;   in Loop: Header=BB75_9 Depth=1
                                        ; implicit-def: $vgpr1
	s_branch .LBB75_76
.LBB75_72:                              ;   in Loop: Header=BB75_9 Depth=1
	v_mov_b32_e32 v2, v0
	s_and_not1_b32 vcc_lo, exec_lo, s34
	s_cbranch_vccnz .LBB75_75
.LBB75_73:                              ;   in Loop: Header=BB75_9 Depth=1
	s_lshl_b32 s21, s20, 2
	s_mul_i32 s22, s20, 12
	s_add_u32 s20, s0, s21
	s_addc_u32 s21, s1, 0
	s_add_u32 s22, s12, s22
	s_addc_u32 s23, s13, 0
	s_mov_b32 s36, s29
	.p2align	6
.LBB75_74:                              ;   Parent Loop BB75_9 Depth=1
                                        ; =>  This Inner Loop Header: Depth=2
	s_clause 0x1
	s_load_b64 s[38:39], s[22:23], 0x4
	s_load_b32 s37, s[22:23], 0xc
	s_add_u32 s22, s22, 12
	s_addc_u32 s23, s23, 0
	s_waitcnt lgkmcnt(0)
	v_mul_hi_u32 v7, s39, v2
	s_load_b32 s39, s[20:21], 0x0
	s_add_u32 s20, s20, 4
	s_addc_u32 s21, s21, 0
	s_add_i32 s36, s36, -1
	s_delay_alu instid0(SALU_CYCLE_1) | instskip(NEXT) | instid1(VALU_DEP_1)
	s_cmp_lg_u32 s36, 0
	v_add_nc_u32_e32 v7, v2, v7
	s_delay_alu instid0(VALU_DEP_1) | instskip(NEXT) | instid1(VALU_DEP_1)
	v_lshrrev_b32_e32 v9, s37, v7
	v_mul_lo_u32 v7, v9, s38
	s_delay_alu instid0(VALU_DEP_1) | instskip(SKIP_1) | instid1(VALU_DEP_1)
	v_sub_nc_u32_e32 v2, v2, v7
	s_waitcnt lgkmcnt(0)
	v_mad_u64_u32 v[7:8], null, v2, s39, v[1:2]
	s_delay_alu instid0(VALU_DEP_1)
	v_dual_mov_b32 v2, v9 :: v_dual_mov_b32 v1, v7
	s_cbranch_scc1 .LBB75_74
.LBB75_75:                              ;   in Loop: Header=BB75_9 Depth=1
	s_cbranch_execnz .LBB75_7
.LBB75_76:                              ;   in Loop: Header=BB75_9 Depth=1
	v_mul_hi_u32 v1, v0, s6
	s_and_not1_b32 vcc_lo, exec_lo, s4
	s_delay_alu instid0(VALU_DEP_1) | instskip(NEXT) | instid1(VALU_DEP_1)
	v_add_nc_u32_e32 v1, v1, v0
	v_lshrrev_b32_e32 v2, s7, v1
	s_delay_alu instid0(VALU_DEP_1) | instskip(NEXT) | instid1(VALU_DEP_1)
	v_mul_lo_u32 v1, v2, s5
	v_sub_nc_u32_e32 v0, v0, v1
	s_delay_alu instid0(VALU_DEP_1)
	v_mul_lo_u32 v1, v0, s14
	s_cbranch_vccnz .LBB75_7
; %bb.77:                               ;   in Loop: Header=BB75_9 Depth=1
	v_mul_hi_u32 v0, s9, v2
	s_delay_alu instid0(VALU_DEP_1) | instskip(NEXT) | instid1(VALU_DEP_1)
	v_add_nc_u32_e32 v0, v2, v0
	v_lshrrev_b32_e32 v0, s10, v0
	s_delay_alu instid0(VALU_DEP_1) | instskip(NEXT) | instid1(VALU_DEP_1)
	v_mul_lo_u32 v0, v0, s8
	v_sub_nc_u32_e32 v0, v2, v0
	s_delay_alu instid0(VALU_DEP_1) | instskip(NEXT) | instid1(VALU_DEP_1)
	v_mad_u64_u32 v[7:8], null, v0, s15, v[1:2]
	v_mov_b32_e32 v1, v7
	s_branch .LBB75_7
.LBB75_78:
	s_endpgm
.LBB75_79:
                                        ; implicit-def: $sgpr2_sgpr3
	s_branch .LBB75_4
	.section	.rodata,"a",@progbits
	.p2align	6, 0x0
	.amdhsa_kernel _ZN2at6native12_GLOBAL__N_143distribution_elementwise_grid_stride_kernelIjLi4EZZZNS0_9templates4cuda13random_kernelIPNS_17CUDAGeneratorImplEEEvRNS_18TensorIteratorBaseET_ENKUlvE_clEvENKUlvE0_clEvEUlP25hiprandStatePhilox4_32_10E0_ZNS1_27distribution_nullary_kernelIaj15HIP_vector_typeIjLj4EES7_SF_ZZZNS5_IS7_EEvS9_SA_ENKSB_clEvENKSC_clEvEUljE_EEvS9_T2_RKT3_T4_EUlijE0_EEvlNS_15PhiloxCudaStateET1_SK_
		.amdhsa_group_segment_fixed_size 0
		.amdhsa_private_segment_fixed_size 0
		.amdhsa_kernarg_size 584
		.amdhsa_user_sgpr_count 15
		.amdhsa_user_sgpr_dispatch_ptr 0
		.amdhsa_user_sgpr_queue_ptr 0
		.amdhsa_user_sgpr_kernarg_segment_ptr 1
		.amdhsa_user_sgpr_dispatch_id 0
		.amdhsa_user_sgpr_private_segment_size 0
		.amdhsa_wavefront_size32 1
		.amdhsa_uses_dynamic_stack 0
		.amdhsa_enable_private_segment 0
		.amdhsa_system_sgpr_workgroup_id_x 1
		.amdhsa_system_sgpr_workgroup_id_y 0
		.amdhsa_system_sgpr_workgroup_id_z 0
		.amdhsa_system_sgpr_workgroup_info 0
		.amdhsa_system_vgpr_workitem_id 0
		.amdhsa_next_free_vgpr 44
		.amdhsa_next_free_sgpr 56
		.amdhsa_reserve_vcc 1
		.amdhsa_float_round_mode_32 0
		.amdhsa_float_round_mode_16_64 0
		.amdhsa_float_denorm_mode_32 3
		.amdhsa_float_denorm_mode_16_64 3
		.amdhsa_dx10_clamp 1
		.amdhsa_ieee_mode 1
		.amdhsa_fp16_overflow 0
		.amdhsa_workgroup_processor_mode 1
		.amdhsa_memory_ordered 1
		.amdhsa_forward_progress 0
		.amdhsa_shared_vgpr_count 0
		.amdhsa_exception_fp_ieee_invalid_op 0
		.amdhsa_exception_fp_denorm_src 0
		.amdhsa_exception_fp_ieee_div_zero 0
		.amdhsa_exception_fp_ieee_overflow 0
		.amdhsa_exception_fp_ieee_underflow 0
		.amdhsa_exception_fp_ieee_inexact 0
		.amdhsa_exception_int_div_zero 0
	.end_amdhsa_kernel
	.section	.text._ZN2at6native12_GLOBAL__N_143distribution_elementwise_grid_stride_kernelIjLi4EZZZNS0_9templates4cuda13random_kernelIPNS_17CUDAGeneratorImplEEEvRNS_18TensorIteratorBaseET_ENKUlvE_clEvENKUlvE0_clEvEUlP25hiprandStatePhilox4_32_10E0_ZNS1_27distribution_nullary_kernelIaj15HIP_vector_typeIjLj4EES7_SF_ZZZNS5_IS7_EEvS9_SA_ENKSB_clEvENKSC_clEvEUljE_EEvS9_T2_RKT3_T4_EUlijE0_EEvlNS_15PhiloxCudaStateET1_SK_,"axG",@progbits,_ZN2at6native12_GLOBAL__N_143distribution_elementwise_grid_stride_kernelIjLi4EZZZNS0_9templates4cuda13random_kernelIPNS_17CUDAGeneratorImplEEEvRNS_18TensorIteratorBaseET_ENKUlvE_clEvENKUlvE0_clEvEUlP25hiprandStatePhilox4_32_10E0_ZNS1_27distribution_nullary_kernelIaj15HIP_vector_typeIjLj4EES7_SF_ZZZNS5_IS7_EEvS9_SA_ENKSB_clEvENKSC_clEvEUljE_EEvS9_T2_RKT3_T4_EUlijE0_EEvlNS_15PhiloxCudaStateET1_SK_,comdat
.Lfunc_end75:
	.size	_ZN2at6native12_GLOBAL__N_143distribution_elementwise_grid_stride_kernelIjLi4EZZZNS0_9templates4cuda13random_kernelIPNS_17CUDAGeneratorImplEEEvRNS_18TensorIteratorBaseET_ENKUlvE_clEvENKUlvE0_clEvEUlP25hiprandStatePhilox4_32_10E0_ZNS1_27distribution_nullary_kernelIaj15HIP_vector_typeIjLj4EES7_SF_ZZZNS5_IS7_EEvS9_SA_ENKSB_clEvENKSC_clEvEUljE_EEvS9_T2_RKT3_T4_EUlijE0_EEvlNS_15PhiloxCudaStateET1_SK_, .Lfunc_end75-_ZN2at6native12_GLOBAL__N_143distribution_elementwise_grid_stride_kernelIjLi4EZZZNS0_9templates4cuda13random_kernelIPNS_17CUDAGeneratorImplEEEvRNS_18TensorIteratorBaseET_ENKUlvE_clEvENKUlvE0_clEvEUlP25hiprandStatePhilox4_32_10E0_ZNS1_27distribution_nullary_kernelIaj15HIP_vector_typeIjLj4EES7_SF_ZZZNS5_IS7_EEvS9_SA_ENKSB_clEvENKSC_clEvEUljE_EEvS9_T2_RKT3_T4_EUlijE0_EEvlNS_15PhiloxCudaStateET1_SK_
                                        ; -- End function
	.section	.AMDGPU.csdata,"",@progbits
; Kernel info:
; codeLenInByte = 5168
; NumSgprs: 58
; NumVgprs: 44
; ScratchSize: 0
; MemoryBound: 0
; FloatMode: 240
; IeeeMode: 1
; LDSByteSize: 0 bytes/workgroup (compile time only)
; SGPRBlocks: 7
; VGPRBlocks: 5
; NumSGPRsForWavesPerEU: 58
; NumVGPRsForWavesPerEU: 44
; Occupancy: 16
; WaveLimiterHint : 1
; COMPUTE_PGM_RSRC2:SCRATCH_EN: 0
; COMPUTE_PGM_RSRC2:USER_SGPR: 15
; COMPUTE_PGM_RSRC2:TRAP_HANDLER: 0
; COMPUTE_PGM_RSRC2:TGID_X_EN: 1
; COMPUTE_PGM_RSRC2:TGID_Y_EN: 0
; COMPUTE_PGM_RSRC2:TGID_Z_EN: 0
; COMPUTE_PGM_RSRC2:TIDIG_COMP_CNT: 0
	.section	.text._ZN2at6native12_GLOBAL__N_143distribution_elementwise_grid_stride_kernelImLi2EZZZNS0_9templates4cuda13random_kernelIPNS_17CUDAGeneratorImplEEEvRNS_18TensorIteratorBaseET_ENKUlvE_clEvENKUlvE1_clEvEUlP25hiprandStatePhilox4_32_10E_ZNS1_27distribution_nullary_kernelIim15HIP_vector_typeIyLj2EES7_SF_ZZZNS5_IS7_EEvS9_SA_ENKSB_clEvENKSC_clEvEUlmE_EEvS9_T2_RKT3_T4_EUlimE_EEvlNS_15PhiloxCudaStateET1_SK_,"axG",@progbits,_ZN2at6native12_GLOBAL__N_143distribution_elementwise_grid_stride_kernelImLi2EZZZNS0_9templates4cuda13random_kernelIPNS_17CUDAGeneratorImplEEEvRNS_18TensorIteratorBaseET_ENKUlvE_clEvENKUlvE1_clEvEUlP25hiprandStatePhilox4_32_10E_ZNS1_27distribution_nullary_kernelIim15HIP_vector_typeIyLj2EES7_SF_ZZZNS5_IS7_EEvS9_SA_ENKSB_clEvENKSC_clEvEUlmE_EEvS9_T2_RKT3_T4_EUlimE_EEvlNS_15PhiloxCudaStateET1_SK_,comdat
	.globl	_ZN2at6native12_GLOBAL__N_143distribution_elementwise_grid_stride_kernelImLi2EZZZNS0_9templates4cuda13random_kernelIPNS_17CUDAGeneratorImplEEEvRNS_18TensorIteratorBaseET_ENKUlvE_clEvENKUlvE1_clEvEUlP25hiprandStatePhilox4_32_10E_ZNS1_27distribution_nullary_kernelIim15HIP_vector_typeIyLj2EES7_SF_ZZZNS5_IS7_EEvS9_SA_ENKSB_clEvENKSC_clEvEUlmE_EEvS9_T2_RKT3_T4_EUlimE_EEvlNS_15PhiloxCudaStateET1_SK_ ; -- Begin function _ZN2at6native12_GLOBAL__N_143distribution_elementwise_grid_stride_kernelImLi2EZZZNS0_9templates4cuda13random_kernelIPNS_17CUDAGeneratorImplEEEvRNS_18TensorIteratorBaseET_ENKUlvE_clEvENKUlvE1_clEvEUlP25hiprandStatePhilox4_32_10E_ZNS1_27distribution_nullary_kernelIim15HIP_vector_typeIyLj2EES7_SF_ZZZNS5_IS7_EEvS9_SA_ENKSB_clEvENKSC_clEvEUlmE_EEvS9_T2_RKT3_T4_EUlimE_EEvlNS_15PhiloxCudaStateET1_SK_
	.p2align	8
	.type	_ZN2at6native12_GLOBAL__N_143distribution_elementwise_grid_stride_kernelImLi2EZZZNS0_9templates4cuda13random_kernelIPNS_17CUDAGeneratorImplEEEvRNS_18TensorIteratorBaseET_ENKUlvE_clEvENKUlvE1_clEvEUlP25hiprandStatePhilox4_32_10E_ZNS1_27distribution_nullary_kernelIim15HIP_vector_typeIyLj2EES7_SF_ZZZNS5_IS7_EEvS9_SA_ENKSB_clEvENKSC_clEvEUlmE_EEvS9_T2_RKT3_T4_EUlimE_EEvlNS_15PhiloxCudaStateET1_SK_,@function
_ZN2at6native12_GLOBAL__N_143distribution_elementwise_grid_stride_kernelImLi2EZZZNS0_9templates4cuda13random_kernelIPNS_17CUDAGeneratorImplEEEvRNS_18TensorIteratorBaseET_ENKUlvE_clEvENKUlvE1_clEvEUlP25hiprandStatePhilox4_32_10E_ZNS1_27distribution_nullary_kernelIim15HIP_vector_typeIyLj2EES7_SF_ZZZNS5_IS7_EEvS9_SA_ENKSB_clEvENKSC_clEvEUlmE_EEvS9_T2_RKT3_T4_EUlimE_EEvlNS_15PhiloxCudaStateET1_SK_: ; @_ZN2at6native12_GLOBAL__N_143distribution_elementwise_grid_stride_kernelImLi2EZZZNS0_9templates4cuda13random_kernelIPNS_17CUDAGeneratorImplEEEvRNS_18TensorIteratorBaseET_ENKUlvE_clEvENKUlvE1_clEvEUlP25hiprandStatePhilox4_32_10E_ZNS1_27distribution_nullary_kernelIim15HIP_vector_typeIyLj2EES7_SF_ZZZNS5_IS7_EEvS9_SA_ENKSB_clEvENKSC_clEvEUlmE_EEvS9_T2_RKT3_T4_EUlimE_EEvlNS_15PhiloxCudaStateET1_SK_
; %bb.0:
	s_clause 0x2
	s_load_b64 s[8:9], s[0:1], 0x10
	s_load_b128 s[4:7], s[0:1], 0x0
	s_load_b32 s2, s[0:1], 0x20
	s_waitcnt lgkmcnt(0)
	v_dual_mov_b32 v2, s8 :: v_dual_mov_b32 v3, s9
	v_dual_mov_b32 v11, s7 :: v_dual_mov_b32 v10, s6
	s_bitcmp0_b32 s2, 0
	s_mov_b32 s2, 0
	s_cbranch_scc1 .LBB76_2
; %bb.1:
	v_dual_mov_b32 v1, s8 :: v_dual_mov_b32 v2, s9
	v_dual_mov_b32 v4, s6 :: v_dual_mov_b32 v5, s7
	s_load_b64 s[6:7], s[0:1], 0x18
	flat_load_b64 v[2:3], v[1:2]
	flat_load_b64 v[10:11], v[4:5]
	s_waitcnt vmcnt(1) lgkmcnt(0)
	v_add_co_u32 v2, vcc_lo, v2, s6
	v_add_co_ci_u32_e32 v3, vcc_lo, s7, v3, vcc_lo
.LBB76_2:
	s_clause 0x1
	s_load_b32 s3, s[0:1], 0x4c
	s_load_b32 s11, s[0:1], 0x40
	s_waitcnt lgkmcnt(0)
	s_and_b32 s10, s3, 0xffff
	s_add_u32 s6, s4, -1
	s_mul_i32 s8, s11, s10
	s_addc_u32 s3, s5, -1
	s_lshl_b32 s9, s8, 1
	s_cmp_lg_u64 s[2:3], 0
	s_cbranch_scc0 .LBB76_23
; %bb.3:
	v_cvt_f32_ubyte0_e32 v1, 0
	v_cvt_f32_u32_e32 v4, s9
	s_sub_u32 s12, 0, s9
	s_subb_u32 s13, 0, 0
	s_delay_alu instid0(VALU_DEP_1) | instskip(NEXT) | instid1(VALU_DEP_1)
	v_fmamk_f32 v1, v1, 0x4f800000, v4
	v_rcp_f32_e32 v1, v1
	s_waitcnt_depctr 0xfff
	v_mul_f32_e32 v1, 0x5f7ffffc, v1
	s_delay_alu instid0(VALU_DEP_1) | instskip(NEXT) | instid1(VALU_DEP_1)
	v_mul_f32_e32 v4, 0x2f800000, v1
	v_trunc_f32_e32 v4, v4
	s_delay_alu instid0(VALU_DEP_1) | instskip(SKIP_1) | instid1(VALU_DEP_2)
	v_fmamk_f32 v1, v4, 0xcf800000, v1
	v_cvt_u32_f32_e32 v4, v4
	v_cvt_u32_f32_e32 v1, v1
	s_delay_alu instid0(VALU_DEP_2) | instskip(NEXT) | instid1(VALU_DEP_2)
	v_readfirstlane_b32 s2, v4
	v_readfirstlane_b32 s7, v1
	s_delay_alu instid0(VALU_DEP_2) | instskip(NEXT) | instid1(VALU_DEP_1)
	s_mul_i32 s14, s12, s2
	s_mul_hi_u32 s17, s12, s7
	s_mul_i32 s16, s13, s7
	s_add_i32 s14, s17, s14
	s_mul_i32 s18, s12, s7
	s_add_i32 s14, s14, s16
	s_mul_hi_u32 s17, s7, s18
	s_mul_hi_u32 s19, s2, s18
	s_mul_i32 s16, s2, s18
	s_mul_hi_u32 s18, s7, s14
	s_mul_i32 s7, s7, s14
	s_mul_hi_u32 s20, s2, s14
	s_add_u32 s7, s17, s7
	s_addc_u32 s17, 0, s18
	s_add_u32 s7, s7, s16
	s_mul_i32 s14, s2, s14
	s_addc_u32 s7, s17, s19
	s_addc_u32 s16, s20, 0
	s_add_u32 s7, s7, s14
	s_addc_u32 s14, 0, s16
	v_add_co_u32 v1, s7, v1, s7
	s_delay_alu instid0(VALU_DEP_1) | instskip(SKIP_1) | instid1(VALU_DEP_1)
	s_cmp_lg_u32 s7, 0
	s_addc_u32 s2, s2, s14
	v_readfirstlane_b32 s7, v1
	s_mul_i32 s14, s12, s2
	s_delay_alu instid0(VALU_DEP_1)
	s_mul_hi_u32 s16, s12, s7
	s_mul_i32 s13, s13, s7
	s_add_i32 s14, s16, s14
	s_mul_i32 s12, s12, s7
	s_add_i32 s14, s14, s13
	s_mul_hi_u32 s16, s2, s12
	s_mul_i32 s17, s2, s12
	s_mul_hi_u32 s12, s7, s12
	s_mul_hi_u32 s18, s7, s14
	s_mul_i32 s7, s7, s14
	s_mul_hi_u32 s13, s2, s14
	s_add_u32 s7, s12, s7
	s_addc_u32 s12, 0, s18
	s_add_u32 s7, s7, s17
	s_mul_i32 s14, s2, s14
	s_addc_u32 s7, s12, s16
	s_addc_u32 s12, s13, 0
	s_add_u32 s7, s7, s14
	s_addc_u32 s12, 0, s12
	v_add_co_u32 v1, s7, v1, s7
	s_delay_alu instid0(VALU_DEP_1) | instskip(SKIP_2) | instid1(VALU_DEP_1)
	s_cmp_lg_u32 s7, 0
	s_addc_u32 s7, s2, s12
	s_ashr_i32 s12, s3, 31
	v_readfirstlane_b32 s14, v1
	s_add_u32 s2, s6, s12
	s_mov_b32 s13, s12
	s_addc_u32 s3, s3, s12
	s_delay_alu instid0(SALU_CYCLE_1) | instskip(NEXT) | instid1(SALU_CYCLE_1)
	s_xor_b64 s[2:3], s[2:3], s[12:13]
	s_mul_i32 s17, s2, s7
	s_mul_hi_u32 s18, s2, s14
	s_mul_hi_u32 s16, s2, s7
	;; [unrolled: 1-line block ×3, first 2 shown]
	s_mul_i32 s14, s3, s14
	s_add_u32 s17, s18, s17
	s_addc_u32 s16, 0, s16
	s_mul_hi_u32 s19, s3, s7
	s_add_u32 s14, s17, s14
	s_mul_i32 s7, s3, s7
	s_addc_u32 s14, s16, s20
	s_addc_u32 s16, s19, 0
	s_add_u32 s7, s14, s7
	s_addc_u32 s14, 0, s16
	s_mul_i32 s17, s9, s7
	s_add_u32 s16, s7, 1
	v_sub_co_u32 v1, s2, s2, s17
	s_mul_hi_u32 s17, s9, s7
	s_addc_u32 s18, s14, 0
	s_mul_i32 s19, s9, s14
	s_delay_alu instid0(VALU_DEP_1)
	v_sub_co_u32 v4, s20, v1, s9
	s_add_u32 s21, s7, 2
	s_addc_u32 s22, s14, 0
	s_add_i32 s17, s17, s19
	s_cmp_lg_u32 s2, 0
	v_readfirstlane_b32 s2, v4
	s_subb_u32 s3, s3, s17
	s_cmp_lg_u32 s20, 0
	s_subb_u32 s17, s3, 0
	s_delay_alu instid0(VALU_DEP_1) | instskip(SKIP_4) | instid1(SALU_CYCLE_1)
	s_cmp_ge_u32 s2, s9
	s_cselect_b32 s2, -1, 0
	s_cmp_eq_u32 s17, 0
	v_readfirstlane_b32 s17, v1
	s_cselect_b32 s2, s2, -1
	s_cmp_lg_u32 s2, 0
	s_cselect_b32 s2, s21, s16
	s_cselect_b32 s16, s22, s18
	s_cmp_ge_u32 s17, s9
	s_cselect_b32 s17, -1, 0
	s_cmp_eq_u32 s3, 0
	s_cselect_b32 s3, s17, -1
	s_delay_alu instid0(SALU_CYCLE_1) | instskip(SKIP_2) | instid1(SALU_CYCLE_1)
	s_cmp_lg_u32 s3, 0
	s_cselect_b32 s3, s16, s14
	s_cselect_b32 s2, s2, s7
	s_xor_b64 s[2:3], s[2:3], s[12:13]
	s_delay_alu instid0(SALU_CYCLE_1)
	s_sub_u32 s2, s2, s12
	s_subb_u32 s3, s3, s12
	s_cbranch_execnz .LBB76_5
.LBB76_4:
	v_cvt_f32_u32_e32 v1, s9
	s_sub_i32 s3, 0, s9
	s_delay_alu instid0(VALU_DEP_1) | instskip(SKIP_2) | instid1(VALU_DEP_1)
	v_rcp_iflag_f32_e32 v1, v1
	s_waitcnt_depctr 0xfff
	v_mul_f32_e32 v1, 0x4f7ffffe, v1
	v_cvt_u32_f32_e32 v1, v1
	s_delay_alu instid0(VALU_DEP_1) | instskip(NEXT) | instid1(VALU_DEP_1)
	v_readfirstlane_b32 s2, v1
	s_mul_i32 s3, s3, s2
	s_delay_alu instid0(SALU_CYCLE_1) | instskip(NEXT) | instid1(SALU_CYCLE_1)
	s_mul_hi_u32 s3, s2, s3
	s_add_i32 s2, s2, s3
	s_delay_alu instid0(SALU_CYCLE_1) | instskip(NEXT) | instid1(SALU_CYCLE_1)
	s_mul_hi_u32 s2, s6, s2
	s_mul_i32 s3, s2, s9
	s_delay_alu instid0(SALU_CYCLE_1)
	s_sub_i32 s3, s6, s3
	s_add_i32 s6, s2, 1
	s_sub_i32 s7, s3, s9
	s_cmp_ge_u32 s3, s9
	s_cselect_b32 s2, s6, s2
	s_cselect_b32 s3, s7, s3
	s_add_i32 s6, s2, 1
	s_cmp_ge_u32 s3, s9
	s_mov_b32 s3, 0
	s_cselect_b32 s2, s6, s2
.LBB76_5:
	v_mov_b32_e32 v1, 0
	s_add_u32 s2, s2, 1
	s_addc_u32 s3, s3, 0
	s_mul_hi_u32 s6, s8, s2
	s_mul_i32 s3, s8, s3
	v_mad_u64_u32 v[12:13], null, s10, s15, v[0:1]
	s_mul_hi_u32 s7, s11, s10
	s_add_i32 s3, s6, s3
	s_mul_i32 s7, s7, s2
	s_mul_i32 s2, s8, s2
	s_add_i32 s3, s3, s7
	s_mov_b32 s6, exec_lo
	s_lshl_b64 s[2:3], s[2:3], 1
	s_delay_alu instid0(SALU_CYCLE_1)
	v_cmpx_gt_i64_e64 s[2:3], v[12:13]
	s_cbranch_execz .LBB76_22
; %bb.6:
	v_mad_u64_u32 v[4:5], null, 0xcd9e8d57, v12, 0
	v_alignbit_b32 v16, v3, v2, 2
	v_lshrrev_b32_e32 v17, 2, v3
	s_waitcnt vmcnt(0)
	v_dual_mov_b32 v33, v11 :: v_dual_and_b32 v34, 3, v2
	v_add_co_u32 v19, null, 0x9e3779b9, v10
	v_mad_u64_u32 v[6:7], null, 0xd2511f53, v16, 0
	v_xor3_b32 v1, v10, v5, v17
	s_delay_alu instid0(VALU_DEP_4) | instskip(SKIP_1) | instid1(VALU_DEP_3)
	v_add_co_u32 v18, null, 0xbb67ae85, v33
	v_add_co_u32 v20, null, 0x3c6ef372, v10
	v_mad_u64_u32 v[8:9], null, 0xd2511f53, v1, 0
	v_xor_b32_e32 v1, v7, v11
	v_add_co_u32 v21, null, 0x76cf5d0a, v33
	v_add_co_u32 v22, null, 0x32370b8f, v33
	s_delay_alu instid0(VALU_DEP_3) | instskip(SKIP_3) | instid1(VALU_DEP_4)
	v_xor_b32_e32 v1, v1, v13
	v_xor3_b32 v3, v18, v9, v6
	v_add_co_u32 v23, null, 0xdaa66d2b, v10
	v_add_co_u32 v24, null, 0x78dde6e4, v10
	v_mad_u64_u32 v[5:6], null, 0xcd9e8d57, v1, 0
	s_delay_alu instid0(VALU_DEP_4) | instskip(SKIP_2) | instid1(VALU_DEP_4)
	v_mad_u64_u32 v[14:15], null, 0xcd9e8d57, v3, 0
	v_add_co_u32 v25, null, 0xed9eba14, v33
	v_add_co_u32 v26, null, 0xa9066899, v33
	v_xor3_b32 v1, v19, v6, v4
	v_add_co_u32 v27, null, 0x1715609d, v10
	v_xor3_b32 v7, v20, v15, v5
	v_add_co_u32 v28, null, 0xb54cda56, v10
	s_delay_alu instid0(VALU_DEP_4) | instskip(NEXT) | instid1(VALU_DEP_3)
	v_mad_u64_u32 v[3:4], null, 0xd2511f53, v1, 0
	v_mad_u64_u32 v[5:6], null, 0xd2511f53, v7, 0
	v_add_co_u32 v29, null, 0x646e171e, v33
	v_add_co_u32 v30, null, 0x1fd5c5a3, v33
	s_delay_alu instid0(VALU_DEP_4)
	v_xor3_b32 v1, v21, v4, v8
	v_add_co_u32 v31, null, 0x5384540f, v10
	v_xor3_b32 v8, v22, v6, v3
	s_clause 0x1
	s_load_b64 s[6:7], s[0:1], 0x30
	s_load_b32 s0, s[0:1], 0x38
	v_mad_u64_u32 v[3:4], null, 0xcd9e8d57, v1, 0
	v_add_co_u32 v32, null, 0xf1bbcdc8, v10
	v_mad_u64_u32 v[6:7], null, 0xcd9e8d57, v8, 0
	v_add_co_u32 v33, null, 0xdb3d7428, v33
	s_delay_alu instid0(VALU_DEP_4) | instskip(SKIP_3) | instid1(VALU_DEP_4)
	v_xor3_b32 v1, v23, v4, v14
	v_dual_mov_b32 v39, v12 :: v_dual_add_nc_u32 v36, 0x96a522ad, v11
	v_dual_mov_b32 v40, v13 :: v_dual_add_nc_u32 v35, 0x8ff34781, v10
	v_xor3_b32 v9, v24, v7, v3
	v_mad_u64_u32 v[3:4], null, 0xd2511f53, v1, 0
	s_delay_alu instid0(VALU_DEP_2) | instskip(SKIP_2) | instid1(VALU_DEP_2)
	v_mad_u64_u32 v[7:8], null, 0xd2511f53, v9, 0
	s_waitcnt lgkmcnt(0)
	s_mul_i32 s1, s11, s0
	v_xor3_b32 v1, v25, v4, v5
	s_mul_i32 s1, s1, s10
	s_delay_alu instid0(SALU_CYCLE_1) | instskip(NEXT) | instid1(VALU_DEP_2)
	s_lshl_b32 s1, s1, 1
	v_xor3_b32 v5, v26, v8, v3
	s_delay_alu instid0(VALU_DEP_2) | instskip(NEXT) | instid1(VALU_DEP_2)
	v_mad_u64_u32 v[3:4], null, 0xcd9e8d57, v1, 0
	v_mad_u64_u32 v[8:9], null, 0xcd9e8d57, v5, 0
	s_delay_alu instid0(VALU_DEP_2) | instskip(NEXT) | instid1(VALU_DEP_2)
	v_xor3_b32 v1, v27, v4, v6
	v_xor3_b32 v9, v28, v9, v3
	s_delay_alu instid0(VALU_DEP_2) | instskip(NEXT) | instid1(VALU_DEP_2)
	v_mad_u64_u32 v[3:4], null, 0xd2511f53, v1, 0
	v_mad_u64_u32 v[5:6], null, 0xd2511f53, v9, 0
	s_delay_alu instid0(VALU_DEP_2) | instskip(NEXT) | instid1(VALU_DEP_2)
	v_xor3_b32 v1, v29, v4, v7
	v_xor3_b32 v9, v30, v6, v3
	s_delay_alu instid0(VALU_DEP_2) | instskip(SKIP_1) | instid1(VALU_DEP_3)
	v_mad_u64_u32 v[3:4], null, 0xcd9e8d57, v1, 0
	v_mad_u64_u32 v[14:15], null, s15, s10, v[0:1]
	;; [unrolled: 1-line block ×3, first 2 shown]
	s_add_i32 s15, s15, s11
	s_delay_alu instid0(VALU_DEP_3) | instskip(SKIP_1) | instid1(VALU_DEP_4)
	v_xor3_b32 v4, v31, v4, v8
	v_mad_u64_u32 v[8:9], null, s15, s10, v[0:1]
	v_mul_lo_u32 v37, s0, v14
	s_delay_alu instid0(VALU_DEP_4) | instskip(NEXT) | instid1(VALU_DEP_4)
	v_xor3_b32 v6, v32, v7, v3
	v_mad_u64_u32 v[0:1], null, 0xd2511f53, v4, 0
	s_mov_b32 s10, 0
	s_delay_alu instid0(VALU_DEP_2) | instskip(SKIP_2) | instid1(VALU_DEP_3)
	v_mad_u64_u32 v[3:4], null, 0xd2511f53, v6, 0
	v_mul_lo_u32 v38, s0, v8
	s_mov_b32 s0, 0
	v_xor3_b32 v5, v33, v1, v5
	s_delay_alu instid0(VALU_DEP_1) | instskip(NEXT) | instid1(VALU_DEP_4)
	v_mad_u64_u32 v[1:2], null, 0xcd9e8d57, v5, 0
	v_xor3_b32 v2, v4, v0, v36
	s_branch .LBB76_8
.LBB76_7:                               ;   in Loop: Header=BB76_8 Depth=1
	s_or_b32 exec_lo, exec_lo, s11
	v_add_co_u32 v12, vcc_lo, v12, s9
	v_add_co_ci_u32_e32 v13, vcc_lo, 0, v13, vcc_lo
	v_mov_b32_e32 v6, v14
	v_mov_b32_e32 v0, v3
	v_dual_mov_b32 v1, v4 :: v_dual_mov_b32 v2, v5
	s_delay_alu instid0(VALU_DEP_4) | instskip(NEXT) | instid1(VALU_DEP_4)
	v_cmp_le_i64_e32 vcc_lo, s[2:3], v[12:13]
	v_mov_b32_e32 v3, v6
	s_add_i32 s10, s10, s1
	s_waitcnt_vscnt null, 0x0
	s_barrier
	buffer_gl0_inv
	s_or_b32 s0, vcc_lo, s0
	s_delay_alu instid0(SALU_CYCLE_1)
	s_and_not1_b32 exec_lo, exec_lo, s0
	s_cbranch_execz .LBB76_22
.LBB76_8:                               ; =>This Inner Loop Header: Depth=1
	v_add_co_u32 v16, vcc_lo, v16, 1
	s_delay_alu instid0(VALU_DEP_1) | instskip(SKIP_1) | instid1(VALU_DEP_3)
	v_cndmask_b32_e64 v0, 0, 1, vcc_lo
	v_add_co_ci_u32_e32 v17, vcc_lo, 0, v17, vcc_lo
	v_mad_u64_u32 v[4:5], null, 0xd2511f53, v16, 0
	s_mov_b32 s11, exec_lo
	s_delay_alu instid0(VALU_DEP_2) | instskip(SKIP_1) | instid1(VALU_DEP_1)
	v_cmp_eq_u32_e32 vcc_lo, 0, v17
	v_cndmask_b32_e32 v0, 0, v0, vcc_lo
	v_add_nc_u32_e32 v39, v0, v39
	s_delay_alu instid0(VALU_DEP_1) | instskip(SKIP_2) | instid1(VALU_DEP_2)
	v_cmp_eq_u32_e32 vcc_lo, 0, v39
	v_cndmask_b32_e32 v0, 0, v0, vcc_lo
	v_mad_u64_u32 v[6:7], null, 0xcd9e8d57, v39, 0
	v_add_nc_u32_e32 v40, v0, v40
	v_xor_b32_e32 v0, v5, v11
	s_delay_alu instid0(VALU_DEP_3) | instskip(NEXT) | instid1(VALU_DEP_2)
	v_xor3_b32 v5, v7, v10, v17
	v_xor_b32_e32 v0, v40, v0
	s_delay_alu instid0(VALU_DEP_2) | instskip(NEXT) | instid1(VALU_DEP_2)
	v_mad_u64_u32 v[7:8], null, 0xd2511f53, v5, 0
	v_mad_u64_u32 v[14:15], null, 0xcd9e8d57, v0, 0
	s_delay_alu instid0(VALU_DEP_2) | instskip(NEXT) | instid1(VALU_DEP_2)
	v_xor3_b32 v0, v18, v8, v4
	v_xor3_b32 v6, v19, v15, v6
	s_delay_alu instid0(VALU_DEP_2) | instskip(NEXT) | instid1(VALU_DEP_2)
	v_mad_u64_u32 v[4:5], null, 0xcd9e8d57, v0, 0
	v_mad_u64_u32 v[8:9], null, 0xd2511f53, v6, 0
	s_delay_alu instid0(VALU_DEP_2) | instskip(NEXT) | instid1(VALU_DEP_2)
	v_xor3_b32 v0, v20, v5, v14
	v_xor3_b32 v7, v21, v9, v7
	;; [unrolled: 6-line block ×9, first 2 shown]
	s_delay_alu instid0(VALU_DEP_2)
	v_mov_b32_e32 v5, v8
	v_cmpx_lt_i32_e32 1, v34
	s_xor_b32 s11, exec_lo, s11
	s_cbranch_execnz .LBB76_14
; %bb.9:                                ;   in Loop: Header=BB76_8 Depth=1
	s_and_not1_saveexec_b32 s11, s11
	s_cbranch_execnz .LBB76_19
.LBB76_10:                              ;   in Loop: Header=BB76_8 Depth=1
	s_or_b32 exec_lo, exec_lo, s11
	s_delay_alu instid0(SALU_CYCLE_1)
	s_mov_b32 s11, exec_lo
	v_cmpx_gt_i64_e64 s[4:5], v[12:13]
	s_cbranch_execz .LBB76_12
.LBB76_11:                              ;   in Loop: Header=BB76_8 Depth=1
	v_add_nc_u32_e32 v0, s10, v37
	s_delay_alu instid0(VALU_DEP_1) | instskip(SKIP_2) | instid1(VALU_DEP_3)
	v_ashrrev_i32_e32 v2, 31, v0
	v_add_co_u32 v6, vcc_lo, s6, v0
	v_and_b32_e32 v0, 0x7fffffff, v1
	v_add_co_ci_u32_e32 v7, vcc_lo, s7, v2, vcc_lo
	global_store_b32 v[6:7], v0, off
.LBB76_12:                              ;   in Loop: Header=BB76_8 Depth=1
	s_or_b32 exec_lo, exec_lo, s11
	v_add_co_u32 v0, vcc_lo, s8, v12
	v_add_co_ci_u32_e32 v1, vcc_lo, 0, v13, vcc_lo
	s_mov_b32 s11, exec_lo
	s_delay_alu instid0(VALU_DEP_1)
	v_cmpx_gt_i64_e64 s[4:5], v[0:1]
	s_cbranch_execz .LBB76_7
; %bb.13:                               ;   in Loop: Header=BB76_8 Depth=1
	v_add_nc_u32_e32 v0, s10, v38
	v_and_b32_e32 v2, 0x7fffffff, v3
	s_delay_alu instid0(VALU_DEP_2) | instskip(SKIP_1) | instid1(VALU_DEP_2)
	v_ashrrev_i32_e32 v1, 31, v0
	v_add_co_u32 v0, vcc_lo, s6, v0
	v_add_co_ci_u32_e32 v1, vcc_lo, s7, v1, vcc_lo
	global_store_b32 v[0:1], v2, off
	s_branch .LBB76_7
.LBB76_14:                              ;   in Loop: Header=BB76_8 Depth=1
	s_mov_b32 s12, exec_lo
	v_cmpx_lt_i32_e32 2, v34
	s_xor_b32 s12, exec_lo, s12
; %bb.15:                               ;   in Loop: Header=BB76_8 Depth=1
	v_dual_mov_b32 v0, v5 :: v_dual_mov_b32 v1, v6
	v_dual_mov_b32 v2, v7 :: v_dual_mov_b32 v3, v8
; %bb.16:                               ;   in Loop: Header=BB76_8 Depth=1
	s_and_not1_saveexec_b32 s12, s12
; %bb.17:                               ;   in Loop: Header=BB76_8 Depth=1
	s_delay_alu instid0(VALU_DEP_1)
	v_mov_b32_e32 v1, v3
	v_mov_b32_e32 v3, v4
; %bb.18:                               ;   in Loop: Header=BB76_8 Depth=1
	s_or_b32 exec_lo, exec_lo, s12
                                        ; implicit-def: $vgpr6_vgpr7_vgpr8_vgpr9
	s_and_not1_saveexec_b32 s11, s11
	s_cbranch_execz .LBB76_10
.LBB76_19:                              ;   in Loop: Header=BB76_8 Depth=1
	s_mov_b32 s12, exec_lo
	v_cmpx_eq_u32_e32 1, v34
; %bb.20:                               ;   in Loop: Header=BB76_8 Depth=1
	v_mov_b32_e32 v1, v2
	v_mov_b32_e32 v3, v6
; %bb.21:                               ;   in Loop: Header=BB76_8 Depth=1
	s_or_b32 exec_lo, exec_lo, s12
	s_delay_alu instid0(SALU_CYCLE_1) | instskip(NEXT) | instid1(SALU_CYCLE_1)
	s_or_b32 exec_lo, exec_lo, s11
	s_mov_b32 s11, exec_lo
	v_cmpx_gt_i64_e64 s[4:5], v[12:13]
	s_cbranch_execnz .LBB76_11
	s_branch .LBB76_12
.LBB76_22:
	s_endpgm
.LBB76_23:
                                        ; implicit-def: $sgpr2_sgpr3
	s_branch .LBB76_4
	.section	.rodata,"a",@progbits
	.p2align	6, 0x0
	.amdhsa_kernel _ZN2at6native12_GLOBAL__N_143distribution_elementwise_grid_stride_kernelImLi2EZZZNS0_9templates4cuda13random_kernelIPNS_17CUDAGeneratorImplEEEvRNS_18TensorIteratorBaseET_ENKUlvE_clEvENKUlvE1_clEvEUlP25hiprandStatePhilox4_32_10E_ZNS1_27distribution_nullary_kernelIim15HIP_vector_typeIyLj2EES7_SF_ZZZNS5_IS7_EEvS9_SA_ENKSB_clEvENKSC_clEvEUlmE_EEvS9_T2_RKT3_T4_EUlimE_EEvlNS_15PhiloxCudaStateET1_SK_
		.amdhsa_group_segment_fixed_size 0
		.amdhsa_private_segment_fixed_size 0
		.amdhsa_kernarg_size 320
		.amdhsa_user_sgpr_count 15
		.amdhsa_user_sgpr_dispatch_ptr 0
		.amdhsa_user_sgpr_queue_ptr 0
		.amdhsa_user_sgpr_kernarg_segment_ptr 1
		.amdhsa_user_sgpr_dispatch_id 0
		.amdhsa_user_sgpr_private_segment_size 0
		.amdhsa_wavefront_size32 1
		.amdhsa_uses_dynamic_stack 0
		.amdhsa_enable_private_segment 0
		.amdhsa_system_sgpr_workgroup_id_x 1
		.amdhsa_system_sgpr_workgroup_id_y 0
		.amdhsa_system_sgpr_workgroup_id_z 0
		.amdhsa_system_sgpr_workgroup_info 0
		.amdhsa_system_vgpr_workitem_id 0
		.amdhsa_next_free_vgpr 43
		.amdhsa_next_free_sgpr 23
		.amdhsa_reserve_vcc 1
		.amdhsa_float_round_mode_32 0
		.amdhsa_float_round_mode_16_64 0
		.amdhsa_float_denorm_mode_32 3
		.amdhsa_float_denorm_mode_16_64 3
		.amdhsa_dx10_clamp 1
		.amdhsa_ieee_mode 1
		.amdhsa_fp16_overflow 0
		.amdhsa_workgroup_processor_mode 1
		.amdhsa_memory_ordered 1
		.amdhsa_forward_progress 0
		.amdhsa_shared_vgpr_count 0
		.amdhsa_exception_fp_ieee_invalid_op 0
		.amdhsa_exception_fp_denorm_src 0
		.amdhsa_exception_fp_ieee_div_zero 0
		.amdhsa_exception_fp_ieee_overflow 0
		.amdhsa_exception_fp_ieee_underflow 0
		.amdhsa_exception_fp_ieee_inexact 0
		.amdhsa_exception_int_div_zero 0
	.end_amdhsa_kernel
	.section	.text._ZN2at6native12_GLOBAL__N_143distribution_elementwise_grid_stride_kernelImLi2EZZZNS0_9templates4cuda13random_kernelIPNS_17CUDAGeneratorImplEEEvRNS_18TensorIteratorBaseET_ENKUlvE_clEvENKUlvE1_clEvEUlP25hiprandStatePhilox4_32_10E_ZNS1_27distribution_nullary_kernelIim15HIP_vector_typeIyLj2EES7_SF_ZZZNS5_IS7_EEvS9_SA_ENKSB_clEvENKSC_clEvEUlmE_EEvS9_T2_RKT3_T4_EUlimE_EEvlNS_15PhiloxCudaStateET1_SK_,"axG",@progbits,_ZN2at6native12_GLOBAL__N_143distribution_elementwise_grid_stride_kernelImLi2EZZZNS0_9templates4cuda13random_kernelIPNS_17CUDAGeneratorImplEEEvRNS_18TensorIteratorBaseET_ENKUlvE_clEvENKUlvE1_clEvEUlP25hiprandStatePhilox4_32_10E_ZNS1_27distribution_nullary_kernelIim15HIP_vector_typeIyLj2EES7_SF_ZZZNS5_IS7_EEvS9_SA_ENKSB_clEvENKSC_clEvEUlmE_EEvS9_T2_RKT3_T4_EUlimE_EEvlNS_15PhiloxCudaStateET1_SK_,comdat
.Lfunc_end76:
	.size	_ZN2at6native12_GLOBAL__N_143distribution_elementwise_grid_stride_kernelImLi2EZZZNS0_9templates4cuda13random_kernelIPNS_17CUDAGeneratorImplEEEvRNS_18TensorIteratorBaseET_ENKUlvE_clEvENKUlvE1_clEvEUlP25hiprandStatePhilox4_32_10E_ZNS1_27distribution_nullary_kernelIim15HIP_vector_typeIyLj2EES7_SF_ZZZNS5_IS7_EEvS9_SA_ENKSB_clEvENKSC_clEvEUlmE_EEvS9_T2_RKT3_T4_EUlimE_EEvlNS_15PhiloxCudaStateET1_SK_, .Lfunc_end76-_ZN2at6native12_GLOBAL__N_143distribution_elementwise_grid_stride_kernelImLi2EZZZNS0_9templates4cuda13random_kernelIPNS_17CUDAGeneratorImplEEEvRNS_18TensorIteratorBaseET_ENKUlvE_clEvENKUlvE1_clEvEUlP25hiprandStatePhilox4_32_10E_ZNS1_27distribution_nullary_kernelIim15HIP_vector_typeIyLj2EES7_SF_ZZZNS5_IS7_EEvS9_SA_ENKSB_clEvENKSC_clEvEUlmE_EEvS9_T2_RKT3_T4_EUlimE_EEvlNS_15PhiloxCudaStateET1_SK_
                                        ; -- End function
	.section	.AMDGPU.csdata,"",@progbits
; Kernel info:
; codeLenInByte = 2588
; NumSgprs: 25
; NumVgprs: 43
; ScratchSize: 0
; MemoryBound: 0
; FloatMode: 240
; IeeeMode: 1
; LDSByteSize: 0 bytes/workgroup (compile time only)
; SGPRBlocks: 3
; VGPRBlocks: 5
; NumSGPRsForWavesPerEU: 25
; NumVGPRsForWavesPerEU: 43
; Occupancy: 16
; WaveLimiterHint : 0
; COMPUTE_PGM_RSRC2:SCRATCH_EN: 0
; COMPUTE_PGM_RSRC2:USER_SGPR: 15
; COMPUTE_PGM_RSRC2:TRAP_HANDLER: 0
; COMPUTE_PGM_RSRC2:TGID_X_EN: 1
; COMPUTE_PGM_RSRC2:TGID_Y_EN: 0
; COMPUTE_PGM_RSRC2:TGID_Z_EN: 0
; COMPUTE_PGM_RSRC2:TIDIG_COMP_CNT: 0
	.section	.text._ZN2at6native12_GLOBAL__N_143distribution_elementwise_grid_stride_kernelImLi2EZZZNS0_9templates4cuda13random_kernelIPNS_17CUDAGeneratorImplEEEvRNS_18TensorIteratorBaseET_ENKUlvE_clEvENKUlvE1_clEvEUlP25hiprandStatePhilox4_32_10E_ZNS1_27distribution_nullary_kernelIim15HIP_vector_typeIyLj2EES7_SF_ZZZNS5_IS7_EEvS9_SA_ENKSB_clEvENKSC_clEvEUlmE_EEvS9_T2_RKT3_T4_EUlimE0_EEvlNS_15PhiloxCudaStateET1_SK_,"axG",@progbits,_ZN2at6native12_GLOBAL__N_143distribution_elementwise_grid_stride_kernelImLi2EZZZNS0_9templates4cuda13random_kernelIPNS_17CUDAGeneratorImplEEEvRNS_18TensorIteratorBaseET_ENKUlvE_clEvENKUlvE1_clEvEUlP25hiprandStatePhilox4_32_10E_ZNS1_27distribution_nullary_kernelIim15HIP_vector_typeIyLj2EES7_SF_ZZZNS5_IS7_EEvS9_SA_ENKSB_clEvENKSC_clEvEUlmE_EEvS9_T2_RKT3_T4_EUlimE0_EEvlNS_15PhiloxCudaStateET1_SK_,comdat
	.globl	_ZN2at6native12_GLOBAL__N_143distribution_elementwise_grid_stride_kernelImLi2EZZZNS0_9templates4cuda13random_kernelIPNS_17CUDAGeneratorImplEEEvRNS_18TensorIteratorBaseET_ENKUlvE_clEvENKUlvE1_clEvEUlP25hiprandStatePhilox4_32_10E_ZNS1_27distribution_nullary_kernelIim15HIP_vector_typeIyLj2EES7_SF_ZZZNS5_IS7_EEvS9_SA_ENKSB_clEvENKSC_clEvEUlmE_EEvS9_T2_RKT3_T4_EUlimE0_EEvlNS_15PhiloxCudaStateET1_SK_ ; -- Begin function _ZN2at6native12_GLOBAL__N_143distribution_elementwise_grid_stride_kernelImLi2EZZZNS0_9templates4cuda13random_kernelIPNS_17CUDAGeneratorImplEEEvRNS_18TensorIteratorBaseET_ENKUlvE_clEvENKUlvE1_clEvEUlP25hiprandStatePhilox4_32_10E_ZNS1_27distribution_nullary_kernelIim15HIP_vector_typeIyLj2EES7_SF_ZZZNS5_IS7_EEvS9_SA_ENKSB_clEvENKSC_clEvEUlmE_EEvS9_T2_RKT3_T4_EUlimE0_EEvlNS_15PhiloxCudaStateET1_SK_
	.p2align	8
	.type	_ZN2at6native12_GLOBAL__N_143distribution_elementwise_grid_stride_kernelImLi2EZZZNS0_9templates4cuda13random_kernelIPNS_17CUDAGeneratorImplEEEvRNS_18TensorIteratorBaseET_ENKUlvE_clEvENKUlvE1_clEvEUlP25hiprandStatePhilox4_32_10E_ZNS1_27distribution_nullary_kernelIim15HIP_vector_typeIyLj2EES7_SF_ZZZNS5_IS7_EEvS9_SA_ENKSB_clEvENKSC_clEvEUlmE_EEvS9_T2_RKT3_T4_EUlimE0_EEvlNS_15PhiloxCudaStateET1_SK_,@function
_ZN2at6native12_GLOBAL__N_143distribution_elementwise_grid_stride_kernelImLi2EZZZNS0_9templates4cuda13random_kernelIPNS_17CUDAGeneratorImplEEEvRNS_18TensorIteratorBaseET_ENKUlvE_clEvENKUlvE1_clEvEUlP25hiprandStatePhilox4_32_10E_ZNS1_27distribution_nullary_kernelIim15HIP_vector_typeIyLj2EES7_SF_ZZZNS5_IS7_EEvS9_SA_ENKSB_clEvENKSC_clEvEUlmE_EEvS9_T2_RKT3_T4_EUlimE0_EEvlNS_15PhiloxCudaStateET1_SK_: ; @_ZN2at6native12_GLOBAL__N_143distribution_elementwise_grid_stride_kernelImLi2EZZZNS0_9templates4cuda13random_kernelIPNS_17CUDAGeneratorImplEEEvRNS_18TensorIteratorBaseET_ENKUlvE_clEvENKUlvE1_clEvEUlP25hiprandStatePhilox4_32_10E_ZNS1_27distribution_nullary_kernelIim15HIP_vector_typeIyLj2EES7_SF_ZZZNS5_IS7_EEvS9_SA_ENKSB_clEvENKSC_clEvEUlmE_EEvS9_T2_RKT3_T4_EUlimE0_EEvlNS_15PhiloxCudaStateET1_SK_
; %bb.0:
	s_clause 0x2
	s_load_b64 s[4:5], s[0:1], 0x10
	s_load_b128 s[16:19], s[0:1], 0x0
	s_load_b32 s2, s[0:1], 0x20
	s_waitcnt lgkmcnt(0)
	v_dual_mov_b32 v2, s4 :: v_dual_mov_b32 v3, s5
	v_dual_mov_b32 v10, s18 :: v_dual_mov_b32 v11, s19
	s_bitcmp0_b32 s2, 0
	s_mov_b32 s2, 0
	s_cbranch_scc1 .LBB77_2
; %bb.1:
	v_dual_mov_b32 v1, s4 :: v_dual_mov_b32 v2, s5
	v_dual_mov_b32 v4, s18 :: v_dual_mov_b32 v5, s19
	s_load_b64 s[4:5], s[0:1], 0x18
	flat_load_b64 v[2:3], v[1:2]
	flat_load_b64 v[10:11], v[4:5]
	s_waitcnt vmcnt(1) lgkmcnt(0)
	v_add_co_u32 v2, vcc_lo, v2, s4
	v_add_co_ci_u32_e32 v3, vcc_lo, s5, v3, vcc_lo
.LBB77_2:
	s_clause 0x1
	s_load_b32 s3, s[0:1], 0x154
	s_load_b32 s4, s[0:1], 0x148
	s_waitcnt lgkmcnt(0)
	s_and_b32 s5, s3, 0xffff
	s_add_u32 s6, s16, -1
	s_mul_i32 s24, s4, s5
	s_addc_u32 s3, s17, -1
	s_lshl_b32 s25, s24, 1
	s_cmp_lg_u64 s[2:3], 0
	s_cbranch_scc0 .LBB77_49
; %bb.3:
	v_cvt_f32_ubyte0_e32 v1, 0
	v_cvt_f32_u32_e32 v4, s25
	s_sub_u32 s8, 0, s25
	s_subb_u32 s9, 0, 0
	s_delay_alu instid0(VALU_DEP_1) | instskip(NEXT) | instid1(VALU_DEP_1)
	v_fmamk_f32 v1, v1, 0x4f800000, v4
	v_rcp_f32_e32 v1, v1
	s_waitcnt_depctr 0xfff
	v_mul_f32_e32 v1, 0x5f7ffffc, v1
	s_delay_alu instid0(VALU_DEP_1) | instskip(NEXT) | instid1(VALU_DEP_1)
	v_mul_f32_e32 v4, 0x2f800000, v1
	v_trunc_f32_e32 v4, v4
	s_delay_alu instid0(VALU_DEP_1) | instskip(SKIP_1) | instid1(VALU_DEP_2)
	v_fmamk_f32 v1, v4, 0xcf800000, v1
	v_cvt_u32_f32_e32 v4, v4
	v_cvt_u32_f32_e32 v1, v1
	s_delay_alu instid0(VALU_DEP_2) | instskip(NEXT) | instid1(VALU_DEP_2)
	v_readfirstlane_b32 s2, v4
	v_readfirstlane_b32 s7, v1
	s_delay_alu instid0(VALU_DEP_2) | instskip(NEXT) | instid1(VALU_DEP_1)
	s_mul_i32 s10, s8, s2
	s_mul_hi_u32 s12, s8, s7
	s_mul_i32 s11, s9, s7
	s_add_i32 s10, s12, s10
	s_mul_i32 s13, s8, s7
	s_add_i32 s10, s10, s11
	s_mul_hi_u32 s12, s7, s13
	s_mul_hi_u32 s14, s2, s13
	s_mul_i32 s11, s2, s13
	s_mul_hi_u32 s13, s7, s10
	s_mul_i32 s7, s7, s10
	s_mul_hi_u32 s18, s2, s10
	s_add_u32 s7, s12, s7
	s_addc_u32 s12, 0, s13
	s_add_u32 s7, s7, s11
	s_mul_i32 s10, s2, s10
	s_addc_u32 s7, s12, s14
	s_addc_u32 s11, s18, 0
	s_add_u32 s7, s7, s10
	s_addc_u32 s10, 0, s11
	v_add_co_u32 v1, s7, v1, s7
	s_delay_alu instid0(VALU_DEP_1) | instskip(SKIP_1) | instid1(VALU_DEP_1)
	s_cmp_lg_u32 s7, 0
	s_addc_u32 s2, s2, s10
	v_readfirstlane_b32 s7, v1
	s_mul_i32 s10, s8, s2
	s_delay_alu instid0(VALU_DEP_1)
	s_mul_hi_u32 s11, s8, s7
	s_mul_i32 s9, s9, s7
	s_add_i32 s10, s11, s10
	s_mul_i32 s8, s8, s7
	s_add_i32 s10, s10, s9
	s_mul_hi_u32 s11, s2, s8
	s_mul_i32 s12, s2, s8
	s_mul_hi_u32 s8, s7, s8
	s_mul_hi_u32 s13, s7, s10
	s_mul_i32 s7, s7, s10
	s_mul_hi_u32 s9, s2, s10
	s_add_u32 s7, s8, s7
	s_addc_u32 s8, 0, s13
	s_add_u32 s7, s7, s12
	s_mul_i32 s10, s2, s10
	s_addc_u32 s7, s8, s11
	s_addc_u32 s8, s9, 0
	s_add_u32 s7, s7, s10
	s_addc_u32 s8, 0, s8
	v_add_co_u32 v1, s7, v1, s7
	s_delay_alu instid0(VALU_DEP_1) | instskip(SKIP_2) | instid1(VALU_DEP_1)
	s_cmp_lg_u32 s7, 0
	s_addc_u32 s7, s2, s8
	s_ashr_i32 s8, s3, 31
	v_readfirstlane_b32 s10, v1
	s_add_u32 s2, s6, s8
	s_mov_b32 s9, s8
	s_addc_u32 s3, s3, s8
	s_delay_alu instid0(SALU_CYCLE_1) | instskip(NEXT) | instid1(SALU_CYCLE_1)
	s_xor_b64 s[2:3], s[2:3], s[8:9]
	s_mul_i32 s12, s2, s7
	s_mul_hi_u32 s13, s2, s10
	s_mul_hi_u32 s11, s2, s7
	;; [unrolled: 1-line block ×3, first 2 shown]
	s_mul_i32 s10, s3, s10
	s_add_u32 s12, s13, s12
	s_addc_u32 s11, 0, s11
	s_mul_hi_u32 s14, s3, s7
	s_add_u32 s10, s12, s10
	s_mul_i32 s7, s3, s7
	s_addc_u32 s10, s11, s18
	s_addc_u32 s11, s14, 0
	s_add_u32 s7, s10, s7
	s_addc_u32 s10, 0, s11
	s_mul_i32 s12, s25, s7
	s_add_u32 s11, s7, 1
	v_sub_co_u32 v1, s2, s2, s12
	s_mul_hi_u32 s12, s25, s7
	s_addc_u32 s13, s10, 0
	s_mul_i32 s14, s25, s10
	s_delay_alu instid0(VALU_DEP_1)
	v_sub_co_u32 v4, s18, v1, s25
	s_add_u32 s19, s7, 2
	s_addc_u32 s20, s10, 0
	s_add_i32 s12, s12, s14
	s_cmp_lg_u32 s2, 0
	v_readfirstlane_b32 s2, v4
	s_subb_u32 s3, s3, s12
	s_cmp_lg_u32 s18, 0
	s_subb_u32 s12, s3, 0
	s_delay_alu instid0(VALU_DEP_1) | instskip(SKIP_4) | instid1(SALU_CYCLE_1)
	s_cmp_ge_u32 s2, s25
	s_cselect_b32 s2, -1, 0
	s_cmp_eq_u32 s12, 0
	v_readfirstlane_b32 s12, v1
	s_cselect_b32 s2, s2, -1
	s_cmp_lg_u32 s2, 0
	s_cselect_b32 s2, s19, s11
	s_cselect_b32 s11, s20, s13
	s_cmp_ge_u32 s12, s25
	s_cselect_b32 s12, -1, 0
	s_cmp_eq_u32 s3, 0
	s_cselect_b32 s3, s12, -1
	s_delay_alu instid0(SALU_CYCLE_1) | instskip(SKIP_2) | instid1(SALU_CYCLE_1)
	s_cmp_lg_u32 s3, 0
	s_cselect_b32 s3, s11, s10
	s_cselect_b32 s2, s2, s7
	s_xor_b64 s[2:3], s[2:3], s[8:9]
	s_delay_alu instid0(SALU_CYCLE_1)
	s_sub_u32 s2, s2, s8
	s_subb_u32 s3, s3, s8
	s_cbranch_execnz .LBB77_5
.LBB77_4:
	v_cvt_f32_u32_e32 v1, s25
	s_sub_i32 s3, 0, s25
	s_delay_alu instid0(VALU_DEP_1) | instskip(SKIP_2) | instid1(VALU_DEP_1)
	v_rcp_iflag_f32_e32 v1, v1
	s_waitcnt_depctr 0xfff
	v_mul_f32_e32 v1, 0x4f7ffffe, v1
	v_cvt_u32_f32_e32 v1, v1
	s_delay_alu instid0(VALU_DEP_1) | instskip(NEXT) | instid1(VALU_DEP_1)
	v_readfirstlane_b32 s2, v1
	s_mul_i32 s3, s3, s2
	s_delay_alu instid0(SALU_CYCLE_1) | instskip(NEXT) | instid1(SALU_CYCLE_1)
	s_mul_hi_u32 s3, s2, s3
	s_add_i32 s2, s2, s3
	s_delay_alu instid0(SALU_CYCLE_1) | instskip(NEXT) | instid1(SALU_CYCLE_1)
	s_mul_hi_u32 s2, s6, s2
	s_mul_i32 s3, s2, s25
	s_delay_alu instid0(SALU_CYCLE_1)
	s_sub_i32 s3, s6, s3
	s_add_i32 s6, s2, 1
	s_sub_i32 s7, s3, s25
	s_cmp_ge_u32 s3, s25
	s_cselect_b32 s2, s6, s2
	s_cselect_b32 s3, s7, s3
	s_add_i32 s6, s2, 1
	s_cmp_ge_u32 s3, s25
	s_mov_b32 s3, 0
	s_cselect_b32 s2, s6, s2
.LBB77_5:
	v_mov_b32_e32 v1, 0
	s_add_u32 s2, s2, 1
	s_addc_u32 s3, s3, 0
	s_mul_hi_u32 s6, s24, s2
	s_mul_i32 s3, s24, s3
	v_mad_u64_u32 v[12:13], null, s5, s15, v[0:1]
	s_mul_hi_u32 s4, s4, s5
	s_add_i32 s3, s6, s3
	s_mul_i32 s4, s4, s2
	s_mul_i32 s2, s24, s2
	s_add_i32 s3, s3, s4
	s_mov_b32 s4, exec_lo
	s_lshl_b64 s[2:3], s[2:3], 1
	s_delay_alu instid0(SALU_CYCLE_1)
	v_cmpx_gt_i64_e64 s[2:3], v[12:13]
	s_cbranch_execz .LBB77_48
; %bb.6:
	v_alignbit_b32 v16, v3, v2, 2
	v_mad_u64_u32 v[0:1], null, 0xcd9e8d57, v12, 0
	v_lshrrev_b32_e32 v17, 2, v3
	s_waitcnt vmcnt(0)
	v_dual_mov_b32 v9, v11 :: v_dual_and_b32 v26, 3, v2
	v_mad_u64_u32 v[3:4], null, 0xd2511f53, v16, 0
	v_add_co_u32 v19, null, 0x9e3779b9, v10
	v_xor3_b32 v1, v10, v1, v17
	s_delay_alu instid0(VALU_DEP_4) | instskip(SKIP_2) | instid1(VALU_DEP_4)
	v_add_co_u32 v18, null, 0xbb67ae85, v9
	v_add_co_u32 v20, null, 0x3c6ef372, v10
	v_xor_b32_e32 v6, v4, v11
	v_mad_u64_u32 v[4:5], null, 0xd2511f53, v1, 0
	v_add_co_u32 v21, null, 0x76cf5d0a, v9
	s_delay_alu instid0(VALU_DEP_3) | instskip(SKIP_3) | instid1(VALU_DEP_4)
	v_xor_b32_e32 v1, v6, v13
	v_add_co_u32 v22, null, 0x32370b8f, v9
	v_add_co_u32 v23, null, 0xdaa66d2b, v10
	v_xor3_b32 v3, v18, v5, v3
	v_mad_u64_u32 v[5:6], null, 0xcd9e8d57, v1, 0
	v_add_co_u32 v24, null, 0x78dde6e4, v10
	s_delay_alu instid0(VALU_DEP_3) | instskip(SKIP_1) | instid1(VALU_DEP_4)
	v_mad_u64_u32 v[7:8], null, 0xcd9e8d57, v3, 0
	v_add_co_u32 v25, null, 0xed9eba14, v9
	v_xor3_b32 v3, v19, v6, v0
	v_add_co_u32 v27, null, 0xa9066899, v9
	v_add_co_u32 v29, null, 0x1715609d, v10
	v_xor3_b32 v8, v20, v8, v5
	s_delay_alu instid0(VALU_DEP_4) | instskip(SKIP_1) | instid1(VALU_DEP_3)
	v_mad_u64_u32 v[0:1], null, 0xd2511f53, v3, 0
	v_add_co_u32 v30, null, 0xb54cda56, v10
	v_mad_u64_u32 v[5:6], null, 0xd2511f53, v8, 0
	v_add_co_u32 v32, null, 0x646e171e, v9
	s_delay_alu instid0(VALU_DEP_4) | instskip(SKIP_2) | instid1(VALU_DEP_4)
	v_xor3_b32 v3, v21, v1, v4
	s_load_b256 s[4:11], s[0:1], 0x30
	v_add_co_u32 v33, null, 0x1fd5c5a3, v9
	v_xor3_b32 v6, v22, v6, v0
	s_delay_alu instid0(VALU_DEP_3) | instskip(SKIP_1) | instid1(VALU_DEP_3)
	v_mad_u64_u32 v[0:1], null, 0xcd9e8d57, v3, 0
	v_add_co_u32 v28, null, 0x5384540f, v10
	v_mad_u64_u32 v[3:4], null, 0xcd9e8d57, v6, 0
	v_add_co_u32 v31, null, 0xf1bbcdc8, v10
	s_delay_alu instid0(VALU_DEP_4)
	v_xor3_b32 v6, v23, v1, v7
	s_add_u32 s12, s0, 48
	s_addc_u32 s13, s1, 0
	s_clause 0x1
	s_load_b64 s[14:15], s[0:1], 0xf4
	s_load_b64 s[18:19], s[0:1], 0x138
	v_xor3_b32 v4, v24, v4, v0
	v_mad_u64_u32 v[0:1], null, 0xd2511f53, v6, 0
	v_add_co_u32 v34, null, 0xdb3d7428, v9
	s_delay_alu instid0(VALU_DEP_3) | instskip(SKIP_3) | instid1(VALU_DEP_4)
	v_mad_u64_u32 v[6:7], null, 0xd2511f53, v4, 0
	s_waitcnt lgkmcnt(0)
	s_add_i32 s20, s4, -1
	v_dual_mov_b32 v37, v12 :: v_dual_add_nc_u32 v36, 0x96a522ad, v11
	v_xor3_b32 v2, v25, v1, v5
	s_cmp_gt_u32 s20, 1
	v_dual_mov_b32 v38, v13 :: v_dual_add_nc_u32 v35, 0x8ff34781, v10
	s_delay_alu instid0(VALU_DEP_4) | instskip(NEXT) | instid1(VALU_DEP_3)
	v_xor3_b32 v7, v27, v7, v0
	v_mad_u64_u32 v[0:1], null, 0xcd9e8d57, v2, 0
	s_cselect_b32 s11, -1, 0
	s_cmp_lg_u32 s4, 0
	s_delay_alu instid0(VALU_DEP_2) | instskip(SKIP_2) | instid1(VALU_DEP_2)
	v_mad_u64_u32 v[4:5], null, 0xcd9e8d57, v7, 0
	s_cselect_b32 s27, -1, 0
	s_add_u32 s0, s0, 0xf4
	v_xor3_b32 v2, v29, v1, v3
	s_addc_u32 s1, s1, 0
	s_min_u32 s21, s20, 15
	s_cmp_gt_u32 s4, 1
	s_delay_alu instid0(VALU_DEP_2) | instskip(SKIP_3) | instid1(VALU_DEP_2)
	v_xor3_b32 v5, v30, v5, v0
	v_mad_u64_u32 v[0:1], null, 0xd2511f53, v2, 0
	s_cselect_b32 s4, -1, 0
	s_add_i32 s21, s21, 1
	v_mad_u64_u32 v[2:3], null, 0xd2511f53, v5, 0
	s_and_b32 s28, s21, 3
	s_cmp_lg_u32 s20, 2
	s_delay_alu instid0(VALU_DEP_2) | instskip(SKIP_3) | instid1(VALU_DEP_2)
	v_xor3_b32 v5, v32, v1, v6
	s_cselect_b32 s29, -1, 0
	s_and_b32 s30, s21, 28
	s_cmp_lg_u32 s28, 0
	v_xor3_b32 v3, v33, v3, v0
	v_mad_u64_u32 v[0:1], null, 0xcd9e8d57, v5, 0
	s_mov_b32 s26, 0
	s_cselect_b32 s31, -1, 0
	s_delay_alu instid0(VALU_DEP_2) | instskip(NEXT) | instid1(VALU_DEP_2)
	v_mad_u64_u32 v[5:6], null, 0xcd9e8d57, v3, 0
	v_xor3_b32 v3, v28, v1, v4
	s_delay_alu instid0(VALU_DEP_2) | instskip(NEXT) | instid1(VALU_DEP_2)
	v_xor3_b32 v5, v31, v6, v0
	v_mad_u64_u32 v[0:1], null, 0xd2511f53, v3, 0
	s_delay_alu instid0(VALU_DEP_2) | instskip(NEXT) | instid1(VALU_DEP_2)
	v_mad_u64_u32 v[3:4], null, 0xd2511f53, v5, 0
	v_xor3_b32 v5, v34, v1, v2
	s_delay_alu instid0(VALU_DEP_1) | instskip(NEXT) | instid1(VALU_DEP_3)
	v_mad_u64_u32 v[1:2], null, 0xcd9e8d57, v5, 0
	v_xor3_b32 v2, v4, v0, v36
	s_branch .LBB77_9
.LBB77_7:                               ;   in Loop: Header=BB77_9 Depth=1
	v_and_b32_e32 v0, 0x7fffffff, v3
	global_store_b32 v1, v0, s[18:19]
.LBB77_8:                               ;   in Loop: Header=BB77_9 Depth=1
	s_or_b32 exec_lo, exec_lo, s33
	v_add_co_u32 v12, vcc_lo, v12, s25
	v_add_co_ci_u32_e32 v13, vcc_lo, 0, v13, vcc_lo
	v_mov_b32_e32 v6, v14
	v_mov_b32_e32 v0, v3
	v_dual_mov_b32 v1, v4 :: v_dual_mov_b32 v2, v5
	s_delay_alu instid0(VALU_DEP_4) | instskip(NEXT) | instid1(VALU_DEP_4)
	v_cmp_le_i64_e32 vcc_lo, s[2:3], v[12:13]
	v_mov_b32_e32 v3, v6
	s_waitcnt_vscnt null, 0x0
	s_barrier
	buffer_gl0_inv
	s_or_b32 s26, vcc_lo, s26
	s_delay_alu instid0(SALU_CYCLE_1)
	s_and_not1_b32 exec_lo, exec_lo, s26
	s_cbranch_execz .LBB77_48
.LBB77_9:                               ; =>This Loop Header: Depth=1
                                        ;     Child Loop BB77_24 Depth 2
                                        ;     Child Loop BB77_29 Depth 2
	;; [unrolled: 1-line block ×4, first 2 shown]
	v_add_co_u32 v16, vcc_lo, v16, 1
	s_delay_alu instid0(VALU_DEP_1) | instskip(SKIP_1) | instid1(VALU_DEP_3)
	v_cndmask_b32_e64 v0, 0, 1, vcc_lo
	v_add_co_ci_u32_e32 v17, vcc_lo, 0, v17, vcc_lo
	v_mad_u64_u32 v[4:5], null, 0xd2511f53, v16, 0
	s_mov_b32 s20, exec_lo
	s_delay_alu instid0(VALU_DEP_2) | instskip(SKIP_1) | instid1(VALU_DEP_1)
	v_cmp_eq_u32_e32 vcc_lo, 0, v17
	v_cndmask_b32_e32 v0, 0, v0, vcc_lo
	v_add_nc_u32_e32 v37, v0, v37
	s_delay_alu instid0(VALU_DEP_1) | instskip(SKIP_2) | instid1(VALU_DEP_2)
	v_cmp_eq_u32_e32 vcc_lo, 0, v37
	v_cndmask_b32_e32 v0, 0, v0, vcc_lo
	v_mad_u64_u32 v[6:7], null, 0xcd9e8d57, v37, 0
	v_add_nc_u32_e32 v38, v0, v38
	v_xor_b32_e32 v0, v5, v11
	s_delay_alu instid0(VALU_DEP_3) | instskip(NEXT) | instid1(VALU_DEP_2)
	v_xor3_b32 v5, v7, v10, v17
	v_xor_b32_e32 v0, v38, v0
	s_delay_alu instid0(VALU_DEP_2) | instskip(NEXT) | instid1(VALU_DEP_2)
	v_mad_u64_u32 v[7:8], null, 0xd2511f53, v5, 0
	v_mad_u64_u32 v[14:15], null, 0xcd9e8d57, v0, 0
	s_delay_alu instid0(VALU_DEP_2) | instskip(NEXT) | instid1(VALU_DEP_2)
	v_xor3_b32 v0, v18, v8, v4
	v_xor3_b32 v6, v19, v15, v6
	s_delay_alu instid0(VALU_DEP_2) | instskip(NEXT) | instid1(VALU_DEP_2)
	v_mad_u64_u32 v[4:5], null, 0xcd9e8d57, v0, 0
	v_mad_u64_u32 v[8:9], null, 0xd2511f53, v6, 0
	s_delay_alu instid0(VALU_DEP_2) | instskip(NEXT) | instid1(VALU_DEP_2)
	v_xor3_b32 v0, v20, v5, v14
	v_xor3_b32 v7, v21, v9, v7
	;; [unrolled: 6-line block ×9, first 2 shown]
	s_delay_alu instid0(VALU_DEP_2)
	v_mov_b32_e32 v5, v8
	v_cmpx_lt_i32_e32 1, v26
	s_xor_b32 s20, exec_lo, s20
	s_cbranch_execnz .LBB77_12
; %bb.10:                               ;   in Loop: Header=BB77_9 Depth=1
	s_and_not1_saveexec_b32 s20, s20
	s_cbranch_execnz .LBB77_17
.LBB77_11:                              ;   in Loop: Header=BB77_9 Depth=1
	s_or_b32 exec_lo, exec_lo, s20
	s_delay_alu instid0(SALU_CYCLE_1)
	s_mov_b32 s33, exec_lo
	v_cmpx_gt_i64_e64 s[16:17], v[12:13]
	s_cbranch_execnz .LBB77_20
	s_branch .LBB77_34
.LBB77_12:                              ;   in Loop: Header=BB77_9 Depth=1
	s_mov_b32 s21, exec_lo
	v_cmpx_lt_i32_e32 2, v26
	s_xor_b32 s21, exec_lo, s21
; %bb.13:                               ;   in Loop: Header=BB77_9 Depth=1
	v_dual_mov_b32 v0, v5 :: v_dual_mov_b32 v1, v6
	v_dual_mov_b32 v2, v7 :: v_dual_mov_b32 v3, v8
; %bb.14:                               ;   in Loop: Header=BB77_9 Depth=1
	s_and_not1_saveexec_b32 s21, s21
; %bb.15:                               ;   in Loop: Header=BB77_9 Depth=1
	s_delay_alu instid0(VALU_DEP_1)
	v_mov_b32_e32 v1, v3
	v_mov_b32_e32 v3, v4
; %bb.16:                               ;   in Loop: Header=BB77_9 Depth=1
	s_or_b32 exec_lo, exec_lo, s21
                                        ; implicit-def: $vgpr6_vgpr7_vgpr8_vgpr9
	s_and_not1_saveexec_b32 s20, s20
	s_cbranch_execz .LBB77_11
.LBB77_17:                              ;   in Loop: Header=BB77_9 Depth=1
	s_mov_b32 s21, exec_lo
	v_cmpx_eq_u32_e32 1, v26
; %bb.18:                               ;   in Loop: Header=BB77_9 Depth=1
	v_mov_b32_e32 v1, v2
	v_mov_b32_e32 v3, v6
; %bb.19:                               ;   in Loop: Header=BB77_9 Depth=1
	s_or_b32 exec_lo, exec_lo, s21
	s_delay_alu instid0(SALU_CYCLE_1) | instskip(NEXT) | instid1(SALU_CYCLE_1)
	s_or_b32 exec_lo, exec_lo, s20
	s_mov_b32 s33, exec_lo
	v_cmpx_gt_i64_e64 s[16:17], v[12:13]
	s_cbranch_execz .LBB77_34
.LBB77_20:                              ;   in Loop: Header=BB77_9 Depth=1
	s_and_not1_b32 vcc_lo, exec_lo, s11
	s_cbranch_vccnz .LBB77_26
; %bb.21:                               ;   in Loop: Header=BB77_9 Depth=1
	v_mov_b32_e32 v0, 0
	s_and_not1_b32 vcc_lo, exec_lo, s27
	s_cbranch_vccnz .LBB77_30
; %bb.22:                               ;   in Loop: Header=BB77_9 Depth=1
	s_and_not1_b32 vcc_lo, exec_lo, s29
	s_mov_b32 s20, 0
	s_cbranch_vccnz .LBB77_27
; %bb.23:                               ;   in Loop: Header=BB77_9 Depth=1
	v_mov_b32_e32 v0, 0
	v_mov_b32_e32 v2, v12
	s_mov_b32 s34, 0
	s_mov_b64 s[20:21], s[12:13]
	s_mov_b64 s[22:23], s[0:1]
.LBB77_24:                              ;   Parent Loop BB77_9 Depth=1
                                        ; =>  This Inner Loop Header: Depth=2
	s_clause 0x1
	s_load_b256 s[36:43], s[20:21], 0x4
	s_load_b128 s[44:47], s[20:21], 0x24
	s_load_b128 s[48:51], s[22:23], 0x0
	s_add_u32 s20, s20, 48
	s_addc_u32 s21, s21, 0
	s_add_i32 s34, s34, 4
	s_add_u32 s22, s22, 16
	s_addc_u32 s23, s23, 0
	s_cmp_lg_u32 s30, s34
	s_waitcnt lgkmcnt(0)
	v_mul_hi_u32 v6, s37, v2
	s_delay_alu instid0(VALU_DEP_1) | instskip(NEXT) | instid1(VALU_DEP_1)
	v_add_nc_u32_e32 v6, v2, v6
	v_lshrrev_b32_e32 v6, s38, v6
	s_delay_alu instid0(VALU_DEP_1) | instskip(SKIP_1) | instid1(VALU_DEP_2)
	v_mul_hi_u32 v7, s40, v6
	v_mul_lo_u32 v15, v6, s36
	v_add_nc_u32_e32 v7, v6, v7
	s_delay_alu instid0(VALU_DEP_2) | instskip(NEXT) | instid1(VALU_DEP_2)
	v_sub_nc_u32_e32 v15, v2, v15
	v_lshrrev_b32_e32 v7, s41, v7
	s_delay_alu instid0(VALU_DEP_2) | instskip(NEXT) | instid1(VALU_DEP_2)
	v_mul_lo_u32 v15, v15, s48
	v_mul_hi_u32 v8, s43, v7
	v_mul_lo_u32 v39, v7, s39
	s_delay_alu instid0(VALU_DEP_2) | instskip(NEXT) | instid1(VALU_DEP_2)
	v_add_nc_u32_e32 v8, v7, v8
	v_sub_nc_u32_e32 v6, v6, v39
	s_delay_alu instid0(VALU_DEP_2) | instskip(NEXT) | instid1(VALU_DEP_2)
	v_lshrrev_b32_e32 v8, s44, v8
	v_mul_lo_u32 v6, v6, s49
	s_delay_alu instid0(VALU_DEP_2) | instskip(NEXT) | instid1(VALU_DEP_2)
	v_mul_hi_u32 v9, s46, v8
	v_add3_u32 v0, v15, v0, v6
	s_delay_alu instid0(VALU_DEP_2) | instskip(NEXT) | instid1(VALU_DEP_1)
	v_add_nc_u32_e32 v9, v8, v9
	v_lshrrev_b32_e32 v2, s47, v9
	v_mul_lo_u32 v9, v8, s42
	s_delay_alu instid0(VALU_DEP_2) | instskip(NEXT) | instid1(VALU_DEP_2)
	v_mul_lo_u32 v40, v2, s45
	v_sub_nc_u32_e32 v7, v7, v9
	s_delay_alu instid0(VALU_DEP_2) | instskip(NEXT) | instid1(VALU_DEP_2)
	v_sub_nc_u32_e32 v8, v8, v40
	v_mul_lo_u32 v7, v7, s50
	s_delay_alu instid0(VALU_DEP_2) | instskip(NEXT) | instid1(VALU_DEP_1)
	v_mul_lo_u32 v8, v8, s51
	v_add3_u32 v0, v7, v0, v8
	s_cbranch_scc1 .LBB77_24
; %bb.25:                               ;   in Loop: Header=BB77_9 Depth=1
	s_mov_b32 s20, s30
	s_and_not1_b32 vcc_lo, exec_lo, s31
	s_cbranch_vccz .LBB77_28
	s_branch .LBB77_30
.LBB77_26:                              ;   in Loop: Header=BB77_9 Depth=1
                                        ; implicit-def: $vgpr0
	s_branch .LBB77_31
.LBB77_27:                              ;   in Loop: Header=BB77_9 Depth=1
	v_mov_b32_e32 v2, v12
	s_and_not1_b32 vcc_lo, exec_lo, s31
	s_cbranch_vccnz .LBB77_30
.LBB77_28:                              ;   in Loop: Header=BB77_9 Depth=1
	s_lshl_b32 s21, s20, 2
	s_mul_i32 s22, s20, 12
	s_add_u32 s20, s0, s21
	s_addc_u32 s21, s1, 0
	s_add_u32 s22, s12, s22
	s_addc_u32 s23, s13, 0
	s_mov_b32 s34, s28
	.p2align	6
.LBB77_29:                              ;   Parent Loop BB77_9 Depth=1
                                        ; =>  This Inner Loop Header: Depth=2
	s_clause 0x1
	s_load_b64 s[36:37], s[22:23], 0x4
	s_load_b32 s35, s[22:23], 0xc
	s_add_u32 s22, s22, 12
	s_addc_u32 s23, s23, 0
	s_waitcnt lgkmcnt(0)
	v_mul_hi_u32 v6, s37, v2
	s_load_b32 s37, s[20:21], 0x0
	s_add_u32 s20, s20, 4
	s_addc_u32 s21, s21, 0
	s_add_i32 s34, s34, -1
	s_delay_alu instid0(SALU_CYCLE_1) | instskip(NEXT) | instid1(VALU_DEP_1)
	s_cmp_lg_u32 s34, 0
	v_add_nc_u32_e32 v6, v2, v6
	s_delay_alu instid0(VALU_DEP_1) | instskip(NEXT) | instid1(VALU_DEP_1)
	v_lshrrev_b32_e32 v8, s35, v6
	v_mul_lo_u32 v6, v8, s36
	s_delay_alu instid0(VALU_DEP_1) | instskip(SKIP_1) | instid1(VALU_DEP_1)
	v_sub_nc_u32_e32 v2, v2, v6
	s_waitcnt lgkmcnt(0)
	v_mad_u64_u32 v[6:7], null, v2, s37, v[0:1]
	v_mov_b32_e32 v2, v8
	s_delay_alu instid0(VALU_DEP_2)
	v_mov_b32_e32 v0, v6
	s_cbranch_scc1 .LBB77_29
.LBB77_30:                              ;   in Loop: Header=BB77_9 Depth=1
	s_cbranch_execnz .LBB77_33
.LBB77_31:                              ;   in Loop: Header=BB77_9 Depth=1
	v_mul_hi_u32 v0, v12, s6
	s_and_not1_b32 vcc_lo, exec_lo, s4
	s_delay_alu instid0(VALU_DEP_1) | instskip(NEXT) | instid1(VALU_DEP_1)
	v_add_nc_u32_e32 v0, v0, v12
	v_lshrrev_b32_e32 v2, s7, v0
	s_delay_alu instid0(VALU_DEP_1) | instskip(NEXT) | instid1(VALU_DEP_1)
	v_mul_lo_u32 v0, v2, s5
	v_sub_nc_u32_e32 v0, v12, v0
	s_delay_alu instid0(VALU_DEP_1)
	v_mul_lo_u32 v0, v0, s14
	s_cbranch_vccnz .LBB77_33
; %bb.32:                               ;   in Loop: Header=BB77_9 Depth=1
	v_mul_hi_u32 v6, s9, v2
	s_delay_alu instid0(VALU_DEP_1) | instskip(NEXT) | instid1(VALU_DEP_1)
	v_add_nc_u32_e32 v6, v2, v6
	v_lshrrev_b32_e32 v6, s10, v6
	s_delay_alu instid0(VALU_DEP_1) | instskip(NEXT) | instid1(VALU_DEP_1)
	v_mul_lo_u32 v6, v6, s8
	v_sub_nc_u32_e32 v2, v2, v6
	s_delay_alu instid0(VALU_DEP_1) | instskip(NEXT) | instid1(VALU_DEP_1)
	v_mad_u64_u32 v[6:7], null, v2, s15, v[0:1]
	v_mov_b32_e32 v0, v6
.LBB77_33:                              ;   in Loop: Header=BB77_9 Depth=1
	v_and_b32_e32 v1, 0x7fffffff, v1
	global_store_b32 v0, v1, s[18:19]
.LBB77_34:                              ;   in Loop: Header=BB77_9 Depth=1
	s_or_b32 exec_lo, exec_lo, s33
	v_add_co_u32 v0, vcc_lo, v12, s24
	v_add_co_ci_u32_e32 v1, vcc_lo, 0, v13, vcc_lo
	s_mov_b32 s33, exec_lo
	s_delay_alu instid0(VALU_DEP_1)
	v_cmpx_gt_i64_e64 s[16:17], v[0:1]
	s_cbranch_execz .LBB77_8
; %bb.35:                               ;   in Loop: Header=BB77_9 Depth=1
	s_and_not1_b32 vcc_lo, exec_lo, s11
	s_cbranch_vccnz .LBB77_41
; %bb.36:                               ;   in Loop: Header=BB77_9 Depth=1
	v_mov_b32_e32 v1, 0
	s_and_not1_b32 vcc_lo, exec_lo, s27
	s_cbranch_vccnz .LBB77_45
; %bb.37:                               ;   in Loop: Header=BB77_9 Depth=1
	s_and_not1_b32 vcc_lo, exec_lo, s29
	s_mov_b32 s20, 0
	s_cbranch_vccnz .LBB77_42
; %bb.38:                               ;   in Loop: Header=BB77_9 Depth=1
	v_dual_mov_b32 v1, 0 :: v_dual_mov_b32 v2, v0
	s_mov_b32 s34, 0
	s_mov_b64 s[20:21], s[12:13]
	s_mov_b64 s[22:23], s[0:1]
.LBB77_39:                              ;   Parent Loop BB77_9 Depth=1
                                        ; =>  This Inner Loop Header: Depth=2
	s_clause 0x1
	s_load_b256 s[36:43], s[20:21], 0x4
	s_load_b128 s[44:47], s[20:21], 0x24
	s_load_b128 s[48:51], s[22:23], 0x0
	s_add_u32 s20, s20, 48
	s_addc_u32 s21, s21, 0
	s_add_i32 s34, s34, 4
	s_add_u32 s22, s22, 16
	s_addc_u32 s23, s23, 0
	s_cmp_eq_u32 s30, s34
	s_waitcnt lgkmcnt(0)
	v_mul_hi_u32 v6, s37, v2
	s_delay_alu instid0(VALU_DEP_1) | instskip(NEXT) | instid1(VALU_DEP_1)
	v_add_nc_u32_e32 v6, v2, v6
	v_lshrrev_b32_e32 v6, s38, v6
	s_delay_alu instid0(VALU_DEP_1) | instskip(SKIP_1) | instid1(VALU_DEP_2)
	v_mul_hi_u32 v7, s40, v6
	v_mul_lo_u32 v15, v6, s36
	v_add_nc_u32_e32 v7, v6, v7
	s_delay_alu instid0(VALU_DEP_2) | instskip(NEXT) | instid1(VALU_DEP_2)
	v_sub_nc_u32_e32 v15, v2, v15
	v_lshrrev_b32_e32 v7, s41, v7
	s_delay_alu instid0(VALU_DEP_2) | instskip(NEXT) | instid1(VALU_DEP_2)
	v_mul_lo_u32 v15, v15, s48
	v_mul_hi_u32 v8, s43, v7
	v_mul_lo_u32 v39, v7, s39
	s_delay_alu instid0(VALU_DEP_2) | instskip(NEXT) | instid1(VALU_DEP_2)
	v_add_nc_u32_e32 v8, v7, v8
	v_sub_nc_u32_e32 v6, v6, v39
	s_delay_alu instid0(VALU_DEP_2) | instskip(NEXT) | instid1(VALU_DEP_2)
	v_lshrrev_b32_e32 v8, s44, v8
	v_mul_lo_u32 v6, v6, s49
	s_delay_alu instid0(VALU_DEP_2) | instskip(NEXT) | instid1(VALU_DEP_2)
	v_mul_hi_u32 v9, s46, v8
	v_add3_u32 v1, v15, v1, v6
	s_delay_alu instid0(VALU_DEP_2) | instskip(NEXT) | instid1(VALU_DEP_1)
	v_add_nc_u32_e32 v9, v8, v9
	v_lshrrev_b32_e32 v2, s47, v9
	v_mul_lo_u32 v9, v8, s42
	s_delay_alu instid0(VALU_DEP_2) | instskip(NEXT) | instid1(VALU_DEP_2)
	v_mul_lo_u32 v40, v2, s45
	v_sub_nc_u32_e32 v7, v7, v9
	s_delay_alu instid0(VALU_DEP_2) | instskip(NEXT) | instid1(VALU_DEP_2)
	v_sub_nc_u32_e32 v8, v8, v40
	v_mul_lo_u32 v7, v7, s50
	s_delay_alu instid0(VALU_DEP_2) | instskip(NEXT) | instid1(VALU_DEP_1)
	v_mul_lo_u32 v8, v8, s51
	v_add3_u32 v1, v7, v1, v8
	s_cbranch_scc0 .LBB77_39
; %bb.40:                               ;   in Loop: Header=BB77_9 Depth=1
	s_mov_b32 s20, s30
	s_and_not1_b32 vcc_lo, exec_lo, s31
	s_cbranch_vccz .LBB77_43
	s_branch .LBB77_45
.LBB77_41:                              ;   in Loop: Header=BB77_9 Depth=1
                                        ; implicit-def: $vgpr1
	s_branch .LBB77_46
.LBB77_42:                              ;   in Loop: Header=BB77_9 Depth=1
	v_mov_b32_e32 v2, v0
	s_and_not1_b32 vcc_lo, exec_lo, s31
	s_cbranch_vccnz .LBB77_45
.LBB77_43:                              ;   in Loop: Header=BB77_9 Depth=1
	s_lshl_b32 s21, s20, 2
	s_mul_i32 s22, s20, 12
	s_add_u32 s20, s0, s21
	s_addc_u32 s21, s1, 0
	s_add_u32 s22, s12, s22
	s_addc_u32 s23, s13, 0
	s_mov_b32 s34, s28
	.p2align	6
.LBB77_44:                              ;   Parent Loop BB77_9 Depth=1
                                        ; =>  This Inner Loop Header: Depth=2
	s_clause 0x1
	s_load_b64 s[36:37], s[22:23], 0x4
	s_load_b32 s35, s[22:23], 0xc
	s_add_u32 s22, s22, 12
	s_addc_u32 s23, s23, 0
	s_waitcnt lgkmcnt(0)
	v_mul_hi_u32 v6, s37, v2
	s_load_b32 s37, s[20:21], 0x0
	s_add_u32 s20, s20, 4
	s_addc_u32 s21, s21, 0
	s_add_i32 s34, s34, -1
	s_delay_alu instid0(SALU_CYCLE_1) | instskip(NEXT) | instid1(VALU_DEP_1)
	s_cmp_lg_u32 s34, 0
	v_add_nc_u32_e32 v6, v2, v6
	s_delay_alu instid0(VALU_DEP_1) | instskip(NEXT) | instid1(VALU_DEP_1)
	v_lshrrev_b32_e32 v8, s35, v6
	v_mul_lo_u32 v6, v8, s36
	s_delay_alu instid0(VALU_DEP_1) | instskip(SKIP_1) | instid1(VALU_DEP_1)
	v_sub_nc_u32_e32 v2, v2, v6
	s_waitcnt lgkmcnt(0)
	v_mad_u64_u32 v[6:7], null, v2, s37, v[1:2]
	s_delay_alu instid0(VALU_DEP_1)
	v_dual_mov_b32 v2, v8 :: v_dual_mov_b32 v1, v6
	s_cbranch_scc1 .LBB77_44
.LBB77_45:                              ;   in Loop: Header=BB77_9 Depth=1
	s_cbranch_execnz .LBB77_7
.LBB77_46:                              ;   in Loop: Header=BB77_9 Depth=1
	v_mul_hi_u32 v1, v0, s6
	s_and_not1_b32 vcc_lo, exec_lo, s4
	s_delay_alu instid0(VALU_DEP_1) | instskip(NEXT) | instid1(VALU_DEP_1)
	v_add_nc_u32_e32 v1, v1, v0
	v_lshrrev_b32_e32 v2, s7, v1
	s_delay_alu instid0(VALU_DEP_1) | instskip(NEXT) | instid1(VALU_DEP_1)
	v_mul_lo_u32 v1, v2, s5
	v_sub_nc_u32_e32 v0, v0, v1
	s_delay_alu instid0(VALU_DEP_1)
	v_mul_lo_u32 v1, v0, s14
	s_cbranch_vccnz .LBB77_7
; %bb.47:                               ;   in Loop: Header=BB77_9 Depth=1
	v_mul_hi_u32 v0, s9, v2
	s_delay_alu instid0(VALU_DEP_1) | instskip(NEXT) | instid1(VALU_DEP_1)
	v_add_nc_u32_e32 v0, v2, v0
	v_lshrrev_b32_e32 v0, s10, v0
	s_delay_alu instid0(VALU_DEP_1) | instskip(NEXT) | instid1(VALU_DEP_1)
	v_mul_lo_u32 v0, v0, s8
	v_sub_nc_u32_e32 v0, v2, v0
	s_delay_alu instid0(VALU_DEP_1) | instskip(NEXT) | instid1(VALU_DEP_1)
	v_mad_u64_u32 v[6:7], null, v0, s15, v[1:2]
	v_mov_b32_e32 v1, v6
	s_branch .LBB77_7
.LBB77_48:
	s_endpgm
.LBB77_49:
                                        ; implicit-def: $sgpr2_sgpr3
	s_branch .LBB77_4
	.section	.rodata,"a",@progbits
	.p2align	6, 0x0
	.amdhsa_kernel _ZN2at6native12_GLOBAL__N_143distribution_elementwise_grid_stride_kernelImLi2EZZZNS0_9templates4cuda13random_kernelIPNS_17CUDAGeneratorImplEEEvRNS_18TensorIteratorBaseET_ENKUlvE_clEvENKUlvE1_clEvEUlP25hiprandStatePhilox4_32_10E_ZNS1_27distribution_nullary_kernelIim15HIP_vector_typeIyLj2EES7_SF_ZZZNS5_IS7_EEvS9_SA_ENKSB_clEvENKSC_clEvEUlmE_EEvS9_T2_RKT3_T4_EUlimE0_EEvlNS_15PhiloxCudaStateET1_SK_
		.amdhsa_group_segment_fixed_size 0
		.amdhsa_private_segment_fixed_size 0
		.amdhsa_kernarg_size 584
		.amdhsa_user_sgpr_count 15
		.amdhsa_user_sgpr_dispatch_ptr 0
		.amdhsa_user_sgpr_queue_ptr 0
		.amdhsa_user_sgpr_kernarg_segment_ptr 1
		.amdhsa_user_sgpr_dispatch_id 0
		.amdhsa_user_sgpr_private_segment_size 0
		.amdhsa_wavefront_size32 1
		.amdhsa_uses_dynamic_stack 0
		.amdhsa_enable_private_segment 0
		.amdhsa_system_sgpr_workgroup_id_x 1
		.amdhsa_system_sgpr_workgroup_id_y 0
		.amdhsa_system_sgpr_workgroup_id_z 0
		.amdhsa_system_sgpr_workgroup_info 0
		.amdhsa_system_vgpr_workitem_id 0
		.amdhsa_next_free_vgpr 41
		.amdhsa_next_free_sgpr 52
		.amdhsa_reserve_vcc 1
		.amdhsa_float_round_mode_32 0
		.amdhsa_float_round_mode_16_64 0
		.amdhsa_float_denorm_mode_32 3
		.amdhsa_float_denorm_mode_16_64 3
		.amdhsa_dx10_clamp 1
		.amdhsa_ieee_mode 1
		.amdhsa_fp16_overflow 0
		.amdhsa_workgroup_processor_mode 1
		.amdhsa_memory_ordered 1
		.amdhsa_forward_progress 0
		.amdhsa_shared_vgpr_count 0
		.amdhsa_exception_fp_ieee_invalid_op 0
		.amdhsa_exception_fp_denorm_src 0
		.amdhsa_exception_fp_ieee_div_zero 0
		.amdhsa_exception_fp_ieee_overflow 0
		.amdhsa_exception_fp_ieee_underflow 0
		.amdhsa_exception_fp_ieee_inexact 0
		.amdhsa_exception_int_div_zero 0
	.end_amdhsa_kernel
	.section	.text._ZN2at6native12_GLOBAL__N_143distribution_elementwise_grid_stride_kernelImLi2EZZZNS0_9templates4cuda13random_kernelIPNS_17CUDAGeneratorImplEEEvRNS_18TensorIteratorBaseET_ENKUlvE_clEvENKUlvE1_clEvEUlP25hiprandStatePhilox4_32_10E_ZNS1_27distribution_nullary_kernelIim15HIP_vector_typeIyLj2EES7_SF_ZZZNS5_IS7_EEvS9_SA_ENKSB_clEvENKSC_clEvEUlmE_EEvS9_T2_RKT3_T4_EUlimE0_EEvlNS_15PhiloxCudaStateET1_SK_,"axG",@progbits,_ZN2at6native12_GLOBAL__N_143distribution_elementwise_grid_stride_kernelImLi2EZZZNS0_9templates4cuda13random_kernelIPNS_17CUDAGeneratorImplEEEvRNS_18TensorIteratorBaseET_ENKUlvE_clEvENKUlvE1_clEvEUlP25hiprandStatePhilox4_32_10E_ZNS1_27distribution_nullary_kernelIim15HIP_vector_typeIyLj2EES7_SF_ZZZNS5_IS7_EEvS9_SA_ENKSB_clEvENKSC_clEvEUlmE_EEvS9_T2_RKT3_T4_EUlimE0_EEvlNS_15PhiloxCudaStateET1_SK_,comdat
.Lfunc_end77:
	.size	_ZN2at6native12_GLOBAL__N_143distribution_elementwise_grid_stride_kernelImLi2EZZZNS0_9templates4cuda13random_kernelIPNS_17CUDAGeneratorImplEEEvRNS_18TensorIteratorBaseET_ENKUlvE_clEvENKUlvE1_clEvEUlP25hiprandStatePhilox4_32_10E_ZNS1_27distribution_nullary_kernelIim15HIP_vector_typeIyLj2EES7_SF_ZZZNS5_IS7_EEvS9_SA_ENKSB_clEvENKSC_clEvEUlmE_EEvS9_T2_RKT3_T4_EUlimE0_EEvlNS_15PhiloxCudaStateET1_SK_, .Lfunc_end77-_ZN2at6native12_GLOBAL__N_143distribution_elementwise_grid_stride_kernelImLi2EZZZNS0_9templates4cuda13random_kernelIPNS_17CUDAGeneratorImplEEEvRNS_18TensorIteratorBaseET_ENKUlvE_clEvENKUlvE1_clEvEUlP25hiprandStatePhilox4_32_10E_ZNS1_27distribution_nullary_kernelIim15HIP_vector_typeIyLj2EES7_SF_ZZZNS5_IS7_EEvS9_SA_ENKSB_clEvENKSC_clEvEUlmE_EEvS9_T2_RKT3_T4_EUlimE0_EEvlNS_15PhiloxCudaStateET1_SK_
                                        ; -- End function
	.section	.AMDGPU.csdata,"",@progbits
; Kernel info:
; codeLenInByte = 3792
; NumSgprs: 54
; NumVgprs: 41
; ScratchSize: 0
; MemoryBound: 0
; FloatMode: 240
; IeeeMode: 1
; LDSByteSize: 0 bytes/workgroup (compile time only)
; SGPRBlocks: 6
; VGPRBlocks: 5
; NumSGPRsForWavesPerEU: 54
; NumVGPRsForWavesPerEU: 41
; Occupancy: 16
; WaveLimiterHint : 1
; COMPUTE_PGM_RSRC2:SCRATCH_EN: 0
; COMPUTE_PGM_RSRC2:USER_SGPR: 15
; COMPUTE_PGM_RSRC2:TRAP_HANDLER: 0
; COMPUTE_PGM_RSRC2:TGID_X_EN: 1
; COMPUTE_PGM_RSRC2:TGID_Y_EN: 0
; COMPUTE_PGM_RSRC2:TGID_Z_EN: 0
; COMPUTE_PGM_RSRC2:TIDIG_COMP_CNT: 0
	.section	.text._ZN2at6native12_GLOBAL__N_143distribution_elementwise_grid_stride_kernelIjLi4EZZZNS0_9templates4cuda13random_kernelIPNS_17CUDAGeneratorImplEEEvRNS_18TensorIteratorBaseET_ENKUlvE_clEvENKUlvE1_clEvEUlP25hiprandStatePhilox4_32_10E0_ZNS1_27distribution_nullary_kernelIij15HIP_vector_typeIjLj4EES7_SF_ZZZNS5_IS7_EEvS9_SA_ENKSB_clEvENKSC_clEvEUljE_EEvS9_T2_RKT3_T4_EUlijE_EEvlNS_15PhiloxCudaStateET1_SK_,"axG",@progbits,_ZN2at6native12_GLOBAL__N_143distribution_elementwise_grid_stride_kernelIjLi4EZZZNS0_9templates4cuda13random_kernelIPNS_17CUDAGeneratorImplEEEvRNS_18TensorIteratorBaseET_ENKUlvE_clEvENKUlvE1_clEvEUlP25hiprandStatePhilox4_32_10E0_ZNS1_27distribution_nullary_kernelIij15HIP_vector_typeIjLj4EES7_SF_ZZZNS5_IS7_EEvS9_SA_ENKSB_clEvENKSC_clEvEUljE_EEvS9_T2_RKT3_T4_EUlijE_EEvlNS_15PhiloxCudaStateET1_SK_,comdat
	.globl	_ZN2at6native12_GLOBAL__N_143distribution_elementwise_grid_stride_kernelIjLi4EZZZNS0_9templates4cuda13random_kernelIPNS_17CUDAGeneratorImplEEEvRNS_18TensorIteratorBaseET_ENKUlvE_clEvENKUlvE1_clEvEUlP25hiprandStatePhilox4_32_10E0_ZNS1_27distribution_nullary_kernelIij15HIP_vector_typeIjLj4EES7_SF_ZZZNS5_IS7_EEvS9_SA_ENKSB_clEvENKSC_clEvEUljE_EEvS9_T2_RKT3_T4_EUlijE_EEvlNS_15PhiloxCudaStateET1_SK_ ; -- Begin function _ZN2at6native12_GLOBAL__N_143distribution_elementwise_grid_stride_kernelIjLi4EZZZNS0_9templates4cuda13random_kernelIPNS_17CUDAGeneratorImplEEEvRNS_18TensorIteratorBaseET_ENKUlvE_clEvENKUlvE1_clEvEUlP25hiprandStatePhilox4_32_10E0_ZNS1_27distribution_nullary_kernelIij15HIP_vector_typeIjLj4EES7_SF_ZZZNS5_IS7_EEvS9_SA_ENKSB_clEvENKSC_clEvEUljE_EEvS9_T2_RKT3_T4_EUlijE_EEvlNS_15PhiloxCudaStateET1_SK_
	.p2align	8
	.type	_ZN2at6native12_GLOBAL__N_143distribution_elementwise_grid_stride_kernelIjLi4EZZZNS0_9templates4cuda13random_kernelIPNS_17CUDAGeneratorImplEEEvRNS_18TensorIteratorBaseET_ENKUlvE_clEvENKUlvE1_clEvEUlP25hiprandStatePhilox4_32_10E0_ZNS1_27distribution_nullary_kernelIij15HIP_vector_typeIjLj4EES7_SF_ZZZNS5_IS7_EEvS9_SA_ENKSB_clEvENKSC_clEvEUljE_EEvS9_T2_RKT3_T4_EUlijE_EEvlNS_15PhiloxCudaStateET1_SK_,@function
_ZN2at6native12_GLOBAL__N_143distribution_elementwise_grid_stride_kernelIjLi4EZZZNS0_9templates4cuda13random_kernelIPNS_17CUDAGeneratorImplEEEvRNS_18TensorIteratorBaseET_ENKUlvE_clEvENKUlvE1_clEvEUlP25hiprandStatePhilox4_32_10E0_ZNS1_27distribution_nullary_kernelIij15HIP_vector_typeIjLj4EES7_SF_ZZZNS5_IS7_EEvS9_SA_ENKSB_clEvENKSC_clEvEUljE_EEvS9_T2_RKT3_T4_EUlijE_EEvlNS_15PhiloxCudaStateET1_SK_: ; @_ZN2at6native12_GLOBAL__N_143distribution_elementwise_grid_stride_kernelIjLi4EZZZNS0_9templates4cuda13random_kernelIPNS_17CUDAGeneratorImplEEEvRNS_18TensorIteratorBaseET_ENKUlvE_clEvENKUlvE1_clEvEUlP25hiprandStatePhilox4_32_10E0_ZNS1_27distribution_nullary_kernelIij15HIP_vector_typeIjLj4EES7_SF_ZZZNS5_IS7_EEvS9_SA_ENKSB_clEvENKSC_clEvEUljE_EEvS9_T2_RKT3_T4_EUlijE_EEvlNS_15PhiloxCudaStateET1_SK_
; %bb.0:
	s_clause 0x2
	s_load_b64 s[8:9], s[0:1], 0x10
	s_load_b128 s[4:7], s[0:1], 0x0
	s_load_b32 s2, s[0:1], 0x20
	s_waitcnt lgkmcnt(0)
	v_dual_mov_b32 v2, s8 :: v_dual_mov_b32 v3, s9
	v_dual_mov_b32 v12, s7 :: v_dual_mov_b32 v11, s6
	s_bitcmp0_b32 s2, 0
	s_mov_b32 s2, 0
	s_cbranch_scc1 .LBB78_2
; %bb.1:
	v_dual_mov_b32 v1, s8 :: v_dual_mov_b32 v2, s9
	v_dual_mov_b32 v4, s6 :: v_dual_mov_b32 v5, s7
	s_load_b64 s[6:7], s[0:1], 0x18
	flat_load_b64 v[2:3], v[1:2]
	flat_load_b64 v[11:12], v[4:5]
	s_waitcnt vmcnt(1) lgkmcnt(0)
	v_add_co_u32 v2, vcc_lo, v2, s6
	v_add_co_ci_u32_e32 v3, vcc_lo, s7, v3, vcc_lo
.LBB78_2:
	s_clause 0x1
	s_load_b32 s3, s[0:1], 0x4c
	s_load_b32 s11, s[0:1], 0x40
	s_waitcnt lgkmcnt(0)
	s_and_b32 s10, s3, 0xffff
	s_add_u32 s6, s4, -1
	s_mul_i32 s8, s11, s10
	s_addc_u32 s3, s5, -1
	s_lshl_b32 s9, s8, 2
	s_cmp_lg_u64 s[2:3], 0
	s_cbranch_scc0 .LBB78_27
; %bb.3:
	v_cvt_f32_ubyte0_e32 v1, 0
	v_cvt_f32_u32_e32 v4, s9
	s_sub_u32 s12, 0, s9
	s_subb_u32 s13, 0, 0
	s_delay_alu instid0(VALU_DEP_1) | instskip(NEXT) | instid1(VALU_DEP_1)
	v_fmamk_f32 v1, v1, 0x4f800000, v4
	v_rcp_f32_e32 v1, v1
	s_waitcnt_depctr 0xfff
	v_mul_f32_e32 v1, 0x5f7ffffc, v1
	s_delay_alu instid0(VALU_DEP_1) | instskip(NEXT) | instid1(VALU_DEP_1)
	v_mul_f32_e32 v4, 0x2f800000, v1
	v_trunc_f32_e32 v4, v4
	s_delay_alu instid0(VALU_DEP_1) | instskip(SKIP_1) | instid1(VALU_DEP_2)
	v_fmamk_f32 v1, v4, 0xcf800000, v1
	v_cvt_u32_f32_e32 v4, v4
	v_cvt_u32_f32_e32 v1, v1
	s_delay_alu instid0(VALU_DEP_2) | instskip(NEXT) | instid1(VALU_DEP_2)
	v_readfirstlane_b32 s2, v4
	v_readfirstlane_b32 s7, v1
	s_delay_alu instid0(VALU_DEP_2) | instskip(NEXT) | instid1(VALU_DEP_1)
	s_mul_i32 s14, s12, s2
	s_mul_hi_u32 s17, s12, s7
	s_mul_i32 s16, s13, s7
	s_add_i32 s14, s17, s14
	s_mul_i32 s18, s12, s7
	s_add_i32 s14, s14, s16
	s_mul_hi_u32 s17, s7, s18
	s_mul_hi_u32 s19, s2, s18
	s_mul_i32 s16, s2, s18
	s_mul_hi_u32 s18, s7, s14
	s_mul_i32 s7, s7, s14
	s_mul_hi_u32 s20, s2, s14
	s_add_u32 s7, s17, s7
	s_addc_u32 s17, 0, s18
	s_add_u32 s7, s7, s16
	s_mul_i32 s14, s2, s14
	s_addc_u32 s7, s17, s19
	s_addc_u32 s16, s20, 0
	s_add_u32 s7, s7, s14
	s_addc_u32 s14, 0, s16
	v_add_co_u32 v1, s7, v1, s7
	s_delay_alu instid0(VALU_DEP_1) | instskip(SKIP_1) | instid1(VALU_DEP_1)
	s_cmp_lg_u32 s7, 0
	s_addc_u32 s2, s2, s14
	v_readfirstlane_b32 s7, v1
	s_mul_i32 s14, s12, s2
	s_delay_alu instid0(VALU_DEP_1)
	s_mul_hi_u32 s16, s12, s7
	s_mul_i32 s13, s13, s7
	s_add_i32 s14, s16, s14
	s_mul_i32 s12, s12, s7
	s_add_i32 s14, s14, s13
	s_mul_hi_u32 s16, s2, s12
	s_mul_i32 s17, s2, s12
	s_mul_hi_u32 s12, s7, s12
	s_mul_hi_u32 s18, s7, s14
	s_mul_i32 s7, s7, s14
	s_mul_hi_u32 s13, s2, s14
	s_add_u32 s7, s12, s7
	s_addc_u32 s12, 0, s18
	s_add_u32 s7, s7, s17
	s_mul_i32 s14, s2, s14
	s_addc_u32 s7, s12, s16
	s_addc_u32 s12, s13, 0
	s_add_u32 s7, s7, s14
	s_addc_u32 s12, 0, s12
	v_add_co_u32 v1, s7, v1, s7
	s_delay_alu instid0(VALU_DEP_1) | instskip(SKIP_2) | instid1(VALU_DEP_1)
	s_cmp_lg_u32 s7, 0
	s_addc_u32 s7, s2, s12
	s_ashr_i32 s12, s3, 31
	v_readfirstlane_b32 s14, v1
	s_add_u32 s2, s6, s12
	s_mov_b32 s13, s12
	s_addc_u32 s3, s3, s12
	s_delay_alu instid0(SALU_CYCLE_1) | instskip(NEXT) | instid1(SALU_CYCLE_1)
	s_xor_b64 s[2:3], s[2:3], s[12:13]
	s_mul_i32 s17, s2, s7
	s_mul_hi_u32 s18, s2, s14
	s_mul_hi_u32 s16, s2, s7
	s_mul_hi_u32 s20, s3, s14
	s_mul_i32 s14, s3, s14
	s_add_u32 s17, s18, s17
	s_addc_u32 s16, 0, s16
	s_mul_hi_u32 s19, s3, s7
	s_add_u32 s14, s17, s14
	s_mul_i32 s7, s3, s7
	s_addc_u32 s14, s16, s20
	s_addc_u32 s16, s19, 0
	s_add_u32 s7, s14, s7
	s_addc_u32 s14, 0, s16
	s_mul_i32 s17, s9, s7
	s_add_u32 s16, s7, 1
	v_sub_co_u32 v1, s2, s2, s17
	s_mul_hi_u32 s17, s9, s7
	s_addc_u32 s18, s14, 0
	s_mul_i32 s19, s9, s14
	s_delay_alu instid0(VALU_DEP_1)
	v_sub_co_u32 v4, s20, v1, s9
	s_add_u32 s21, s7, 2
	s_addc_u32 s22, s14, 0
	s_add_i32 s17, s17, s19
	s_cmp_lg_u32 s2, 0
	v_readfirstlane_b32 s2, v4
	s_subb_u32 s3, s3, s17
	s_cmp_lg_u32 s20, 0
	s_subb_u32 s17, s3, 0
	s_delay_alu instid0(VALU_DEP_1) | instskip(SKIP_4) | instid1(SALU_CYCLE_1)
	s_cmp_ge_u32 s2, s9
	s_cselect_b32 s2, -1, 0
	s_cmp_eq_u32 s17, 0
	v_readfirstlane_b32 s17, v1
	s_cselect_b32 s2, s2, -1
	s_cmp_lg_u32 s2, 0
	s_cselect_b32 s2, s21, s16
	s_cselect_b32 s16, s22, s18
	s_cmp_ge_u32 s17, s9
	s_cselect_b32 s17, -1, 0
	s_cmp_eq_u32 s3, 0
	s_cselect_b32 s3, s17, -1
	s_delay_alu instid0(SALU_CYCLE_1) | instskip(SKIP_2) | instid1(SALU_CYCLE_1)
	s_cmp_lg_u32 s3, 0
	s_cselect_b32 s3, s16, s14
	s_cselect_b32 s2, s2, s7
	s_xor_b64 s[2:3], s[2:3], s[12:13]
	s_delay_alu instid0(SALU_CYCLE_1)
	s_sub_u32 s2, s2, s12
	s_subb_u32 s3, s3, s12
	s_cbranch_execnz .LBB78_5
.LBB78_4:
	v_cvt_f32_u32_e32 v1, s9
	s_sub_i32 s3, 0, s9
	s_delay_alu instid0(VALU_DEP_1) | instskip(SKIP_2) | instid1(VALU_DEP_1)
	v_rcp_iflag_f32_e32 v1, v1
	s_waitcnt_depctr 0xfff
	v_mul_f32_e32 v1, 0x4f7ffffe, v1
	v_cvt_u32_f32_e32 v1, v1
	s_delay_alu instid0(VALU_DEP_1) | instskip(NEXT) | instid1(VALU_DEP_1)
	v_readfirstlane_b32 s2, v1
	s_mul_i32 s3, s3, s2
	s_delay_alu instid0(SALU_CYCLE_1) | instskip(NEXT) | instid1(SALU_CYCLE_1)
	s_mul_hi_u32 s3, s2, s3
	s_add_i32 s2, s2, s3
	s_delay_alu instid0(SALU_CYCLE_1) | instskip(NEXT) | instid1(SALU_CYCLE_1)
	s_mul_hi_u32 s2, s6, s2
	s_mul_i32 s3, s2, s9
	s_delay_alu instid0(SALU_CYCLE_1)
	s_sub_i32 s3, s6, s3
	s_add_i32 s6, s2, 1
	s_sub_i32 s7, s3, s9
	s_cmp_ge_u32 s3, s9
	s_cselect_b32 s2, s6, s2
	s_cselect_b32 s3, s7, s3
	s_add_i32 s6, s2, 1
	s_cmp_ge_u32 s3, s9
	s_mov_b32 s3, 0
	s_cselect_b32 s2, s6, s2
.LBB78_5:
	v_mov_b32_e32 v1, 0
	s_add_u32 s2, s2, 1
	s_addc_u32 s3, s3, 0
	s_mul_hi_u32 s6, s8, s2
	s_mul_i32 s3, s8, s3
	v_mad_u64_u32 v[13:14], null, s10, s15, v[0:1]
	s_mul_hi_u32 s7, s11, s10
	s_add_i32 s3, s6, s3
	s_mul_i32 s7, s7, s2
	s_mul_i32 s2, s8, s2
	s_add_i32 s3, s3, s7
	s_mov_b32 s6, exec_lo
	s_lshl_b64 s[2:3], s[2:3], 2
	s_delay_alu instid0(SALU_CYCLE_1)
	v_cmpx_gt_i64_e64 s[2:3], v[13:14]
	s_cbranch_execz .LBB78_26
; %bb.6:
	v_alignbit_b32 v17, v3, v2, 2
	v_mad_u64_u32 v[6:7], null, 0xcd9e8d57, v13, 0
	v_lshrrev_b32_e32 v18, 2, v3
	s_waitcnt vmcnt(0)
	v_dual_mov_b32 v15, v12 :: v_dual_add_nc_u32 v30, 0x8ff34781, v11
	v_mad_u64_u32 v[4:5], null, 0xd2511f53, v17, 0
	v_add_co_u32 v20, null, 0x9e3779b9, v11
	v_xor3_b32 v3, v11, v7, v18
	s_delay_alu instid0(VALU_DEP_4) | instskip(SKIP_2) | instid1(VALU_DEP_4)
	v_add_co_u32 v19, null, 0xbb67ae85, v15
	v_add_co_u32 v21, null, 0x3c6ef372, v11
	v_xor_b32_e32 v1, v5, v12
	v_mad_u64_u32 v[7:8], null, 0xd2511f53, v3, 0
	v_add_co_u32 v22, null, 0x76cf5d0a, v15
	s_delay_alu instid0(VALU_DEP_3) | instskip(SKIP_2) | instid1(VALU_DEP_3)
	v_xor_b32_e32 v1, v1, v14
	v_add_co_u32 v23, null, 0x32370b8f, v15
	v_add_co_u32 v24, null, 0xdaa66d2b, v11
	v_mad_u64_u32 v[9:10], null, 0xcd9e8d57, v1, 0
	v_xor3_b32 v1, v19, v8, v4
	v_add_co_u32 v25, null, 0x78dde6e4, v11
	v_add_co_u32 v26, null, 0xed9eba14, v15
	s_delay_alu instid0(VALU_DEP_3) | instskip(SKIP_3) | instid1(VALU_DEP_3)
	v_mad_u64_u32 v[3:4], null, 0xcd9e8d57, v1, 0
	v_xor3_b32 v8, v20, v10, v6
	v_add_co_u32 v27, null, 0xa9066899, v15
	v_add_co_u32 v28, null, 0x1715609d, v11
	v_mad_u64_u32 v[5:6], null, 0xd2511f53, v8, 0
	v_xor3_b32 v1, v21, v4, v9
	v_and_b32_e32 v29, 3, v2
	v_add_co_u32 v33, null, 0xb54cda56, v11
	v_add_co_u32 v34, null, 0x646e171e, v15
	v_xor3_b32 v4, v22, v6, v7
	v_mad_u64_u32 v[6:7], null, 0xd2511f53, v1, 0
	v_add_co_u32 v36, null, 0x1fd5c5a3, v15
	s_delay_alu instid0(VALU_DEP_3) | instskip(SKIP_1) | instid1(VALU_DEP_4)
	v_mad_u64_u32 v[8:9], null, 0xcd9e8d57, v4, 0
	v_add_co_u32 v32, null, 0x5384540f, v11
	v_xor3_b32 v1, v23, v7, v5
	s_clause 0x1
	s_load_b64 s[6:7], s[0:1], 0x30
	s_load_b32 s12, s[0:1], 0x38
	v_add_co_u32 v35, null, 0xf1bbcdc8, v11
	s_delay_alu instid0(VALU_DEP_4) | instskip(SKIP_3) | instid1(VALU_DEP_2)
	v_xor3_b32 v5, v24, v9, v3
	v_mad_u64_u32 v[3:4], null, 0xcd9e8d57, v1, 0
	s_mul_i32 s13, s11, 3
	s_add_i32 s16, s15, s11
	v_mad_u64_u32 v[9:10], null, 0xd2511f53, v5, 0
	s_add_i32 s13, s15, s13
	v_add_co_u32 v38, null, 0xdb3d7428, v15
	s_delay_alu instid0(VALU_DEP_3) | instskip(SKIP_2) | instid1(VALU_DEP_4)
	v_xor3_b32 v1, v25, v4, v8
	s_lshl_b32 s14, s11, 1
	v_add_nc_u32_e32 v31, 0x96a522ad, v12
	v_xor3_b32 v8, v26, v10, v6
	v_mov_b32_e32 v37, v13
	v_mad_u64_u32 v[4:5], null, 0xd2511f53, v1, 0
	s_waitcnt lgkmcnt(0)
	s_mul_i32 s11, s11, s12
	v_mad_u64_u32 v[6:7], null, 0xcd9e8d57, v8, 0
	v_mov_b32_e32 v43, v14
	s_mul_i32 s11, s11, s10
	s_mov_b32 s0, 0
	s_delay_alu instid0(VALU_DEP_3) | instskip(SKIP_2) | instid1(VALU_DEP_3)
	v_xor3_b32 v5, v27, v5, v9
	s_lshl_b32 s1, s8, 1
	s_lshl_b32 s11, s11, 2
	v_xor3_b32 v3, v28, v7, v3
	s_delay_alu instid0(VALU_DEP_2) | instskip(NEXT) | instid1(VALU_DEP_2)
	v_mad_u64_u32 v[1:2], null, 0xcd9e8d57, v5, 0
	v_mad_u64_u32 v[7:8], null, 0xd2511f53, v3, 0
	s_delay_alu instid0(VALU_DEP_2) | instskip(NEXT) | instid1(VALU_DEP_2)
	v_xor3_b32 v2, v33, v2, v6
	v_xor3_b32 v6, v34, v8, v4
	s_delay_alu instid0(VALU_DEP_4) | instskip(NEXT) | instid1(VALU_DEP_3)
	v_mad_u64_u32 v[3:4], null, s15, s10, v[0:1]
	v_mad_u64_u32 v[4:5], null, 0xd2511f53, v2, 0
	s_delay_alu instid0(VALU_DEP_3) | instskip(SKIP_1) | instid1(VALU_DEP_3)
	v_mad_u64_u32 v[8:9], null, 0xcd9e8d57, v6, 0
	s_add_i32 s15, s15, s14
	v_mul_lo_u32 v39, s12, v3
	s_delay_alu instid0(VALU_DEP_3) | instskip(NEXT) | instid1(VALU_DEP_3)
	v_xor3_b32 v2, v36, v5, v7
	v_xor3_b32 v1, v32, v9, v1
	s_delay_alu instid0(VALU_DEP_2) | instskip(NEXT) | instid1(VALU_DEP_2)
	v_mad_u64_u32 v[5:6], null, 0xcd9e8d57, v2, 0
	v_mad_u64_u32 v[9:10], null, 0xd2511f53, v1, 0
	;; [unrolled: 1-line block ×4, first 2 shown]
	s_delay_alu instid0(VALU_DEP_4) | instskip(NEXT) | instid1(VALU_DEP_4)
	v_xor3_b32 v1, v35, v6, v8
	v_xor3_b32 v4, v38, v10, v4
	s_delay_alu instid0(VALU_DEP_4) | instskip(NEXT) | instid1(VALU_DEP_3)
	v_mul_lo_u32 v42, s12, v15
	v_mad_u64_u32 v[6:7], null, s15, s10, v[0:1]
	v_mad_u64_u32 v[7:8], null, 0xd2511f53, v1, 0
	s_delay_alu instid0(VALU_DEP_4) | instskip(SKIP_2) | instid1(VALU_DEP_4)
	v_mad_u64_u32 v[1:2], null, 0xcd9e8d57, v4, 0
	v_mul_lo_u32 v40, s12, v40
	s_mul_i32 s10, s8, 3
	v_mul_lo_u32 v41, s12, v6
	s_mov_b32 s12, 0
	s_delay_alu instid0(VALU_DEP_4) | instskip(NEXT) | instid1(VALU_DEP_4)
	v_mov_b32_e32 v3, v7
	v_xor3_b32 v0, v2, v5, v30
	v_xor3_b32 v2, v8, v9, v31
	s_branch .LBB78_8
.LBB78_7:                               ;   in Loop: Header=BB78_8 Depth=1
	s_or_b32 exec_lo, exec_lo, s13
	v_add_co_u32 v13, vcc_lo, v13, s9
	v_add_co_ci_u32_e32 v14, vcc_lo, 0, v14, vcc_lo
	v_mov_b32_e32 v7, v15
	v_dual_mov_b32 v0, v4 :: v_dual_mov_b32 v1, v5
	s_delay_alu instid0(VALU_DEP_3) | instskip(NEXT) | instid1(VALU_DEP_3)
	v_cmp_le_i64_e32 vcc_lo, s[2:3], v[13:14]
	v_dual_mov_b32 v2, v6 :: v_dual_mov_b32 v3, v7
	s_add_i32 s12, s12, s11
	s_waitcnt_vscnt null, 0x0
	s_barrier
	s_or_b32 s0, vcc_lo, s0
	buffer_gl0_inv
	s_and_not1_b32 exec_lo, exec_lo, s0
	s_cbranch_execz .LBB78_26
.LBB78_8:                               ; =>This Inner Loop Header: Depth=1
	v_add_co_u32 v17, vcc_lo, v17, 1
	s_delay_alu instid0(VALU_DEP_1) | instskip(SKIP_2) | instid1(VALU_DEP_1)
	v_cndmask_b32_e64 v4, 0, 1, vcc_lo
	v_add_co_ci_u32_e32 v18, vcc_lo, 0, v18, vcc_lo
	s_mov_b32 s13, exec_lo
	v_cmp_eq_u32_e32 vcc_lo, 0, v18
	s_delay_alu instid0(VALU_DEP_3) | instskip(NEXT) | instid1(VALU_DEP_1)
	v_cndmask_b32_e32 v4, 0, v4, vcc_lo
	v_add_nc_u32_e32 v37, v4, v37
	s_delay_alu instid0(VALU_DEP_1) | instskip(SKIP_2) | instid1(VALU_DEP_2)
	v_cmp_eq_u32_e32 vcc_lo, 0, v37
	v_cndmask_b32_e32 v4, 0, v4, vcc_lo
	v_mad_u64_u32 v[6:7], null, 0xcd9e8d57, v37, 0
	v_add_nc_u32_e32 v43, v4, v43
	v_mad_u64_u32 v[4:5], null, 0xd2511f53, v17, 0
	s_delay_alu instid0(VALU_DEP_3) | instskip(NEXT) | instid1(VALU_DEP_2)
	v_xor3_b32 v9, v7, v11, v18
	v_xor_b32_e32 v5, v5, v12
	s_delay_alu instid0(VALU_DEP_2) | instskip(NEXT) | instid1(VALU_DEP_2)
	v_mad_u64_u32 v[7:8], null, 0xd2511f53, v9, 0
	v_xor_b32_e32 v5, v43, v5
	s_delay_alu instid0(VALU_DEP_2) | instskip(NEXT) | instid1(VALU_DEP_2)
	v_xor3_b32 v8, v19, v8, v4
	v_mad_u64_u32 v[9:10], null, 0xcd9e8d57, v5, 0
	s_delay_alu instid0(VALU_DEP_2) | instskip(NEXT) | instid1(VALU_DEP_2)
	v_mad_u64_u32 v[4:5], null, 0xcd9e8d57, v8, 0
	v_xor3_b32 v6, v20, v10, v6
	s_delay_alu instid0(VALU_DEP_2) | instskip(NEXT) | instid1(VALU_DEP_2)
	v_xor3_b32 v8, v21, v5, v9
	v_mad_u64_u32 v[15:16], null, 0xd2511f53, v6, 0
	s_delay_alu instid0(VALU_DEP_2) | instskip(NEXT) | instid1(VALU_DEP_2)
	v_mad_u64_u32 v[5:6], null, 0xd2511f53, v8, 0
	v_xor3_b32 v9, v22, v16, v7
	s_delay_alu instid0(VALU_DEP_2) | instskip(NEXT) | instid1(VALU_DEP_2)
	v_xor3_b32 v6, v23, v6, v15
	v_mad_u64_u32 v[7:8], null, 0xcd9e8d57, v9, 0
	s_delay_alu instid0(VALU_DEP_1) | instskip(NEXT) | instid1(VALU_DEP_3)
	v_xor3_b32 v4, v24, v8, v4
	v_mad_u64_u32 v[8:9], null, 0xcd9e8d57, v6, 0
	s_delay_alu instid0(VALU_DEP_2) | instskip(NEXT) | instid1(VALU_DEP_2)
	v_mad_u64_u32 v[15:16], null, 0xd2511f53, v4, 0
	v_xor3_b32 v6, v25, v9, v7
	s_delay_alu instid0(VALU_DEP_2) | instskip(NEXT) | instid1(VALU_DEP_2)
	v_xor3_b32 v9, v26, v16, v5
	v_mad_u64_u32 v[4:5], null, 0xd2511f53, v6, 0
	s_delay_alu instid0(VALU_DEP_2) | instskip(NEXT) | instid1(VALU_DEP_2)
	v_mad_u64_u32 v[6:7], null, 0xcd9e8d57, v9, 0
	v_xor3_b32 v5, v27, v5, v15
	s_delay_alu instid0(VALU_DEP_2) | instskip(NEXT) | instid1(VALU_DEP_2)
	;; [unrolled: 6-line block ×6, first 2 shown]
	v_xor3_b32 v4, v6, v7, v30
	v_mov_b32_e32 v6, v10
	v_cmpx_lt_i32_e32 1, v29
	s_xor_b32 s13, exec_lo, s13
	s_cbranch_execnz .LBB78_18
; %bb.9:                                ;   in Loop: Header=BB78_8 Depth=1
	s_and_not1_saveexec_b32 s13, s13
	s_cbranch_execnz .LBB78_23
.LBB78_10:                              ;   in Loop: Header=BB78_8 Depth=1
	s_or_b32 exec_lo, exec_lo, s13
	s_delay_alu instid0(SALU_CYCLE_1)
	s_mov_b32 s13, exec_lo
	v_cmpx_gt_i64_e64 s[4:5], v[13:14]
	s_cbranch_execz .LBB78_12
.LBB78_11:                              ;   in Loop: Header=BB78_8 Depth=1
	v_add_nc_u32_e32 v7, s12, v39
	v_and_b32_e32 v0, 0x7fffffff, v0
	s_delay_alu instid0(VALU_DEP_2) | instskip(SKIP_1) | instid1(VALU_DEP_2)
	v_ashrrev_i32_e32 v8, 31, v7
	v_add_co_u32 v7, vcc_lo, s6, v7
	v_add_co_ci_u32_e32 v8, vcc_lo, s7, v8, vcc_lo
	global_store_b32 v[7:8], v0, off
.LBB78_12:                              ;   in Loop: Header=BB78_8 Depth=1
	s_or_b32 exec_lo, exec_lo, s13
	v_add_co_u32 v7, vcc_lo, s8, v13
	v_add_co_ci_u32_e32 v8, vcc_lo, 0, v14, vcc_lo
	s_mov_b32 s13, exec_lo
	s_delay_alu instid0(VALU_DEP_1)
	v_cmpx_gt_i64_e64 s[4:5], v[7:8]
	s_cbranch_execz .LBB78_14
; %bb.13:                               ;   in Loop: Header=BB78_8 Depth=1
	v_add_nc_u32_e32 v0, s12, v42
	s_delay_alu instid0(VALU_DEP_1) | instskip(SKIP_2) | instid1(VALU_DEP_3)
	v_ashrrev_i32_e32 v8, 31, v0
	v_add_co_u32 v7, vcc_lo, s6, v0
	v_and_b32_e32 v0, 0x7fffffff, v1
	v_add_co_ci_u32_e32 v8, vcc_lo, s7, v8, vcc_lo
	global_store_b32 v[7:8], v0, off
.LBB78_14:                              ;   in Loop: Header=BB78_8 Depth=1
	s_or_b32 exec_lo, exec_lo, s13
	v_add_co_u32 v0, vcc_lo, s1, v13
	v_add_co_ci_u32_e32 v1, vcc_lo, 0, v14, vcc_lo
	s_mov_b32 s13, exec_lo
	s_delay_alu instid0(VALU_DEP_1)
	v_cmpx_gt_i64_e64 s[4:5], v[0:1]
	s_cbranch_execz .LBB78_16
; %bb.15:                               ;   in Loop: Header=BB78_8 Depth=1
	v_add_nc_u32_e32 v0, s12, v41
	v_and_b32_e32 v2, 0x7fffffff, v2
	s_delay_alu instid0(VALU_DEP_2) | instskip(SKIP_1) | instid1(VALU_DEP_2)
	v_ashrrev_i32_e32 v1, 31, v0
	v_add_co_u32 v0, vcc_lo, s6, v0
	v_add_co_ci_u32_e32 v1, vcc_lo, s7, v1, vcc_lo
	global_store_b32 v[0:1], v2, off
.LBB78_16:                              ;   in Loop: Header=BB78_8 Depth=1
	s_or_b32 exec_lo, exec_lo, s13
	v_add_co_u32 v0, vcc_lo, s10, v13
	v_add_co_ci_u32_e32 v1, vcc_lo, 0, v14, vcc_lo
	s_mov_b32 s13, exec_lo
	s_delay_alu instid0(VALU_DEP_1)
	v_cmpx_gt_i64_e64 s[4:5], v[0:1]
	s_cbranch_execz .LBB78_7
; %bb.17:                               ;   in Loop: Header=BB78_8 Depth=1
	v_add_nc_u32_e32 v0, s12, v40
	v_and_b32_e32 v2, 0x7fffffff, v3
	s_delay_alu instid0(VALU_DEP_2) | instskip(SKIP_1) | instid1(VALU_DEP_2)
	v_ashrrev_i32_e32 v1, 31, v0
	v_add_co_u32 v0, vcc_lo, s6, v0
	v_add_co_ci_u32_e32 v1, vcc_lo, s7, v1, vcc_lo
	global_store_b32 v[0:1], v2, off
	s_branch .LBB78_7
.LBB78_18:                              ;   in Loop: Header=BB78_8 Depth=1
	s_mov_b32 s14, exec_lo
	v_cmpx_lt_i32_e32 2, v29
	s_xor_b32 s14, exec_lo, s14
; %bb.19:                               ;   in Loop: Header=BB78_8 Depth=1
	v_dual_mov_b32 v7, v3 :: v_dual_mov_b32 v8, v4
	v_mov_b32_e32 v9, v5
	s_delay_alu instid0(VALU_DEP_2) | instskip(NEXT) | instid1(VALU_DEP_2)
	v_dual_mov_b32 v0, v7 :: v_dual_mov_b32 v1, v8
	v_dual_mov_b32 v2, v9 :: v_dual_mov_b32 v3, v10
; %bb.20:                               ;   in Loop: Header=BB78_8 Depth=1
	s_and_not1_saveexec_b32 s14, s14
; %bb.21:                               ;   in Loop: Header=BB78_8 Depth=1
	s_delay_alu instid0(VALU_DEP_1)
	v_dual_mov_b32 v0, v2 :: v_dual_mov_b32 v1, v3
	v_dual_mov_b32 v2, v4 :: v_dual_mov_b32 v3, v5
; %bb.22:                               ;   in Loop: Header=BB78_8 Depth=1
	s_or_b32 exec_lo, exec_lo, s14
	s_and_not1_saveexec_b32 s13, s13
	s_cbranch_execz .LBB78_10
.LBB78_23:                              ;   in Loop: Header=BB78_8 Depth=1
	s_mov_b32 s14, exec_lo
	v_cmpx_eq_u32_e32 1, v29
; %bb.24:                               ;   in Loop: Header=BB78_8 Depth=1
	v_dual_mov_b32 v0, v1 :: v_dual_mov_b32 v1, v2
	v_dual_mov_b32 v2, v3 :: v_dual_mov_b32 v3, v4
; %bb.25:                               ;   in Loop: Header=BB78_8 Depth=1
	s_or_b32 exec_lo, exec_lo, s14
	s_delay_alu instid0(SALU_CYCLE_1) | instskip(NEXT) | instid1(SALU_CYCLE_1)
	s_or_b32 exec_lo, exec_lo, s13
	s_mov_b32 s13, exec_lo
	v_cmpx_gt_i64_e64 s[4:5], v[13:14]
	s_cbranch_execnz .LBB78_11
	s_branch .LBB78_12
.LBB78_26:
	s_endpgm
.LBB78_27:
                                        ; implicit-def: $sgpr2_sgpr3
	s_branch .LBB78_4
	.section	.rodata,"a",@progbits
	.p2align	6, 0x0
	.amdhsa_kernel _ZN2at6native12_GLOBAL__N_143distribution_elementwise_grid_stride_kernelIjLi4EZZZNS0_9templates4cuda13random_kernelIPNS_17CUDAGeneratorImplEEEvRNS_18TensorIteratorBaseET_ENKUlvE_clEvENKUlvE1_clEvEUlP25hiprandStatePhilox4_32_10E0_ZNS1_27distribution_nullary_kernelIij15HIP_vector_typeIjLj4EES7_SF_ZZZNS5_IS7_EEvS9_SA_ENKSB_clEvENKSC_clEvEUljE_EEvS9_T2_RKT3_T4_EUlijE_EEvlNS_15PhiloxCudaStateET1_SK_
		.amdhsa_group_segment_fixed_size 0
		.amdhsa_private_segment_fixed_size 0
		.amdhsa_kernarg_size 320
		.amdhsa_user_sgpr_count 15
		.amdhsa_user_sgpr_dispatch_ptr 0
		.amdhsa_user_sgpr_queue_ptr 0
		.amdhsa_user_sgpr_kernarg_segment_ptr 1
		.amdhsa_user_sgpr_dispatch_id 0
		.amdhsa_user_sgpr_private_segment_size 0
		.amdhsa_wavefront_size32 1
		.amdhsa_uses_dynamic_stack 0
		.amdhsa_enable_private_segment 0
		.amdhsa_system_sgpr_workgroup_id_x 1
		.amdhsa_system_sgpr_workgroup_id_y 0
		.amdhsa_system_sgpr_workgroup_id_z 0
		.amdhsa_system_sgpr_workgroup_info 0
		.amdhsa_system_vgpr_workitem_id 0
		.amdhsa_next_free_vgpr 44
		.amdhsa_next_free_sgpr 23
		.amdhsa_reserve_vcc 1
		.amdhsa_float_round_mode_32 0
		.amdhsa_float_round_mode_16_64 0
		.amdhsa_float_denorm_mode_32 3
		.amdhsa_float_denorm_mode_16_64 3
		.amdhsa_dx10_clamp 1
		.amdhsa_ieee_mode 1
		.amdhsa_fp16_overflow 0
		.amdhsa_workgroup_processor_mode 1
		.amdhsa_memory_ordered 1
		.amdhsa_forward_progress 0
		.amdhsa_shared_vgpr_count 0
		.amdhsa_exception_fp_ieee_invalid_op 0
		.amdhsa_exception_fp_denorm_src 0
		.amdhsa_exception_fp_ieee_div_zero 0
		.amdhsa_exception_fp_ieee_overflow 0
		.amdhsa_exception_fp_ieee_underflow 0
		.amdhsa_exception_fp_ieee_inexact 0
		.amdhsa_exception_int_div_zero 0
	.end_amdhsa_kernel
	.section	.text._ZN2at6native12_GLOBAL__N_143distribution_elementwise_grid_stride_kernelIjLi4EZZZNS0_9templates4cuda13random_kernelIPNS_17CUDAGeneratorImplEEEvRNS_18TensorIteratorBaseET_ENKUlvE_clEvENKUlvE1_clEvEUlP25hiprandStatePhilox4_32_10E0_ZNS1_27distribution_nullary_kernelIij15HIP_vector_typeIjLj4EES7_SF_ZZZNS5_IS7_EEvS9_SA_ENKSB_clEvENKSC_clEvEUljE_EEvS9_T2_RKT3_T4_EUlijE_EEvlNS_15PhiloxCudaStateET1_SK_,"axG",@progbits,_ZN2at6native12_GLOBAL__N_143distribution_elementwise_grid_stride_kernelIjLi4EZZZNS0_9templates4cuda13random_kernelIPNS_17CUDAGeneratorImplEEEvRNS_18TensorIteratorBaseET_ENKUlvE_clEvENKUlvE1_clEvEUlP25hiprandStatePhilox4_32_10E0_ZNS1_27distribution_nullary_kernelIij15HIP_vector_typeIjLj4EES7_SF_ZZZNS5_IS7_EEvS9_SA_ENKSB_clEvENKSC_clEvEUljE_EEvS9_T2_RKT3_T4_EUlijE_EEvlNS_15PhiloxCudaStateET1_SK_,comdat
.Lfunc_end78:
	.size	_ZN2at6native12_GLOBAL__N_143distribution_elementwise_grid_stride_kernelIjLi4EZZZNS0_9templates4cuda13random_kernelIPNS_17CUDAGeneratorImplEEEvRNS_18TensorIteratorBaseET_ENKUlvE_clEvENKUlvE1_clEvEUlP25hiprandStatePhilox4_32_10E0_ZNS1_27distribution_nullary_kernelIij15HIP_vector_typeIjLj4EES7_SF_ZZZNS5_IS7_EEvS9_SA_ENKSB_clEvENKSC_clEvEUljE_EEvS9_T2_RKT3_T4_EUlijE_EEvlNS_15PhiloxCudaStateET1_SK_, .Lfunc_end78-_ZN2at6native12_GLOBAL__N_143distribution_elementwise_grid_stride_kernelIjLi4EZZZNS0_9templates4cuda13random_kernelIPNS_17CUDAGeneratorImplEEEvRNS_18TensorIteratorBaseET_ENKUlvE_clEvENKUlvE1_clEvEUlP25hiprandStatePhilox4_32_10E0_ZNS1_27distribution_nullary_kernelIij15HIP_vector_typeIjLj4EES7_SF_ZZZNS5_IS7_EEvS9_SA_ENKSB_clEvENKSC_clEvEUljE_EEvS9_T2_RKT3_T4_EUlijE_EEvlNS_15PhiloxCudaStateET1_SK_
                                        ; -- End function
	.section	.AMDGPU.csdata,"",@progbits
; Kernel info:
; codeLenInByte = 2836
; NumSgprs: 25
; NumVgprs: 44
; ScratchSize: 0
; MemoryBound: 0
; FloatMode: 240
; IeeeMode: 1
; LDSByteSize: 0 bytes/workgroup (compile time only)
; SGPRBlocks: 3
; VGPRBlocks: 5
; NumSGPRsForWavesPerEU: 25
; NumVGPRsForWavesPerEU: 44
; Occupancy: 16
; WaveLimiterHint : 0
; COMPUTE_PGM_RSRC2:SCRATCH_EN: 0
; COMPUTE_PGM_RSRC2:USER_SGPR: 15
; COMPUTE_PGM_RSRC2:TRAP_HANDLER: 0
; COMPUTE_PGM_RSRC2:TGID_X_EN: 1
; COMPUTE_PGM_RSRC2:TGID_Y_EN: 0
; COMPUTE_PGM_RSRC2:TGID_Z_EN: 0
; COMPUTE_PGM_RSRC2:TIDIG_COMP_CNT: 0
	.section	.text._ZN2at6native12_GLOBAL__N_143distribution_elementwise_grid_stride_kernelIjLi4EZZZNS0_9templates4cuda13random_kernelIPNS_17CUDAGeneratorImplEEEvRNS_18TensorIteratorBaseET_ENKUlvE_clEvENKUlvE1_clEvEUlP25hiprandStatePhilox4_32_10E0_ZNS1_27distribution_nullary_kernelIij15HIP_vector_typeIjLj4EES7_SF_ZZZNS5_IS7_EEvS9_SA_ENKSB_clEvENKSC_clEvEUljE_EEvS9_T2_RKT3_T4_EUlijE0_EEvlNS_15PhiloxCudaStateET1_SK_,"axG",@progbits,_ZN2at6native12_GLOBAL__N_143distribution_elementwise_grid_stride_kernelIjLi4EZZZNS0_9templates4cuda13random_kernelIPNS_17CUDAGeneratorImplEEEvRNS_18TensorIteratorBaseET_ENKUlvE_clEvENKUlvE1_clEvEUlP25hiprandStatePhilox4_32_10E0_ZNS1_27distribution_nullary_kernelIij15HIP_vector_typeIjLj4EES7_SF_ZZZNS5_IS7_EEvS9_SA_ENKSB_clEvENKSC_clEvEUljE_EEvS9_T2_RKT3_T4_EUlijE0_EEvlNS_15PhiloxCudaStateET1_SK_,comdat
	.globl	_ZN2at6native12_GLOBAL__N_143distribution_elementwise_grid_stride_kernelIjLi4EZZZNS0_9templates4cuda13random_kernelIPNS_17CUDAGeneratorImplEEEvRNS_18TensorIteratorBaseET_ENKUlvE_clEvENKUlvE1_clEvEUlP25hiprandStatePhilox4_32_10E0_ZNS1_27distribution_nullary_kernelIij15HIP_vector_typeIjLj4EES7_SF_ZZZNS5_IS7_EEvS9_SA_ENKSB_clEvENKSC_clEvEUljE_EEvS9_T2_RKT3_T4_EUlijE0_EEvlNS_15PhiloxCudaStateET1_SK_ ; -- Begin function _ZN2at6native12_GLOBAL__N_143distribution_elementwise_grid_stride_kernelIjLi4EZZZNS0_9templates4cuda13random_kernelIPNS_17CUDAGeneratorImplEEEvRNS_18TensorIteratorBaseET_ENKUlvE_clEvENKUlvE1_clEvEUlP25hiprandStatePhilox4_32_10E0_ZNS1_27distribution_nullary_kernelIij15HIP_vector_typeIjLj4EES7_SF_ZZZNS5_IS7_EEvS9_SA_ENKSB_clEvENKSC_clEvEUljE_EEvS9_T2_RKT3_T4_EUlijE0_EEvlNS_15PhiloxCudaStateET1_SK_
	.p2align	8
	.type	_ZN2at6native12_GLOBAL__N_143distribution_elementwise_grid_stride_kernelIjLi4EZZZNS0_9templates4cuda13random_kernelIPNS_17CUDAGeneratorImplEEEvRNS_18TensorIteratorBaseET_ENKUlvE_clEvENKUlvE1_clEvEUlP25hiprandStatePhilox4_32_10E0_ZNS1_27distribution_nullary_kernelIij15HIP_vector_typeIjLj4EES7_SF_ZZZNS5_IS7_EEvS9_SA_ENKSB_clEvENKSC_clEvEUljE_EEvS9_T2_RKT3_T4_EUlijE0_EEvlNS_15PhiloxCudaStateET1_SK_,@function
_ZN2at6native12_GLOBAL__N_143distribution_elementwise_grid_stride_kernelIjLi4EZZZNS0_9templates4cuda13random_kernelIPNS_17CUDAGeneratorImplEEEvRNS_18TensorIteratorBaseET_ENKUlvE_clEvENKUlvE1_clEvEUlP25hiprandStatePhilox4_32_10E0_ZNS1_27distribution_nullary_kernelIij15HIP_vector_typeIjLj4EES7_SF_ZZZNS5_IS7_EEvS9_SA_ENKSB_clEvENKSC_clEvEUljE_EEvS9_T2_RKT3_T4_EUlijE0_EEvlNS_15PhiloxCudaStateET1_SK_: ; @_ZN2at6native12_GLOBAL__N_143distribution_elementwise_grid_stride_kernelIjLi4EZZZNS0_9templates4cuda13random_kernelIPNS_17CUDAGeneratorImplEEEvRNS_18TensorIteratorBaseET_ENKUlvE_clEvENKUlvE1_clEvEUlP25hiprandStatePhilox4_32_10E0_ZNS1_27distribution_nullary_kernelIij15HIP_vector_typeIjLj4EES7_SF_ZZZNS5_IS7_EEvS9_SA_ENKSB_clEvENKSC_clEvEUljE_EEvS9_T2_RKT3_T4_EUlijE0_EEvlNS_15PhiloxCudaStateET1_SK_
; %bb.0:
	s_clause 0x2
	s_load_b64 s[4:5], s[0:1], 0x10
	s_load_b128 s[16:19], s[0:1], 0x0
	s_load_b32 s2, s[0:1], 0x20
	s_waitcnt lgkmcnt(0)
	v_dual_mov_b32 v2, s4 :: v_dual_mov_b32 v3, s5
	v_dual_mov_b32 v11, s18 :: v_dual_mov_b32 v12, s19
	s_bitcmp0_b32 s2, 0
	s_mov_b32 s2, 0
	s_cbranch_scc1 .LBB79_2
; %bb.1:
	v_dual_mov_b32 v1, s4 :: v_dual_mov_b32 v2, s5
	v_dual_mov_b32 v4, s18 :: v_dual_mov_b32 v5, s19
	s_load_b64 s[4:5], s[0:1], 0x18
	flat_load_b64 v[2:3], v[1:2]
	flat_load_b64 v[11:12], v[4:5]
	s_waitcnt vmcnt(1) lgkmcnt(0)
	v_add_co_u32 v2, vcc_lo, v2, s4
	v_add_co_ci_u32_e32 v3, vcc_lo, s5, v3, vcc_lo
.LBB79_2:
	s_clause 0x1
	s_load_b32 s3, s[0:1], 0x154
	s_load_b32 s4, s[0:1], 0x148
	s_waitcnt lgkmcnt(0)
	s_and_b32 s5, s3, 0xffff
	s_add_u32 s6, s16, -1
	s_mul_i32 s24, s4, s5
	s_addc_u32 s3, s17, -1
	s_lshl_b32 s25, s24, 2
	s_cmp_lg_u64 s[2:3], 0
	s_cbranch_scc0 .LBB79_79
; %bb.3:
	v_cvt_f32_ubyte0_e32 v1, 0
	v_cvt_f32_u32_e32 v4, s25
	s_sub_u32 s8, 0, s25
	s_subb_u32 s9, 0, 0
	s_delay_alu instid0(VALU_DEP_1) | instskip(NEXT) | instid1(VALU_DEP_1)
	v_fmamk_f32 v1, v1, 0x4f800000, v4
	v_rcp_f32_e32 v1, v1
	s_waitcnt_depctr 0xfff
	v_mul_f32_e32 v1, 0x5f7ffffc, v1
	s_delay_alu instid0(VALU_DEP_1) | instskip(NEXT) | instid1(VALU_DEP_1)
	v_mul_f32_e32 v4, 0x2f800000, v1
	v_trunc_f32_e32 v4, v4
	s_delay_alu instid0(VALU_DEP_1) | instskip(SKIP_1) | instid1(VALU_DEP_2)
	v_fmamk_f32 v1, v4, 0xcf800000, v1
	v_cvt_u32_f32_e32 v4, v4
	v_cvt_u32_f32_e32 v1, v1
	s_delay_alu instid0(VALU_DEP_2) | instskip(NEXT) | instid1(VALU_DEP_2)
	v_readfirstlane_b32 s2, v4
	v_readfirstlane_b32 s7, v1
	s_delay_alu instid0(VALU_DEP_2) | instskip(NEXT) | instid1(VALU_DEP_1)
	s_mul_i32 s10, s8, s2
	s_mul_hi_u32 s12, s8, s7
	s_mul_i32 s11, s9, s7
	s_add_i32 s10, s12, s10
	s_mul_i32 s13, s8, s7
	s_add_i32 s10, s10, s11
	s_mul_hi_u32 s12, s7, s13
	s_mul_hi_u32 s14, s2, s13
	s_mul_i32 s11, s2, s13
	s_mul_hi_u32 s13, s7, s10
	s_mul_i32 s7, s7, s10
	s_mul_hi_u32 s18, s2, s10
	s_add_u32 s7, s12, s7
	s_addc_u32 s12, 0, s13
	s_add_u32 s7, s7, s11
	s_mul_i32 s10, s2, s10
	s_addc_u32 s7, s12, s14
	s_addc_u32 s11, s18, 0
	s_add_u32 s7, s7, s10
	s_addc_u32 s10, 0, s11
	v_add_co_u32 v1, s7, v1, s7
	s_delay_alu instid0(VALU_DEP_1) | instskip(SKIP_1) | instid1(VALU_DEP_1)
	s_cmp_lg_u32 s7, 0
	s_addc_u32 s2, s2, s10
	v_readfirstlane_b32 s7, v1
	s_mul_i32 s10, s8, s2
	s_delay_alu instid0(VALU_DEP_1)
	s_mul_hi_u32 s11, s8, s7
	s_mul_i32 s9, s9, s7
	s_add_i32 s10, s11, s10
	s_mul_i32 s8, s8, s7
	s_add_i32 s10, s10, s9
	s_mul_hi_u32 s11, s2, s8
	s_mul_i32 s12, s2, s8
	s_mul_hi_u32 s8, s7, s8
	s_mul_hi_u32 s13, s7, s10
	s_mul_i32 s7, s7, s10
	s_mul_hi_u32 s9, s2, s10
	s_add_u32 s7, s8, s7
	s_addc_u32 s8, 0, s13
	s_add_u32 s7, s7, s12
	s_mul_i32 s10, s2, s10
	s_addc_u32 s7, s8, s11
	s_addc_u32 s8, s9, 0
	s_add_u32 s7, s7, s10
	s_addc_u32 s8, 0, s8
	v_add_co_u32 v1, s7, v1, s7
	s_delay_alu instid0(VALU_DEP_1) | instskip(SKIP_2) | instid1(VALU_DEP_1)
	s_cmp_lg_u32 s7, 0
	s_addc_u32 s7, s2, s8
	s_ashr_i32 s8, s3, 31
	v_readfirstlane_b32 s10, v1
	s_add_u32 s2, s6, s8
	s_mov_b32 s9, s8
	s_addc_u32 s3, s3, s8
	s_delay_alu instid0(SALU_CYCLE_1) | instskip(NEXT) | instid1(SALU_CYCLE_1)
	s_xor_b64 s[2:3], s[2:3], s[8:9]
	s_mul_i32 s12, s2, s7
	s_mul_hi_u32 s13, s2, s10
	s_mul_hi_u32 s11, s2, s7
	s_mul_hi_u32 s18, s3, s10
	s_mul_i32 s10, s3, s10
	s_add_u32 s12, s13, s12
	s_addc_u32 s11, 0, s11
	s_mul_hi_u32 s14, s3, s7
	s_add_u32 s10, s12, s10
	s_mul_i32 s7, s3, s7
	s_addc_u32 s10, s11, s18
	s_addc_u32 s11, s14, 0
	s_add_u32 s7, s10, s7
	s_addc_u32 s10, 0, s11
	s_mul_i32 s12, s25, s7
	s_add_u32 s11, s7, 1
	v_sub_co_u32 v1, s2, s2, s12
	s_mul_hi_u32 s12, s25, s7
	s_addc_u32 s13, s10, 0
	s_mul_i32 s14, s25, s10
	s_delay_alu instid0(VALU_DEP_1)
	v_sub_co_u32 v4, s18, v1, s25
	s_add_u32 s19, s7, 2
	s_addc_u32 s20, s10, 0
	s_add_i32 s12, s12, s14
	s_cmp_lg_u32 s2, 0
	v_readfirstlane_b32 s2, v4
	s_subb_u32 s3, s3, s12
	s_cmp_lg_u32 s18, 0
	s_subb_u32 s12, s3, 0
	s_delay_alu instid0(VALU_DEP_1) | instskip(SKIP_4) | instid1(SALU_CYCLE_1)
	s_cmp_ge_u32 s2, s25
	s_cselect_b32 s2, -1, 0
	s_cmp_eq_u32 s12, 0
	v_readfirstlane_b32 s12, v1
	s_cselect_b32 s2, s2, -1
	s_cmp_lg_u32 s2, 0
	s_cselect_b32 s2, s19, s11
	s_cselect_b32 s11, s20, s13
	s_cmp_ge_u32 s12, s25
	s_cselect_b32 s12, -1, 0
	s_cmp_eq_u32 s3, 0
	s_cselect_b32 s3, s12, -1
	s_delay_alu instid0(SALU_CYCLE_1) | instskip(SKIP_2) | instid1(SALU_CYCLE_1)
	s_cmp_lg_u32 s3, 0
	s_cselect_b32 s3, s11, s10
	s_cselect_b32 s2, s2, s7
	s_xor_b64 s[2:3], s[2:3], s[8:9]
	s_delay_alu instid0(SALU_CYCLE_1)
	s_sub_u32 s2, s2, s8
	s_subb_u32 s3, s3, s8
	s_cbranch_execnz .LBB79_5
.LBB79_4:
	v_cvt_f32_u32_e32 v1, s25
	s_sub_i32 s3, 0, s25
	s_delay_alu instid0(VALU_DEP_1) | instskip(SKIP_2) | instid1(VALU_DEP_1)
	v_rcp_iflag_f32_e32 v1, v1
	s_waitcnt_depctr 0xfff
	v_mul_f32_e32 v1, 0x4f7ffffe, v1
	v_cvt_u32_f32_e32 v1, v1
	s_delay_alu instid0(VALU_DEP_1) | instskip(NEXT) | instid1(VALU_DEP_1)
	v_readfirstlane_b32 s2, v1
	s_mul_i32 s3, s3, s2
	s_delay_alu instid0(SALU_CYCLE_1) | instskip(NEXT) | instid1(SALU_CYCLE_1)
	s_mul_hi_u32 s3, s2, s3
	s_add_i32 s2, s2, s3
	s_delay_alu instid0(SALU_CYCLE_1) | instskip(NEXT) | instid1(SALU_CYCLE_1)
	s_mul_hi_u32 s2, s6, s2
	s_mul_i32 s3, s2, s25
	s_delay_alu instid0(SALU_CYCLE_1)
	s_sub_i32 s3, s6, s3
	s_add_i32 s6, s2, 1
	s_sub_i32 s7, s3, s25
	s_cmp_ge_u32 s3, s25
	s_cselect_b32 s2, s6, s2
	s_cselect_b32 s3, s7, s3
	s_add_i32 s6, s2, 1
	s_cmp_ge_u32 s3, s25
	s_mov_b32 s3, 0
	s_cselect_b32 s2, s6, s2
.LBB79_5:
	v_mov_b32_e32 v1, 0
	s_add_u32 s2, s2, 1
	s_addc_u32 s3, s3, 0
	s_mul_hi_u32 s6, s24, s2
	s_mul_i32 s3, s24, s3
	v_mad_u64_u32 v[13:14], null, s5, s15, v[0:1]
	s_mul_hi_u32 s4, s4, s5
	s_add_i32 s3, s6, s3
	s_mul_i32 s4, s4, s2
	s_mul_i32 s2, s24, s2
	s_add_i32 s3, s3, s4
	s_mov_b32 s4, exec_lo
	s_lshl_b64 s[2:3], s[2:3], 2
	s_delay_alu instid0(SALU_CYCLE_1)
	v_cmpx_gt_i64_e64 s[2:3], v[13:14]
	s_cbranch_execz .LBB79_78
; %bb.6:
	v_alignbit_b32 v17, v3, v2, 2
	v_mad_u64_u32 v[4:5], null, 0xcd9e8d57, v13, 0
	v_lshrrev_b32_e32 v18, 2, v3
	s_waitcnt vmcnt(0)
	v_dual_mov_b32 v9, v12 :: v_dual_and_b32 v26, 3, v2
	v_mad_u64_u32 v[0:1], null, 0xd2511f53, v17, 0
	v_add_co_u32 v20, null, 0x9e3779b9, v11
	v_xor3_b32 v3, v11, v5, v18
	s_delay_alu instid0(VALU_DEP_4) | instskip(SKIP_2) | instid1(VALU_DEP_4)
	v_add_co_u32 v19, null, 0xbb67ae85, v9
	v_add_co_u32 v21, null, 0x3c6ef372, v11
	v_xor_b32_e32 v1, v1, v12
	v_mad_u64_u32 v[5:6], null, 0xd2511f53, v3, 0
	v_add_co_u32 v22, null, 0x76cf5d0a, v9
	s_delay_alu instid0(VALU_DEP_3) | instskip(SKIP_2) | instid1(VALU_DEP_3)
	v_xor_b32_e32 v1, v1, v14
	v_add_co_u32 v23, null, 0x32370b8f, v9
	v_add_co_u32 v24, null, 0xdaa66d2b, v11
	v_mad_u64_u32 v[7:8], null, 0xcd9e8d57, v1, 0
	v_xor3_b32 v3, v19, v6, v0
	v_add_co_u32 v25, null, 0x78dde6e4, v11
	v_add_co_u32 v27, null, 0xed9eba14, v9
	s_delay_alu instid0(VALU_DEP_3) | instskip(SKIP_3) | instid1(VALU_DEP_3)
	v_mad_u64_u32 v[0:1], null, 0xcd9e8d57, v3, 0
	v_xor3_b32 v6, v20, v8, v4
	v_add_co_u32 v30, null, 0xa9066899, v9
	v_add_co_u32 v31, null, 0x1715609d, v11
	v_mad_u64_u32 v[3:4], null, 0xd2511f53, v6, 0
	v_xor3_b32 v1, v21, v1, v7
	v_add_co_u32 v33, null, 0xb54cda56, v11
	v_add_co_u32 v35, null, 0x646e171e, v9
	s_load_b256 s[4:11], s[0:1], 0x30
	s_delay_alu instid0(VALU_DEP_4) | instskip(SKIP_2) | instid1(VALU_DEP_3)
	v_xor3_b32 v8, v22, v4, v5
	v_mad_u64_u32 v[4:5], null, 0xd2511f53, v1, 0
	v_add_co_u32 v32, null, 0x5384540f, v11
	v_mad_u64_u32 v[6:7], null, 0xcd9e8d57, v8, 0
	v_add_co_u32 v37, null, 0x1fd5c5a3, v9
	s_delay_alu instid0(VALU_DEP_4) | instskip(SKIP_3) | instid1(VALU_DEP_4)
	v_xor3_b32 v3, v23, v5, v3
	v_add_co_u32 v34, null, 0xf1bbcdc8, v11
	v_add_co_u32 v38, null, 0xdb3d7428, v9
	v_xor3_b32 v5, v24, v7, v0
	v_mad_u64_u32 v[0:1], null, 0xcd9e8d57, v3, 0
	s_add_u32 s12, s0, 48
	s_clause 0x1
	s_load_b64 s[14:15], s[0:1], 0xf4
	s_load_b64 s[18:19], s[0:1], 0x138
	v_mad_u64_u32 v[7:8], null, 0xd2511f53, v5, 0
	s_addc_u32 s13, s1, 0
	s_waitcnt lgkmcnt(0)
	s_add_i32 s20, s4, -1
	v_xor3_b32 v3, v25, v1, v6
	s_cmp_gt_u32 s20, 1
	v_dual_mov_b32 v36, v13 :: v_dual_add_nc_u32 v29, 0x96a522ad, v12
	s_delay_alu instid0(VALU_DEP_3) | instskip(NEXT) | instid1(VALU_DEP_3)
	v_xor3_b32 v5, v27, v8, v4
	v_mad_u64_u32 v[1:2], null, 0xd2511f53, v3, 0
	s_cselect_b32 s11, -1, 0
	s_cmp_lg_u32 s4, 0
	s_delay_alu instid0(VALU_DEP_2) | instskip(SKIP_2) | instid1(VALU_DEP_2)
	v_mad_u64_u32 v[3:4], null, 0xcd9e8d57, v5, 0
	s_cselect_b32 s27, -1, 0
	s_add_u32 s0, s0, 0xf4
	v_xor3_b32 v2, v30, v2, v7
	s_addc_u32 s1, s1, 0
	s_min_u32 s21, s20, 15
	s_cmp_gt_u32 s4, 1
	s_delay_alu instid0(VALU_DEP_2) | instskip(SKIP_3) | instid1(VALU_DEP_2)
	v_xor3_b32 v0, v31, v4, v0
	v_mad_u64_u32 v[4:5], null, 0xcd9e8d57, v2, 0
	s_cselect_b32 s4, -1, 0
	s_add_i32 s21, s21, 1
	v_mad_u64_u32 v[6:7], null, 0xd2511f53, v0, 0
	s_lshl_b32 s28, s24, 1
	s_and_b32 s29, s21, 3
	s_delay_alu instid0(VALU_DEP_2) | instskip(SKIP_3) | instid1(VALU_DEP_3)
	v_xor3_b32 v2, v33, v5, v3
	s_cmp_lg_u32 s20, 2
	v_mov_b32_e32 v39, v14
	s_cselect_b32 s30, -1, 0
	v_xor3_b32 v5, v35, v7, v1
	v_mad_u64_u32 v[0:1], null, 0xd2511f53, v2, 0
	s_and_b32 s31, s21, 28
	s_cmp_lg_u32 s29, 0
	s_delay_alu instid0(VALU_DEP_2) | instskip(SKIP_2) | instid1(VALU_DEP_2)
	v_mad_u64_u32 v[2:3], null, 0xcd9e8d57, v5, 0
	s_mov_b32 s26, 0
	s_mul_i32 s33, s24, 3
	v_xor3_b32 v1, v37, v1, v6
	s_cselect_b32 s34, -1, 0
	s_delay_alu instid0(VALU_DEP_2) | instskip(NEXT) | instid1(VALU_DEP_2)
	v_xor3_b32 v3, v32, v3, v4
	v_mad_u64_u32 v[4:5], null, 0xcd9e8d57, v1, 0
	s_delay_alu instid0(VALU_DEP_2) | instskip(NEXT) | instid1(VALU_DEP_2)
	v_mad_u64_u32 v[6:7], null, 0xd2511f53, v3, 0
	v_xor3_b32 v1, v34, v5, v2
	s_delay_alu instid0(VALU_DEP_2) | instskip(NEXT) | instid1(VALU_DEP_2)
	v_xor3_b32 v0, v38, v7, v0
	v_mad_u64_u32 v[7:8], null, 0xd2511f53, v1, 0
	v_add_nc_u32_e32 v28, 0x8ff34781, v11
	s_delay_alu instid0(VALU_DEP_3) | instskip(NEXT) | instid1(VALU_DEP_3)
	v_mad_u64_u32 v[1:2], null, 0xcd9e8d57, v0, 0
	v_mov_b32_e32 v3, v7
	s_delay_alu instid0(VALU_DEP_2)
	v_xor3_b32 v0, v2, v4, v28
	v_xor3_b32 v2, v8, v6, v29
	s_branch .LBB79_9
.LBB79_7:                               ;   in Loop: Header=BB79_9 Depth=1
	v_and_b32_e32 v0, 0x7fffffff, v3
	global_store_b32 v1, v0, s[18:19]
.LBB79_8:                               ;   in Loop: Header=BB79_9 Depth=1
	s_or_b32 exec_lo, exec_lo, s35
	v_add_co_u32 v13, vcc_lo, v13, s25
	v_add_co_ci_u32_e32 v14, vcc_lo, 0, v14, vcc_lo
	v_mov_b32_e32 v7, v15
	v_dual_mov_b32 v0, v4 :: v_dual_mov_b32 v1, v5
	s_delay_alu instid0(VALU_DEP_3) | instskip(NEXT) | instid1(VALU_DEP_3)
	v_cmp_le_i64_e32 vcc_lo, s[2:3], v[13:14]
	v_dual_mov_b32 v2, v6 :: v_dual_mov_b32 v3, v7
	s_waitcnt_vscnt null, 0x0
	s_barrier
	buffer_gl0_inv
	s_or_b32 s26, vcc_lo, s26
	s_delay_alu instid0(SALU_CYCLE_1)
	s_and_not1_b32 exec_lo, exec_lo, s26
	s_cbranch_execz .LBB79_78
.LBB79_9:                               ; =>This Loop Header: Depth=1
                                        ;     Child Loop BB79_24 Depth 2
                                        ;     Child Loop BB79_29 Depth 2
	;; [unrolled: 1-line block ×8, first 2 shown]
	v_add_co_u32 v17, vcc_lo, v17, 1
	s_delay_alu instid0(VALU_DEP_1) | instskip(SKIP_2) | instid1(VALU_DEP_1)
	v_cndmask_b32_e64 v4, 0, 1, vcc_lo
	v_add_co_ci_u32_e32 v18, vcc_lo, 0, v18, vcc_lo
	s_mov_b32 s20, exec_lo
	v_cmp_eq_u32_e32 vcc_lo, 0, v18
	s_delay_alu instid0(VALU_DEP_3) | instskip(NEXT) | instid1(VALU_DEP_1)
	v_cndmask_b32_e32 v4, 0, v4, vcc_lo
	v_add_nc_u32_e32 v36, v4, v36
	s_delay_alu instid0(VALU_DEP_1) | instskip(SKIP_2) | instid1(VALU_DEP_2)
	v_cmp_eq_u32_e32 vcc_lo, 0, v36
	v_mad_u64_u32 v[6:7], null, 0xcd9e8d57, v36, 0
	v_cndmask_b32_e32 v4, 0, v4, vcc_lo
	v_xor3_b32 v9, v7, v11, v18
	s_delay_alu instid0(VALU_DEP_2) | instskip(SKIP_1) | instid1(VALU_DEP_3)
	v_add_nc_u32_e32 v39, v4, v39
	v_mad_u64_u32 v[4:5], null, 0xd2511f53, v17, 0
	v_mad_u64_u32 v[7:8], null, 0xd2511f53, v9, 0
	s_delay_alu instid0(VALU_DEP_2) | instskip(NEXT) | instid1(VALU_DEP_2)
	v_xor_b32_e32 v5, v5, v12
	v_xor3_b32 v8, v19, v8, v4
	s_delay_alu instid0(VALU_DEP_2) | instskip(NEXT) | instid1(VALU_DEP_1)
	v_xor_b32_e32 v5, v39, v5
	v_mad_u64_u32 v[9:10], null, 0xcd9e8d57, v5, 0
	s_delay_alu instid0(VALU_DEP_3) | instskip(NEXT) | instid1(VALU_DEP_2)
	v_mad_u64_u32 v[4:5], null, 0xcd9e8d57, v8, 0
	v_xor3_b32 v6, v20, v10, v6
	s_delay_alu instid0(VALU_DEP_2) | instskip(NEXT) | instid1(VALU_DEP_2)
	v_xor3_b32 v8, v21, v5, v9
	v_mad_u64_u32 v[15:16], null, 0xd2511f53, v6, 0
	s_delay_alu instid0(VALU_DEP_2) | instskip(NEXT) | instid1(VALU_DEP_2)
	v_mad_u64_u32 v[5:6], null, 0xd2511f53, v8, 0
	v_xor3_b32 v9, v22, v16, v7
	s_delay_alu instid0(VALU_DEP_2) | instskip(NEXT) | instid1(VALU_DEP_2)
	v_xor3_b32 v6, v23, v6, v15
	v_mad_u64_u32 v[7:8], null, 0xcd9e8d57, v9, 0
	s_delay_alu instid0(VALU_DEP_1) | instskip(NEXT) | instid1(VALU_DEP_3)
	v_xor3_b32 v4, v24, v8, v4
	v_mad_u64_u32 v[8:9], null, 0xcd9e8d57, v6, 0
	s_delay_alu instid0(VALU_DEP_2) | instskip(NEXT) | instid1(VALU_DEP_2)
	v_mad_u64_u32 v[15:16], null, 0xd2511f53, v4, 0
	v_xor3_b32 v6, v25, v9, v7
	s_delay_alu instid0(VALU_DEP_2) | instskip(NEXT) | instid1(VALU_DEP_2)
	v_xor3_b32 v9, v27, v16, v5
	v_mad_u64_u32 v[4:5], null, 0xd2511f53, v6, 0
	s_delay_alu instid0(VALU_DEP_2) | instskip(NEXT) | instid1(VALU_DEP_2)
	v_mad_u64_u32 v[6:7], null, 0xcd9e8d57, v9, 0
	v_xor3_b32 v5, v30, v5, v15
	s_delay_alu instid0(VALU_DEP_2) | instskip(NEXT) | instid1(VALU_DEP_2)
	;; [unrolled: 6-line block ×6, first 2 shown]
	v_xor3_b32 v4, v6, v7, v28
	v_mov_b32_e32 v6, v10
	v_cmpx_lt_i32_e32 1, v26
	s_xor_b32 s20, exec_lo, s20
	s_cbranch_execnz .LBB79_12
; %bb.10:                               ;   in Loop: Header=BB79_9 Depth=1
	s_and_not1_saveexec_b32 s20, s20
	s_cbranch_execnz .LBB79_17
.LBB79_11:                              ;   in Loop: Header=BB79_9 Depth=1
	s_or_b32 exec_lo, exec_lo, s20
	s_delay_alu instid0(SALU_CYCLE_1)
	s_mov_b32 s35, exec_lo
	v_cmpx_gt_i64_e64 s[16:17], v[13:14]
	s_cbranch_execnz .LBB79_20
	s_branch .LBB79_34
.LBB79_12:                              ;   in Loop: Header=BB79_9 Depth=1
	s_mov_b32 s21, exec_lo
	v_cmpx_lt_i32_e32 2, v26
	s_xor_b32 s21, exec_lo, s21
; %bb.13:                               ;   in Loop: Header=BB79_9 Depth=1
	v_dual_mov_b32 v7, v3 :: v_dual_mov_b32 v8, v4
	v_mov_b32_e32 v9, v5
	s_delay_alu instid0(VALU_DEP_2) | instskip(NEXT) | instid1(VALU_DEP_2)
	v_dual_mov_b32 v0, v7 :: v_dual_mov_b32 v1, v8
	v_dual_mov_b32 v2, v9 :: v_dual_mov_b32 v3, v10
; %bb.14:                               ;   in Loop: Header=BB79_9 Depth=1
	s_and_not1_saveexec_b32 s21, s21
; %bb.15:                               ;   in Loop: Header=BB79_9 Depth=1
	s_delay_alu instid0(VALU_DEP_1)
	v_dual_mov_b32 v0, v2 :: v_dual_mov_b32 v1, v3
	v_dual_mov_b32 v2, v4 :: v_dual_mov_b32 v3, v5
; %bb.16:                               ;   in Loop: Header=BB79_9 Depth=1
	s_or_b32 exec_lo, exec_lo, s21
	s_and_not1_saveexec_b32 s20, s20
	s_cbranch_execz .LBB79_11
.LBB79_17:                              ;   in Loop: Header=BB79_9 Depth=1
	s_mov_b32 s21, exec_lo
	v_cmpx_eq_u32_e32 1, v26
; %bb.18:                               ;   in Loop: Header=BB79_9 Depth=1
	v_dual_mov_b32 v0, v1 :: v_dual_mov_b32 v1, v2
	v_dual_mov_b32 v2, v3 :: v_dual_mov_b32 v3, v4
; %bb.19:                               ;   in Loop: Header=BB79_9 Depth=1
	s_or_b32 exec_lo, exec_lo, s21
	s_delay_alu instid0(SALU_CYCLE_1) | instskip(NEXT) | instid1(SALU_CYCLE_1)
	s_or_b32 exec_lo, exec_lo, s20
	s_mov_b32 s35, exec_lo
	v_cmpx_gt_i64_e64 s[16:17], v[13:14]
	s_cbranch_execz .LBB79_34
.LBB79_20:                              ;   in Loop: Header=BB79_9 Depth=1
	s_and_not1_b32 vcc_lo, exec_lo, s11
	s_cbranch_vccnz .LBB79_26
; %bb.21:                               ;   in Loop: Header=BB79_9 Depth=1
	v_mov_b32_e32 v7, 0
	s_and_not1_b32 vcc_lo, exec_lo, s27
	s_cbranch_vccnz .LBB79_30
; %bb.22:                               ;   in Loop: Header=BB79_9 Depth=1
	s_and_not1_b32 vcc_lo, exec_lo, s30
	s_mov_b32 s20, 0
	s_cbranch_vccnz .LBB79_27
; %bb.23:                               ;   in Loop: Header=BB79_9 Depth=1
	v_dual_mov_b32 v7, 0 :: v_dual_mov_b32 v8, v13
	s_mov_b32 s36, 0
	s_mov_b64 s[20:21], s[12:13]
	s_mov_b64 s[22:23], s[0:1]
.LBB79_24:                              ;   Parent Loop BB79_9 Depth=1
                                        ; =>  This Inner Loop Header: Depth=2
	s_clause 0x1
	s_load_b256 s[40:47], s[20:21], 0x4
	s_load_b128 s[48:51], s[20:21], 0x24
	s_load_b128 s[52:55], s[22:23], 0x0
	s_add_u32 s20, s20, 48
	s_addc_u32 s21, s21, 0
	s_add_i32 s36, s36, 4
	s_add_u32 s22, s22, 16
	s_addc_u32 s23, s23, 0
	s_cmp_lg_u32 s31, s36
	s_waitcnt lgkmcnt(0)
	v_mul_hi_u32 v9, s41, v8
	s_delay_alu instid0(VALU_DEP_1) | instskip(NEXT) | instid1(VALU_DEP_1)
	v_add_nc_u32_e32 v9, v8, v9
	v_lshrrev_b32_e32 v9, s42, v9
	s_delay_alu instid0(VALU_DEP_1) | instskip(SKIP_1) | instid1(VALU_DEP_2)
	v_mul_hi_u32 v10, s44, v9
	v_mul_lo_u32 v41, v9, s40
	v_add_nc_u32_e32 v10, v9, v10
	s_delay_alu instid0(VALU_DEP_2) | instskip(NEXT) | instid1(VALU_DEP_2)
	v_sub_nc_u32_e32 v41, v8, v41
	v_lshrrev_b32_e32 v10, s45, v10
	s_delay_alu instid0(VALU_DEP_2) | instskip(NEXT) | instid1(VALU_DEP_2)
	v_mul_lo_u32 v41, v41, s52
	v_mul_hi_u32 v16, s47, v10
	v_mul_lo_u32 v42, v10, s43
	s_delay_alu instid0(VALU_DEP_2) | instskip(NEXT) | instid1(VALU_DEP_2)
	v_add_nc_u32_e32 v16, v10, v16
	v_sub_nc_u32_e32 v9, v9, v42
	s_delay_alu instid0(VALU_DEP_2) | instskip(NEXT) | instid1(VALU_DEP_2)
	v_lshrrev_b32_e32 v16, s48, v16
	v_mul_lo_u32 v9, v9, s53
	s_delay_alu instid0(VALU_DEP_2) | instskip(NEXT) | instid1(VALU_DEP_2)
	v_mul_hi_u32 v40, s50, v16
	v_add3_u32 v7, v41, v7, v9
	s_delay_alu instid0(VALU_DEP_2) | instskip(NEXT) | instid1(VALU_DEP_1)
	v_add_nc_u32_e32 v40, v16, v40
	v_lshrrev_b32_e32 v8, s51, v40
	v_mul_lo_u32 v40, v16, s46
	s_delay_alu instid0(VALU_DEP_2) | instskip(NEXT) | instid1(VALU_DEP_2)
	v_mul_lo_u32 v43, v8, s49
	v_sub_nc_u32_e32 v10, v10, v40
	s_delay_alu instid0(VALU_DEP_2) | instskip(NEXT) | instid1(VALU_DEP_2)
	v_sub_nc_u32_e32 v16, v16, v43
	v_mul_lo_u32 v10, v10, s54
	s_delay_alu instid0(VALU_DEP_2) | instskip(NEXT) | instid1(VALU_DEP_1)
	v_mul_lo_u32 v16, v16, s55
	v_add3_u32 v7, v10, v7, v16
	s_cbranch_scc1 .LBB79_24
; %bb.25:                               ;   in Loop: Header=BB79_9 Depth=1
	s_mov_b32 s20, s31
	s_and_not1_b32 vcc_lo, exec_lo, s34
	s_cbranch_vccz .LBB79_28
	s_branch .LBB79_30
.LBB79_26:                              ;   in Loop: Header=BB79_9 Depth=1
                                        ; implicit-def: $vgpr7
	s_branch .LBB79_31
.LBB79_27:                              ;   in Loop: Header=BB79_9 Depth=1
	v_mov_b32_e32 v8, v13
	s_and_not1_b32 vcc_lo, exec_lo, s34
	s_cbranch_vccnz .LBB79_30
.LBB79_28:                              ;   in Loop: Header=BB79_9 Depth=1
	s_lshl_b32 s21, s20, 2
	s_mul_i32 s22, s20, 12
	s_add_u32 s20, s0, s21
	s_addc_u32 s21, s1, 0
	s_add_u32 s22, s12, s22
	s_addc_u32 s23, s13, 0
	s_mov_b32 s36, s29
	.p2align	6
.LBB79_29:                              ;   Parent Loop BB79_9 Depth=1
                                        ; =>  This Inner Loop Header: Depth=2
	s_clause 0x1
	s_load_b64 s[38:39], s[22:23], 0x4
	s_load_b32 s37, s[22:23], 0xc
	s_add_u32 s22, s22, 12
	s_addc_u32 s23, s23, 0
	s_waitcnt lgkmcnt(0)
	v_mul_hi_u32 v9, s39, v8
	s_load_b32 s39, s[20:21], 0x0
	s_add_u32 s20, s20, 4
	s_addc_u32 s21, s21, 0
	s_add_i32 s36, s36, -1
	s_delay_alu instid0(SALU_CYCLE_1) | instskip(NEXT) | instid1(VALU_DEP_1)
	s_cmp_lg_u32 s36, 0
	v_add_nc_u32_e32 v9, v8, v9
	s_delay_alu instid0(VALU_DEP_1) | instskip(NEXT) | instid1(VALU_DEP_1)
	v_lshrrev_b32_e32 v16, s37, v9
	v_mul_lo_u32 v9, v16, s38
	s_delay_alu instid0(VALU_DEP_1) | instskip(SKIP_1) | instid1(VALU_DEP_1)
	v_sub_nc_u32_e32 v8, v8, v9
	s_waitcnt lgkmcnt(0)
	v_mad_u64_u32 v[9:10], null, v8, s39, v[7:8]
	s_delay_alu instid0(VALU_DEP_1)
	v_dual_mov_b32 v8, v16 :: v_dual_mov_b32 v7, v9
	s_cbranch_scc1 .LBB79_29
.LBB79_30:                              ;   in Loop: Header=BB79_9 Depth=1
	s_cbranch_execnz .LBB79_33
.LBB79_31:                              ;   in Loop: Header=BB79_9 Depth=1
	v_mul_hi_u32 v7, v13, s6
	s_and_not1_b32 vcc_lo, exec_lo, s4
	s_delay_alu instid0(VALU_DEP_1) | instskip(NEXT) | instid1(VALU_DEP_1)
	v_add_nc_u32_e32 v7, v7, v13
	v_lshrrev_b32_e32 v8, s7, v7
	s_delay_alu instid0(VALU_DEP_1) | instskip(NEXT) | instid1(VALU_DEP_1)
	v_mul_lo_u32 v7, v8, s5
	v_sub_nc_u32_e32 v7, v13, v7
	s_delay_alu instid0(VALU_DEP_1)
	v_mul_lo_u32 v7, v7, s14
	s_cbranch_vccnz .LBB79_33
; %bb.32:                               ;   in Loop: Header=BB79_9 Depth=1
	v_mul_hi_u32 v9, s9, v8
	s_delay_alu instid0(VALU_DEP_1) | instskip(NEXT) | instid1(VALU_DEP_1)
	v_add_nc_u32_e32 v9, v8, v9
	v_lshrrev_b32_e32 v9, s10, v9
	s_delay_alu instid0(VALU_DEP_1) | instskip(NEXT) | instid1(VALU_DEP_1)
	v_mul_lo_u32 v9, v9, s8
	v_sub_nc_u32_e32 v10, v8, v9
	s_delay_alu instid0(VALU_DEP_1) | instskip(NEXT) | instid1(VALU_DEP_1)
	v_mad_u64_u32 v[8:9], null, v10, s15, v[7:8]
	v_mov_b32_e32 v7, v8
.LBB79_33:                              ;   in Loop: Header=BB79_9 Depth=1
	v_and_b32_e32 v0, 0x7fffffff, v0
	global_store_b32 v7, v0, s[18:19]
.LBB79_34:                              ;   in Loop: Header=BB79_9 Depth=1
	s_or_b32 exec_lo, exec_lo, s35
	v_add_co_u32 v7, vcc_lo, v13, s24
	v_add_co_ci_u32_e32 v8, vcc_lo, 0, v14, vcc_lo
	s_mov_b32 s35, exec_lo
	s_delay_alu instid0(VALU_DEP_1)
	v_cmpx_gt_i64_e64 s[16:17], v[7:8]
	s_cbranch_execz .LBB79_49
; %bb.35:                               ;   in Loop: Header=BB79_9 Depth=1
	s_and_not1_b32 vcc_lo, exec_lo, s11
	s_cbranch_vccnz .LBB79_41
; %bb.36:                               ;   in Loop: Header=BB79_9 Depth=1
	v_mov_b32_e32 v0, 0
	s_and_not1_b32 vcc_lo, exec_lo, s27
	s_cbranch_vccnz .LBB79_45
; %bb.37:                               ;   in Loop: Header=BB79_9 Depth=1
	s_and_not1_b32 vcc_lo, exec_lo, s30
	s_mov_b32 s20, 0
	s_cbranch_vccnz .LBB79_42
; %bb.38:                               ;   in Loop: Header=BB79_9 Depth=1
	v_mov_b32_e32 v0, 0
	v_mov_b32_e32 v8, v7
	s_mov_b32 s36, 0
	s_mov_b64 s[20:21], s[12:13]
	s_mov_b64 s[22:23], s[0:1]
.LBB79_39:                              ;   Parent Loop BB79_9 Depth=1
                                        ; =>  This Inner Loop Header: Depth=2
	s_clause 0x1
	s_load_b256 s[40:47], s[20:21], 0x4
	s_load_b128 s[48:51], s[20:21], 0x24
	s_load_b128 s[52:55], s[22:23], 0x0
	s_add_u32 s20, s20, 48
	s_addc_u32 s21, s21, 0
	s_add_i32 s36, s36, 4
	s_add_u32 s22, s22, 16
	s_addc_u32 s23, s23, 0
	s_cmp_eq_u32 s31, s36
	s_waitcnt lgkmcnt(0)
	v_mul_hi_u32 v9, s41, v8
	s_delay_alu instid0(VALU_DEP_1) | instskip(NEXT) | instid1(VALU_DEP_1)
	v_add_nc_u32_e32 v9, v8, v9
	v_lshrrev_b32_e32 v9, s42, v9
	s_delay_alu instid0(VALU_DEP_1) | instskip(SKIP_1) | instid1(VALU_DEP_2)
	v_mul_hi_u32 v10, s44, v9
	v_mul_lo_u32 v41, v9, s40
	v_add_nc_u32_e32 v10, v9, v10
	s_delay_alu instid0(VALU_DEP_2) | instskip(NEXT) | instid1(VALU_DEP_2)
	v_sub_nc_u32_e32 v41, v8, v41
	v_lshrrev_b32_e32 v10, s45, v10
	s_delay_alu instid0(VALU_DEP_2) | instskip(NEXT) | instid1(VALU_DEP_2)
	v_mul_lo_u32 v41, v41, s52
	v_mul_hi_u32 v16, s47, v10
	v_mul_lo_u32 v42, v10, s43
	s_delay_alu instid0(VALU_DEP_2) | instskip(NEXT) | instid1(VALU_DEP_2)
	v_add_nc_u32_e32 v16, v10, v16
	v_sub_nc_u32_e32 v9, v9, v42
	s_delay_alu instid0(VALU_DEP_2) | instskip(NEXT) | instid1(VALU_DEP_2)
	v_lshrrev_b32_e32 v16, s48, v16
	v_mul_lo_u32 v9, v9, s53
	s_delay_alu instid0(VALU_DEP_2) | instskip(NEXT) | instid1(VALU_DEP_2)
	v_mul_hi_u32 v40, s50, v16
	v_add3_u32 v0, v41, v0, v9
	s_delay_alu instid0(VALU_DEP_2) | instskip(NEXT) | instid1(VALU_DEP_1)
	v_add_nc_u32_e32 v40, v16, v40
	v_lshrrev_b32_e32 v8, s51, v40
	v_mul_lo_u32 v40, v16, s46
	s_delay_alu instid0(VALU_DEP_2) | instskip(NEXT) | instid1(VALU_DEP_2)
	v_mul_lo_u32 v43, v8, s49
	v_sub_nc_u32_e32 v10, v10, v40
	s_delay_alu instid0(VALU_DEP_2) | instskip(NEXT) | instid1(VALU_DEP_2)
	v_sub_nc_u32_e32 v16, v16, v43
	v_mul_lo_u32 v10, v10, s54
	s_delay_alu instid0(VALU_DEP_2) | instskip(NEXT) | instid1(VALU_DEP_1)
	v_mul_lo_u32 v16, v16, s55
	v_add3_u32 v0, v10, v0, v16
	s_cbranch_scc0 .LBB79_39
; %bb.40:                               ;   in Loop: Header=BB79_9 Depth=1
	s_mov_b32 s20, s31
	s_and_not1_b32 vcc_lo, exec_lo, s34
	s_cbranch_vccz .LBB79_43
	s_branch .LBB79_45
.LBB79_41:                              ;   in Loop: Header=BB79_9 Depth=1
                                        ; implicit-def: $vgpr0
	s_branch .LBB79_46
.LBB79_42:                              ;   in Loop: Header=BB79_9 Depth=1
	v_mov_b32_e32 v8, v7
	s_and_not1_b32 vcc_lo, exec_lo, s34
	s_cbranch_vccnz .LBB79_45
.LBB79_43:                              ;   in Loop: Header=BB79_9 Depth=1
	s_lshl_b32 s21, s20, 2
	s_mul_i32 s22, s20, 12
	s_add_u32 s20, s0, s21
	s_addc_u32 s21, s1, 0
	s_add_u32 s22, s12, s22
	s_addc_u32 s23, s13, 0
	s_mov_b32 s36, s29
	.p2align	6
.LBB79_44:                              ;   Parent Loop BB79_9 Depth=1
                                        ; =>  This Inner Loop Header: Depth=2
	s_clause 0x1
	s_load_b64 s[38:39], s[22:23], 0x4
	s_load_b32 s37, s[22:23], 0xc
	s_add_u32 s22, s22, 12
	s_addc_u32 s23, s23, 0
	s_waitcnt lgkmcnt(0)
	v_mul_hi_u32 v9, s39, v8
	s_load_b32 s39, s[20:21], 0x0
	s_add_u32 s20, s20, 4
	s_addc_u32 s21, s21, 0
	s_add_i32 s36, s36, -1
	s_delay_alu instid0(SALU_CYCLE_1) | instskip(NEXT) | instid1(VALU_DEP_1)
	s_cmp_lg_u32 s36, 0
	v_add_nc_u32_e32 v9, v8, v9
	s_delay_alu instid0(VALU_DEP_1) | instskip(NEXT) | instid1(VALU_DEP_1)
	v_lshrrev_b32_e32 v16, s37, v9
	v_mul_lo_u32 v9, v16, s38
	s_delay_alu instid0(VALU_DEP_1) | instskip(SKIP_1) | instid1(VALU_DEP_1)
	v_sub_nc_u32_e32 v8, v8, v9
	s_waitcnt lgkmcnt(0)
	v_mad_u64_u32 v[9:10], null, v8, s39, v[0:1]
	v_mov_b32_e32 v8, v16
	s_delay_alu instid0(VALU_DEP_2)
	v_mov_b32_e32 v0, v9
	s_cbranch_scc1 .LBB79_44
.LBB79_45:                              ;   in Loop: Header=BB79_9 Depth=1
	s_cbranch_execnz .LBB79_48
.LBB79_46:                              ;   in Loop: Header=BB79_9 Depth=1
	v_mul_hi_u32 v0, v7, s6
	s_and_not1_b32 vcc_lo, exec_lo, s4
	s_delay_alu instid0(VALU_DEP_1) | instskip(NEXT) | instid1(VALU_DEP_1)
	v_add_nc_u32_e32 v0, v0, v7
	v_lshrrev_b32_e32 v8, s7, v0
	s_delay_alu instid0(VALU_DEP_1) | instskip(NEXT) | instid1(VALU_DEP_1)
	v_mul_lo_u32 v0, v8, s5
	v_sub_nc_u32_e32 v0, v7, v0
	s_delay_alu instid0(VALU_DEP_1)
	v_mul_lo_u32 v0, v0, s14
	s_cbranch_vccnz .LBB79_48
; %bb.47:                               ;   in Loop: Header=BB79_9 Depth=1
	v_mul_hi_u32 v7, s9, v8
	s_delay_alu instid0(VALU_DEP_1) | instskip(NEXT) | instid1(VALU_DEP_1)
	v_add_nc_u32_e32 v7, v8, v7
	v_lshrrev_b32_e32 v7, s10, v7
	s_delay_alu instid0(VALU_DEP_1) | instskip(NEXT) | instid1(VALU_DEP_1)
	v_mul_lo_u32 v7, v7, s8
	v_sub_nc_u32_e32 v9, v8, v7
	s_delay_alu instid0(VALU_DEP_1) | instskip(NEXT) | instid1(VALU_DEP_1)
	v_mad_u64_u32 v[7:8], null, v9, s15, v[0:1]
	v_mov_b32_e32 v0, v7
.LBB79_48:                              ;   in Loop: Header=BB79_9 Depth=1
	v_and_b32_e32 v1, 0x7fffffff, v1
	global_store_b32 v0, v1, s[18:19]
.LBB79_49:                              ;   in Loop: Header=BB79_9 Depth=1
	s_or_b32 exec_lo, exec_lo, s35
	v_add_co_u32 v0, vcc_lo, v13, s28
	v_add_co_ci_u32_e32 v1, vcc_lo, 0, v14, vcc_lo
	s_mov_b32 s35, exec_lo
	s_delay_alu instid0(VALU_DEP_1)
	v_cmpx_gt_i64_e64 s[16:17], v[0:1]
	s_cbranch_execz .LBB79_64
; %bb.50:                               ;   in Loop: Header=BB79_9 Depth=1
	s_and_not1_b32 vcc_lo, exec_lo, s11
	s_cbranch_vccnz .LBB79_56
; %bb.51:                               ;   in Loop: Header=BB79_9 Depth=1
	v_mov_b32_e32 v1, 0
	s_and_not1_b32 vcc_lo, exec_lo, s27
	s_cbranch_vccnz .LBB79_60
; %bb.52:                               ;   in Loop: Header=BB79_9 Depth=1
	s_and_not1_b32 vcc_lo, exec_lo, s30
	s_mov_b32 s20, 0
	s_cbranch_vccnz .LBB79_57
; %bb.53:                               ;   in Loop: Header=BB79_9 Depth=1
	v_mov_b32_e32 v1, 0
	v_mov_b32_e32 v7, v0
	s_mov_b32 s36, 0
	s_mov_b64 s[20:21], s[12:13]
	s_mov_b64 s[22:23], s[0:1]
.LBB79_54:                              ;   Parent Loop BB79_9 Depth=1
                                        ; =>  This Inner Loop Header: Depth=2
	s_clause 0x1
	s_load_b256 s[40:47], s[20:21], 0x4
	s_load_b128 s[48:51], s[20:21], 0x24
	s_load_b128 s[52:55], s[22:23], 0x0
	s_add_u32 s20, s20, 48
	s_addc_u32 s21, s21, 0
	s_add_i32 s36, s36, 4
	s_add_u32 s22, s22, 16
	s_addc_u32 s23, s23, 0
	s_cmp_eq_u32 s31, s36
	s_waitcnt lgkmcnt(0)
	v_mul_hi_u32 v8, s41, v7
	s_delay_alu instid0(VALU_DEP_1) | instskip(NEXT) | instid1(VALU_DEP_1)
	v_add_nc_u32_e32 v8, v7, v8
	v_lshrrev_b32_e32 v8, s42, v8
	s_delay_alu instid0(VALU_DEP_1) | instskip(SKIP_1) | instid1(VALU_DEP_2)
	v_mul_hi_u32 v9, s44, v8
	v_mul_lo_u32 v40, v8, s40
	v_add_nc_u32_e32 v9, v8, v9
	s_delay_alu instid0(VALU_DEP_2) | instskip(NEXT) | instid1(VALU_DEP_2)
	v_sub_nc_u32_e32 v40, v7, v40
	v_lshrrev_b32_e32 v9, s45, v9
	s_delay_alu instid0(VALU_DEP_2) | instskip(NEXT) | instid1(VALU_DEP_2)
	v_mul_lo_u32 v40, v40, s52
	v_mul_hi_u32 v10, s47, v9
	v_mul_lo_u32 v41, v9, s43
	s_delay_alu instid0(VALU_DEP_2) | instskip(NEXT) | instid1(VALU_DEP_2)
	v_add_nc_u32_e32 v10, v9, v10
	v_sub_nc_u32_e32 v8, v8, v41
	s_delay_alu instid0(VALU_DEP_2) | instskip(NEXT) | instid1(VALU_DEP_2)
	v_lshrrev_b32_e32 v10, s48, v10
	v_mul_lo_u32 v8, v8, s53
	s_delay_alu instid0(VALU_DEP_2) | instskip(NEXT) | instid1(VALU_DEP_2)
	v_mul_hi_u32 v16, s50, v10
	v_add3_u32 v1, v40, v1, v8
	s_delay_alu instid0(VALU_DEP_2) | instskip(NEXT) | instid1(VALU_DEP_1)
	v_add_nc_u32_e32 v16, v10, v16
	v_lshrrev_b32_e32 v7, s51, v16
	v_mul_lo_u32 v16, v10, s46
	s_delay_alu instid0(VALU_DEP_2) | instskip(NEXT) | instid1(VALU_DEP_2)
	v_mul_lo_u32 v42, v7, s49
	v_sub_nc_u32_e32 v9, v9, v16
	s_delay_alu instid0(VALU_DEP_2) | instskip(NEXT) | instid1(VALU_DEP_2)
	v_sub_nc_u32_e32 v10, v10, v42
	v_mul_lo_u32 v9, v9, s54
	s_delay_alu instid0(VALU_DEP_2) | instskip(NEXT) | instid1(VALU_DEP_1)
	v_mul_lo_u32 v10, v10, s55
	v_add3_u32 v1, v9, v1, v10
	s_cbranch_scc0 .LBB79_54
; %bb.55:                               ;   in Loop: Header=BB79_9 Depth=1
	s_mov_b32 s20, s31
	s_and_not1_b32 vcc_lo, exec_lo, s34
	s_cbranch_vccz .LBB79_58
	s_branch .LBB79_60
.LBB79_56:                              ;   in Loop: Header=BB79_9 Depth=1
                                        ; implicit-def: $vgpr1
	s_branch .LBB79_61
.LBB79_57:                              ;   in Loop: Header=BB79_9 Depth=1
	v_mov_b32_e32 v7, v0
	s_and_not1_b32 vcc_lo, exec_lo, s34
	s_cbranch_vccnz .LBB79_60
.LBB79_58:                              ;   in Loop: Header=BB79_9 Depth=1
	s_lshl_b32 s21, s20, 2
	s_mul_i32 s22, s20, 12
	s_add_u32 s20, s0, s21
	s_addc_u32 s21, s1, 0
	s_add_u32 s22, s12, s22
	s_addc_u32 s23, s13, 0
	s_mov_b32 s36, s29
	.p2align	6
.LBB79_59:                              ;   Parent Loop BB79_9 Depth=1
                                        ; =>  This Inner Loop Header: Depth=2
	s_clause 0x1
	s_load_b64 s[38:39], s[22:23], 0x4
	s_load_b32 s37, s[22:23], 0xc
	s_add_u32 s22, s22, 12
	s_addc_u32 s23, s23, 0
	s_waitcnt lgkmcnt(0)
	v_mul_hi_u32 v8, s39, v7
	s_load_b32 s39, s[20:21], 0x0
	s_add_u32 s20, s20, 4
	s_addc_u32 s21, s21, 0
	s_add_i32 s36, s36, -1
	s_delay_alu instid0(SALU_CYCLE_1) | instskip(NEXT) | instid1(VALU_DEP_1)
	s_cmp_lg_u32 s36, 0
	v_add_nc_u32_e32 v8, v7, v8
	s_delay_alu instid0(VALU_DEP_1) | instskip(NEXT) | instid1(VALU_DEP_1)
	v_lshrrev_b32_e32 v10, s37, v8
	v_mul_lo_u32 v8, v10, s38
	s_delay_alu instid0(VALU_DEP_1) | instskip(SKIP_1) | instid1(VALU_DEP_1)
	v_sub_nc_u32_e32 v7, v7, v8
	s_waitcnt lgkmcnt(0)
	v_mad_u64_u32 v[8:9], null, v7, s39, v[1:2]
	v_mov_b32_e32 v7, v10
	s_delay_alu instid0(VALU_DEP_2)
	v_mov_b32_e32 v1, v8
	s_cbranch_scc1 .LBB79_59
.LBB79_60:                              ;   in Loop: Header=BB79_9 Depth=1
	s_cbranch_execnz .LBB79_63
.LBB79_61:                              ;   in Loop: Header=BB79_9 Depth=1
	v_mul_hi_u32 v1, v0, s6
	s_and_not1_b32 vcc_lo, exec_lo, s4
	s_delay_alu instid0(VALU_DEP_1) | instskip(NEXT) | instid1(VALU_DEP_1)
	v_add_nc_u32_e32 v1, v1, v0
	v_lshrrev_b32_e32 v7, s7, v1
	s_delay_alu instid0(VALU_DEP_1) | instskip(NEXT) | instid1(VALU_DEP_1)
	v_mul_lo_u32 v1, v7, s5
	v_sub_nc_u32_e32 v0, v0, v1
	s_delay_alu instid0(VALU_DEP_1)
	v_mul_lo_u32 v1, v0, s14
	s_cbranch_vccnz .LBB79_63
; %bb.62:                               ;   in Loop: Header=BB79_9 Depth=1
	v_mul_hi_u32 v0, s9, v7
	s_delay_alu instid0(VALU_DEP_1) | instskip(NEXT) | instid1(VALU_DEP_1)
	v_add_nc_u32_e32 v0, v7, v0
	v_lshrrev_b32_e32 v0, s10, v0
	s_delay_alu instid0(VALU_DEP_1) | instskip(NEXT) | instid1(VALU_DEP_1)
	v_mul_lo_u32 v0, v0, s8
	v_sub_nc_u32_e32 v0, v7, v0
	s_delay_alu instid0(VALU_DEP_1) | instskip(NEXT) | instid1(VALU_DEP_1)
	v_mad_u64_u32 v[7:8], null, v0, s15, v[1:2]
	v_mov_b32_e32 v1, v7
.LBB79_63:                              ;   in Loop: Header=BB79_9 Depth=1
	v_and_b32_e32 v0, 0x7fffffff, v2
	global_store_b32 v1, v0, s[18:19]
.LBB79_64:                              ;   in Loop: Header=BB79_9 Depth=1
	s_or_b32 exec_lo, exec_lo, s35
	v_add_co_u32 v0, vcc_lo, v13, s33
	v_add_co_ci_u32_e32 v1, vcc_lo, 0, v14, vcc_lo
	s_mov_b32 s35, exec_lo
	s_delay_alu instid0(VALU_DEP_1)
	v_cmpx_gt_i64_e64 s[16:17], v[0:1]
	s_cbranch_execz .LBB79_8
; %bb.65:                               ;   in Loop: Header=BB79_9 Depth=1
	s_and_not1_b32 vcc_lo, exec_lo, s11
	s_cbranch_vccnz .LBB79_71
; %bb.66:                               ;   in Loop: Header=BB79_9 Depth=1
	v_mov_b32_e32 v1, 0
	s_and_not1_b32 vcc_lo, exec_lo, s27
	s_cbranch_vccnz .LBB79_75
; %bb.67:                               ;   in Loop: Header=BB79_9 Depth=1
	s_and_not1_b32 vcc_lo, exec_lo, s30
	s_mov_b32 s20, 0
	s_cbranch_vccnz .LBB79_72
; %bb.68:                               ;   in Loop: Header=BB79_9 Depth=1
	v_dual_mov_b32 v1, 0 :: v_dual_mov_b32 v2, v0
	s_mov_b32 s36, 0
	s_mov_b64 s[20:21], s[12:13]
	s_mov_b64 s[22:23], s[0:1]
.LBB79_69:                              ;   Parent Loop BB79_9 Depth=1
                                        ; =>  This Inner Loop Header: Depth=2
	s_clause 0x1
	s_load_b256 s[40:47], s[20:21], 0x4
	s_load_b128 s[48:51], s[20:21], 0x24
	s_load_b128 s[52:55], s[22:23], 0x0
	s_add_u32 s20, s20, 48
	s_addc_u32 s21, s21, 0
	s_add_i32 s36, s36, 4
	s_add_u32 s22, s22, 16
	s_addc_u32 s23, s23, 0
	s_cmp_eq_u32 s31, s36
	s_waitcnt lgkmcnt(0)
	v_mul_hi_u32 v7, s41, v2
	s_delay_alu instid0(VALU_DEP_1) | instskip(NEXT) | instid1(VALU_DEP_1)
	v_add_nc_u32_e32 v7, v2, v7
	v_lshrrev_b32_e32 v7, s42, v7
	s_delay_alu instid0(VALU_DEP_1) | instskip(SKIP_1) | instid1(VALU_DEP_2)
	v_mul_hi_u32 v8, s44, v7
	v_mul_lo_u32 v16, v7, s40
	v_add_nc_u32_e32 v8, v7, v8
	s_delay_alu instid0(VALU_DEP_2) | instskip(NEXT) | instid1(VALU_DEP_2)
	v_sub_nc_u32_e32 v16, v2, v16
	v_lshrrev_b32_e32 v8, s45, v8
	s_delay_alu instid0(VALU_DEP_2) | instskip(NEXT) | instid1(VALU_DEP_2)
	v_mul_lo_u32 v16, v16, s52
	v_mul_hi_u32 v9, s47, v8
	v_mul_lo_u32 v40, v8, s43
	s_delay_alu instid0(VALU_DEP_2) | instskip(NEXT) | instid1(VALU_DEP_2)
	v_add_nc_u32_e32 v9, v8, v9
	v_sub_nc_u32_e32 v7, v7, v40
	s_delay_alu instid0(VALU_DEP_2) | instskip(NEXT) | instid1(VALU_DEP_2)
	v_lshrrev_b32_e32 v9, s48, v9
	v_mul_lo_u32 v7, v7, s53
	s_delay_alu instid0(VALU_DEP_2) | instskip(NEXT) | instid1(VALU_DEP_2)
	v_mul_hi_u32 v10, s50, v9
	v_add3_u32 v1, v16, v1, v7
	s_delay_alu instid0(VALU_DEP_2) | instskip(NEXT) | instid1(VALU_DEP_1)
	v_add_nc_u32_e32 v10, v9, v10
	v_lshrrev_b32_e32 v2, s51, v10
	v_mul_lo_u32 v10, v9, s46
	s_delay_alu instid0(VALU_DEP_2) | instskip(NEXT) | instid1(VALU_DEP_2)
	v_mul_lo_u32 v41, v2, s49
	v_sub_nc_u32_e32 v8, v8, v10
	s_delay_alu instid0(VALU_DEP_2) | instskip(NEXT) | instid1(VALU_DEP_2)
	v_sub_nc_u32_e32 v9, v9, v41
	v_mul_lo_u32 v8, v8, s54
	s_delay_alu instid0(VALU_DEP_2) | instskip(NEXT) | instid1(VALU_DEP_1)
	v_mul_lo_u32 v9, v9, s55
	v_add3_u32 v1, v8, v1, v9
	s_cbranch_scc0 .LBB79_69
; %bb.70:                               ;   in Loop: Header=BB79_9 Depth=1
	s_mov_b32 s20, s31
	s_and_not1_b32 vcc_lo, exec_lo, s34
	s_cbranch_vccz .LBB79_73
	s_branch .LBB79_75
.LBB79_71:                              ;   in Loop: Header=BB79_9 Depth=1
                                        ; implicit-def: $vgpr1
	s_branch .LBB79_76
.LBB79_72:                              ;   in Loop: Header=BB79_9 Depth=1
	v_mov_b32_e32 v2, v0
	s_and_not1_b32 vcc_lo, exec_lo, s34
	s_cbranch_vccnz .LBB79_75
.LBB79_73:                              ;   in Loop: Header=BB79_9 Depth=1
	s_lshl_b32 s21, s20, 2
	s_mul_i32 s22, s20, 12
	s_add_u32 s20, s0, s21
	s_addc_u32 s21, s1, 0
	s_add_u32 s22, s12, s22
	s_addc_u32 s23, s13, 0
	s_mov_b32 s36, s29
	.p2align	6
.LBB79_74:                              ;   Parent Loop BB79_9 Depth=1
                                        ; =>  This Inner Loop Header: Depth=2
	s_clause 0x1
	s_load_b64 s[38:39], s[22:23], 0x4
	s_load_b32 s37, s[22:23], 0xc
	s_add_u32 s22, s22, 12
	s_addc_u32 s23, s23, 0
	s_waitcnt lgkmcnt(0)
	v_mul_hi_u32 v7, s39, v2
	s_load_b32 s39, s[20:21], 0x0
	s_add_u32 s20, s20, 4
	s_addc_u32 s21, s21, 0
	s_add_i32 s36, s36, -1
	s_delay_alu instid0(SALU_CYCLE_1) | instskip(NEXT) | instid1(VALU_DEP_1)
	s_cmp_lg_u32 s36, 0
	v_add_nc_u32_e32 v7, v2, v7
	s_delay_alu instid0(VALU_DEP_1) | instskip(NEXT) | instid1(VALU_DEP_1)
	v_lshrrev_b32_e32 v9, s37, v7
	v_mul_lo_u32 v7, v9, s38
	s_delay_alu instid0(VALU_DEP_1) | instskip(SKIP_1) | instid1(VALU_DEP_1)
	v_sub_nc_u32_e32 v2, v2, v7
	s_waitcnt lgkmcnt(0)
	v_mad_u64_u32 v[7:8], null, v2, s39, v[1:2]
	s_delay_alu instid0(VALU_DEP_1)
	v_dual_mov_b32 v2, v9 :: v_dual_mov_b32 v1, v7
	s_cbranch_scc1 .LBB79_74
.LBB79_75:                              ;   in Loop: Header=BB79_9 Depth=1
	s_cbranch_execnz .LBB79_7
.LBB79_76:                              ;   in Loop: Header=BB79_9 Depth=1
	v_mul_hi_u32 v1, v0, s6
	s_and_not1_b32 vcc_lo, exec_lo, s4
	s_delay_alu instid0(VALU_DEP_1) | instskip(NEXT) | instid1(VALU_DEP_1)
	v_add_nc_u32_e32 v1, v1, v0
	v_lshrrev_b32_e32 v2, s7, v1
	s_delay_alu instid0(VALU_DEP_1) | instskip(NEXT) | instid1(VALU_DEP_1)
	v_mul_lo_u32 v1, v2, s5
	v_sub_nc_u32_e32 v0, v0, v1
	s_delay_alu instid0(VALU_DEP_1)
	v_mul_lo_u32 v1, v0, s14
	s_cbranch_vccnz .LBB79_7
; %bb.77:                               ;   in Loop: Header=BB79_9 Depth=1
	v_mul_hi_u32 v0, s9, v2
	s_delay_alu instid0(VALU_DEP_1) | instskip(NEXT) | instid1(VALU_DEP_1)
	v_add_nc_u32_e32 v0, v2, v0
	v_lshrrev_b32_e32 v0, s10, v0
	s_delay_alu instid0(VALU_DEP_1) | instskip(NEXT) | instid1(VALU_DEP_1)
	v_mul_lo_u32 v0, v0, s8
	v_sub_nc_u32_e32 v0, v2, v0
	s_delay_alu instid0(VALU_DEP_1) | instskip(NEXT) | instid1(VALU_DEP_1)
	v_mad_u64_u32 v[7:8], null, v0, s15, v[1:2]
	v_mov_b32_e32 v1, v7
	s_branch .LBB79_7
.LBB79_78:
	s_endpgm
.LBB79_79:
                                        ; implicit-def: $sgpr2_sgpr3
	s_branch .LBB79_4
	.section	.rodata,"a",@progbits
	.p2align	6, 0x0
	.amdhsa_kernel _ZN2at6native12_GLOBAL__N_143distribution_elementwise_grid_stride_kernelIjLi4EZZZNS0_9templates4cuda13random_kernelIPNS_17CUDAGeneratorImplEEEvRNS_18TensorIteratorBaseET_ENKUlvE_clEvENKUlvE1_clEvEUlP25hiprandStatePhilox4_32_10E0_ZNS1_27distribution_nullary_kernelIij15HIP_vector_typeIjLj4EES7_SF_ZZZNS5_IS7_EEvS9_SA_ENKSB_clEvENKSC_clEvEUljE_EEvS9_T2_RKT3_T4_EUlijE0_EEvlNS_15PhiloxCudaStateET1_SK_
		.amdhsa_group_segment_fixed_size 0
		.amdhsa_private_segment_fixed_size 0
		.amdhsa_kernarg_size 584
		.amdhsa_user_sgpr_count 15
		.amdhsa_user_sgpr_dispatch_ptr 0
		.amdhsa_user_sgpr_queue_ptr 0
		.amdhsa_user_sgpr_kernarg_segment_ptr 1
		.amdhsa_user_sgpr_dispatch_id 0
		.amdhsa_user_sgpr_private_segment_size 0
		.amdhsa_wavefront_size32 1
		.amdhsa_uses_dynamic_stack 0
		.amdhsa_enable_private_segment 0
		.amdhsa_system_sgpr_workgroup_id_x 1
		.amdhsa_system_sgpr_workgroup_id_y 0
		.amdhsa_system_sgpr_workgroup_id_z 0
		.amdhsa_system_sgpr_workgroup_info 0
		.amdhsa_system_vgpr_workitem_id 0
		.amdhsa_next_free_vgpr 44
		.amdhsa_next_free_sgpr 56
		.amdhsa_reserve_vcc 1
		.amdhsa_float_round_mode_32 0
		.amdhsa_float_round_mode_16_64 0
		.amdhsa_float_denorm_mode_32 3
		.amdhsa_float_denorm_mode_16_64 3
		.amdhsa_dx10_clamp 1
		.amdhsa_ieee_mode 1
		.amdhsa_fp16_overflow 0
		.amdhsa_workgroup_processor_mode 1
		.amdhsa_memory_ordered 1
		.amdhsa_forward_progress 0
		.amdhsa_shared_vgpr_count 0
		.amdhsa_exception_fp_ieee_invalid_op 0
		.amdhsa_exception_fp_denorm_src 0
		.amdhsa_exception_fp_ieee_div_zero 0
		.amdhsa_exception_fp_ieee_overflow 0
		.amdhsa_exception_fp_ieee_underflow 0
		.amdhsa_exception_fp_ieee_inexact 0
		.amdhsa_exception_int_div_zero 0
	.end_amdhsa_kernel
	.section	.text._ZN2at6native12_GLOBAL__N_143distribution_elementwise_grid_stride_kernelIjLi4EZZZNS0_9templates4cuda13random_kernelIPNS_17CUDAGeneratorImplEEEvRNS_18TensorIteratorBaseET_ENKUlvE_clEvENKUlvE1_clEvEUlP25hiprandStatePhilox4_32_10E0_ZNS1_27distribution_nullary_kernelIij15HIP_vector_typeIjLj4EES7_SF_ZZZNS5_IS7_EEvS9_SA_ENKSB_clEvENKSC_clEvEUljE_EEvS9_T2_RKT3_T4_EUlijE0_EEvlNS_15PhiloxCudaStateET1_SK_,"axG",@progbits,_ZN2at6native12_GLOBAL__N_143distribution_elementwise_grid_stride_kernelIjLi4EZZZNS0_9templates4cuda13random_kernelIPNS_17CUDAGeneratorImplEEEvRNS_18TensorIteratorBaseET_ENKUlvE_clEvENKUlvE1_clEvEUlP25hiprandStatePhilox4_32_10E0_ZNS1_27distribution_nullary_kernelIij15HIP_vector_typeIjLj4EES7_SF_ZZZNS5_IS7_EEvS9_SA_ENKSB_clEvENKSC_clEvEUljE_EEvS9_T2_RKT3_T4_EUlijE0_EEvlNS_15PhiloxCudaStateET1_SK_,comdat
.Lfunc_end79:
	.size	_ZN2at6native12_GLOBAL__N_143distribution_elementwise_grid_stride_kernelIjLi4EZZZNS0_9templates4cuda13random_kernelIPNS_17CUDAGeneratorImplEEEvRNS_18TensorIteratorBaseET_ENKUlvE_clEvENKUlvE1_clEvEUlP25hiprandStatePhilox4_32_10E0_ZNS1_27distribution_nullary_kernelIij15HIP_vector_typeIjLj4EES7_SF_ZZZNS5_IS7_EEvS9_SA_ENKSB_clEvENKSC_clEvEUljE_EEvS9_T2_RKT3_T4_EUlijE0_EEvlNS_15PhiloxCudaStateET1_SK_, .Lfunc_end79-_ZN2at6native12_GLOBAL__N_143distribution_elementwise_grid_stride_kernelIjLi4EZZZNS0_9templates4cuda13random_kernelIPNS_17CUDAGeneratorImplEEEvRNS_18TensorIteratorBaseET_ENKUlvE_clEvENKUlvE1_clEvEUlP25hiprandStatePhilox4_32_10E0_ZNS1_27distribution_nullary_kernelIij15HIP_vector_typeIjLj4EES7_SF_ZZZNS5_IS7_EEvS9_SA_ENKSB_clEvENKSC_clEvEUljE_EEvS9_T2_RKT3_T4_EUlijE0_EEvlNS_15PhiloxCudaStateET1_SK_
                                        ; -- End function
	.section	.AMDGPU.csdata,"",@progbits
; Kernel info:
; codeLenInByte = 5168
; NumSgprs: 58
; NumVgprs: 44
; ScratchSize: 0
; MemoryBound: 0
; FloatMode: 240
; IeeeMode: 1
; LDSByteSize: 0 bytes/workgroup (compile time only)
; SGPRBlocks: 7
; VGPRBlocks: 5
; NumSGPRsForWavesPerEU: 58
; NumVGPRsForWavesPerEU: 44
; Occupancy: 16
; WaveLimiterHint : 1
; COMPUTE_PGM_RSRC2:SCRATCH_EN: 0
; COMPUTE_PGM_RSRC2:USER_SGPR: 15
; COMPUTE_PGM_RSRC2:TRAP_HANDLER: 0
; COMPUTE_PGM_RSRC2:TGID_X_EN: 1
; COMPUTE_PGM_RSRC2:TGID_Y_EN: 0
; COMPUTE_PGM_RSRC2:TGID_Z_EN: 0
; COMPUTE_PGM_RSRC2:TIDIG_COMP_CNT: 0
	.section	.text._ZN2at6native12_GLOBAL__N_143distribution_elementwise_grid_stride_kernelImLi2EZZZNS0_9templates4cuda13random_kernelIPNS_17CUDAGeneratorImplEEEvRNS_18TensorIteratorBaseET_ENKUlvE_clEvENKUlvE2_clEvEUlP25hiprandStatePhilox4_32_10E_ZNS1_27distribution_nullary_kernelIlm15HIP_vector_typeIyLj2EES7_SF_ZZZNS5_IS7_EEvS9_SA_ENKSB_clEvENKSC_clEvEUlmE_EEvS9_T2_RKT3_T4_EUlimE_EEvlNS_15PhiloxCudaStateET1_SK_,"axG",@progbits,_ZN2at6native12_GLOBAL__N_143distribution_elementwise_grid_stride_kernelImLi2EZZZNS0_9templates4cuda13random_kernelIPNS_17CUDAGeneratorImplEEEvRNS_18TensorIteratorBaseET_ENKUlvE_clEvENKUlvE2_clEvEUlP25hiprandStatePhilox4_32_10E_ZNS1_27distribution_nullary_kernelIlm15HIP_vector_typeIyLj2EES7_SF_ZZZNS5_IS7_EEvS9_SA_ENKSB_clEvENKSC_clEvEUlmE_EEvS9_T2_RKT3_T4_EUlimE_EEvlNS_15PhiloxCudaStateET1_SK_,comdat
	.globl	_ZN2at6native12_GLOBAL__N_143distribution_elementwise_grid_stride_kernelImLi2EZZZNS0_9templates4cuda13random_kernelIPNS_17CUDAGeneratorImplEEEvRNS_18TensorIteratorBaseET_ENKUlvE_clEvENKUlvE2_clEvEUlP25hiprandStatePhilox4_32_10E_ZNS1_27distribution_nullary_kernelIlm15HIP_vector_typeIyLj2EES7_SF_ZZZNS5_IS7_EEvS9_SA_ENKSB_clEvENKSC_clEvEUlmE_EEvS9_T2_RKT3_T4_EUlimE_EEvlNS_15PhiloxCudaStateET1_SK_ ; -- Begin function _ZN2at6native12_GLOBAL__N_143distribution_elementwise_grid_stride_kernelImLi2EZZZNS0_9templates4cuda13random_kernelIPNS_17CUDAGeneratorImplEEEvRNS_18TensorIteratorBaseET_ENKUlvE_clEvENKUlvE2_clEvEUlP25hiprandStatePhilox4_32_10E_ZNS1_27distribution_nullary_kernelIlm15HIP_vector_typeIyLj2EES7_SF_ZZZNS5_IS7_EEvS9_SA_ENKSB_clEvENKSC_clEvEUlmE_EEvS9_T2_RKT3_T4_EUlimE_EEvlNS_15PhiloxCudaStateET1_SK_
	.p2align	8
	.type	_ZN2at6native12_GLOBAL__N_143distribution_elementwise_grid_stride_kernelImLi2EZZZNS0_9templates4cuda13random_kernelIPNS_17CUDAGeneratorImplEEEvRNS_18TensorIteratorBaseET_ENKUlvE_clEvENKUlvE2_clEvEUlP25hiprandStatePhilox4_32_10E_ZNS1_27distribution_nullary_kernelIlm15HIP_vector_typeIyLj2EES7_SF_ZZZNS5_IS7_EEvS9_SA_ENKSB_clEvENKSC_clEvEUlmE_EEvS9_T2_RKT3_T4_EUlimE_EEvlNS_15PhiloxCudaStateET1_SK_,@function
_ZN2at6native12_GLOBAL__N_143distribution_elementwise_grid_stride_kernelImLi2EZZZNS0_9templates4cuda13random_kernelIPNS_17CUDAGeneratorImplEEEvRNS_18TensorIteratorBaseET_ENKUlvE_clEvENKUlvE2_clEvEUlP25hiprandStatePhilox4_32_10E_ZNS1_27distribution_nullary_kernelIlm15HIP_vector_typeIyLj2EES7_SF_ZZZNS5_IS7_EEvS9_SA_ENKSB_clEvENKSC_clEvEUlmE_EEvS9_T2_RKT3_T4_EUlimE_EEvlNS_15PhiloxCudaStateET1_SK_: ; @_ZN2at6native12_GLOBAL__N_143distribution_elementwise_grid_stride_kernelImLi2EZZZNS0_9templates4cuda13random_kernelIPNS_17CUDAGeneratorImplEEEvRNS_18TensorIteratorBaseET_ENKUlvE_clEvENKUlvE2_clEvEUlP25hiprandStatePhilox4_32_10E_ZNS1_27distribution_nullary_kernelIlm15HIP_vector_typeIyLj2EES7_SF_ZZZNS5_IS7_EEvS9_SA_ENKSB_clEvENKSC_clEvEUlmE_EEvS9_T2_RKT3_T4_EUlimE_EEvlNS_15PhiloxCudaStateET1_SK_
; %bb.0:
	s_clause 0x2
	s_load_b64 s[8:9], s[0:1], 0x10
	s_load_b128 s[4:7], s[0:1], 0x0
	s_load_b32 s2, s[0:1], 0x20
	s_waitcnt lgkmcnt(0)
	v_dual_mov_b32 v2, s8 :: v_dual_mov_b32 v3, s9
	v_dual_mov_b32 v12, s7 :: v_dual_mov_b32 v11, s6
	s_bitcmp0_b32 s2, 0
	s_mov_b32 s2, 0
	s_cbranch_scc1 .LBB80_2
; %bb.1:
	v_dual_mov_b32 v1, s8 :: v_dual_mov_b32 v2, s9
	v_dual_mov_b32 v4, s6 :: v_dual_mov_b32 v5, s7
	s_load_b64 s[6:7], s[0:1], 0x18
	flat_load_b64 v[2:3], v[1:2]
	flat_load_b64 v[11:12], v[4:5]
	s_waitcnt vmcnt(1) lgkmcnt(0)
	v_add_co_u32 v2, vcc_lo, v2, s6
	v_add_co_ci_u32_e32 v3, vcc_lo, s7, v3, vcc_lo
.LBB80_2:
	s_clause 0x1
	s_load_b32 s3, s[0:1], 0x4c
	s_load_b32 s11, s[0:1], 0x40
	s_waitcnt lgkmcnt(0)
	s_and_b32 s10, s3, 0xffff
	s_add_u32 s6, s4, -1
	s_mul_i32 s8, s11, s10
	s_addc_u32 s3, s5, -1
	s_lshl_b32 s9, s8, 1
	s_cmp_lg_u64 s[2:3], 0
	s_cbranch_scc0 .LBB80_23
; %bb.3:
	v_cvt_f32_ubyte0_e32 v1, 0
	v_cvt_f32_u32_e32 v4, s9
	s_sub_u32 s12, 0, s9
	s_subb_u32 s13, 0, 0
	s_delay_alu instid0(VALU_DEP_1) | instskip(NEXT) | instid1(VALU_DEP_1)
	v_fmamk_f32 v1, v1, 0x4f800000, v4
	v_rcp_f32_e32 v1, v1
	s_waitcnt_depctr 0xfff
	v_mul_f32_e32 v1, 0x5f7ffffc, v1
	s_delay_alu instid0(VALU_DEP_1) | instskip(NEXT) | instid1(VALU_DEP_1)
	v_mul_f32_e32 v4, 0x2f800000, v1
	v_trunc_f32_e32 v4, v4
	s_delay_alu instid0(VALU_DEP_1) | instskip(SKIP_1) | instid1(VALU_DEP_2)
	v_fmamk_f32 v1, v4, 0xcf800000, v1
	v_cvt_u32_f32_e32 v4, v4
	v_cvt_u32_f32_e32 v1, v1
	s_delay_alu instid0(VALU_DEP_2) | instskip(NEXT) | instid1(VALU_DEP_2)
	v_readfirstlane_b32 s2, v4
	v_readfirstlane_b32 s7, v1
	s_delay_alu instid0(VALU_DEP_2) | instskip(NEXT) | instid1(VALU_DEP_1)
	s_mul_i32 s14, s12, s2
	s_mul_hi_u32 s17, s12, s7
	s_mul_i32 s16, s13, s7
	s_add_i32 s14, s17, s14
	s_mul_i32 s18, s12, s7
	s_add_i32 s14, s14, s16
	s_mul_hi_u32 s17, s7, s18
	s_mul_hi_u32 s19, s2, s18
	s_mul_i32 s16, s2, s18
	s_mul_hi_u32 s18, s7, s14
	s_mul_i32 s7, s7, s14
	s_mul_hi_u32 s20, s2, s14
	s_add_u32 s7, s17, s7
	s_addc_u32 s17, 0, s18
	s_add_u32 s7, s7, s16
	s_mul_i32 s14, s2, s14
	s_addc_u32 s7, s17, s19
	s_addc_u32 s16, s20, 0
	s_add_u32 s7, s7, s14
	s_addc_u32 s14, 0, s16
	v_add_co_u32 v1, s7, v1, s7
	s_delay_alu instid0(VALU_DEP_1) | instskip(SKIP_1) | instid1(VALU_DEP_1)
	s_cmp_lg_u32 s7, 0
	s_addc_u32 s2, s2, s14
	v_readfirstlane_b32 s7, v1
	s_mul_i32 s14, s12, s2
	s_delay_alu instid0(VALU_DEP_1)
	s_mul_hi_u32 s16, s12, s7
	s_mul_i32 s13, s13, s7
	s_add_i32 s14, s16, s14
	s_mul_i32 s12, s12, s7
	s_add_i32 s14, s14, s13
	s_mul_hi_u32 s16, s2, s12
	s_mul_i32 s17, s2, s12
	s_mul_hi_u32 s12, s7, s12
	s_mul_hi_u32 s18, s7, s14
	s_mul_i32 s7, s7, s14
	s_mul_hi_u32 s13, s2, s14
	s_add_u32 s7, s12, s7
	s_addc_u32 s12, 0, s18
	s_add_u32 s7, s7, s17
	s_mul_i32 s14, s2, s14
	s_addc_u32 s7, s12, s16
	s_addc_u32 s12, s13, 0
	s_add_u32 s7, s7, s14
	s_addc_u32 s12, 0, s12
	v_add_co_u32 v1, s7, v1, s7
	s_delay_alu instid0(VALU_DEP_1) | instskip(SKIP_2) | instid1(VALU_DEP_1)
	s_cmp_lg_u32 s7, 0
	s_addc_u32 s7, s2, s12
	s_ashr_i32 s12, s3, 31
	v_readfirstlane_b32 s14, v1
	s_add_u32 s2, s6, s12
	s_mov_b32 s13, s12
	s_addc_u32 s3, s3, s12
	s_delay_alu instid0(SALU_CYCLE_1) | instskip(NEXT) | instid1(SALU_CYCLE_1)
	s_xor_b64 s[2:3], s[2:3], s[12:13]
	s_mul_i32 s17, s2, s7
	s_mul_hi_u32 s18, s2, s14
	s_mul_hi_u32 s16, s2, s7
	;; [unrolled: 1-line block ×3, first 2 shown]
	s_mul_i32 s14, s3, s14
	s_add_u32 s17, s18, s17
	s_addc_u32 s16, 0, s16
	s_mul_hi_u32 s19, s3, s7
	s_add_u32 s14, s17, s14
	s_mul_i32 s7, s3, s7
	s_addc_u32 s14, s16, s20
	s_addc_u32 s16, s19, 0
	s_add_u32 s7, s14, s7
	s_addc_u32 s14, 0, s16
	s_mul_i32 s17, s9, s7
	s_add_u32 s16, s7, 1
	v_sub_co_u32 v1, s2, s2, s17
	s_mul_hi_u32 s17, s9, s7
	s_addc_u32 s18, s14, 0
	s_mul_i32 s19, s9, s14
	s_delay_alu instid0(VALU_DEP_1)
	v_sub_co_u32 v4, s20, v1, s9
	s_add_u32 s21, s7, 2
	s_addc_u32 s22, s14, 0
	s_add_i32 s17, s17, s19
	s_cmp_lg_u32 s2, 0
	v_readfirstlane_b32 s2, v4
	s_subb_u32 s3, s3, s17
	s_cmp_lg_u32 s20, 0
	s_subb_u32 s17, s3, 0
	s_delay_alu instid0(VALU_DEP_1) | instskip(SKIP_4) | instid1(SALU_CYCLE_1)
	s_cmp_ge_u32 s2, s9
	s_cselect_b32 s2, -1, 0
	s_cmp_eq_u32 s17, 0
	v_readfirstlane_b32 s17, v1
	s_cselect_b32 s2, s2, -1
	s_cmp_lg_u32 s2, 0
	s_cselect_b32 s2, s21, s16
	s_cselect_b32 s16, s22, s18
	s_cmp_ge_u32 s17, s9
	s_cselect_b32 s17, -1, 0
	s_cmp_eq_u32 s3, 0
	s_cselect_b32 s3, s17, -1
	s_delay_alu instid0(SALU_CYCLE_1) | instskip(SKIP_2) | instid1(SALU_CYCLE_1)
	s_cmp_lg_u32 s3, 0
	s_cselect_b32 s3, s16, s14
	s_cselect_b32 s2, s2, s7
	s_xor_b64 s[2:3], s[2:3], s[12:13]
	s_delay_alu instid0(SALU_CYCLE_1)
	s_sub_u32 s2, s2, s12
	s_subb_u32 s3, s3, s12
	s_cbranch_execnz .LBB80_5
.LBB80_4:
	v_cvt_f32_u32_e32 v1, s9
	s_sub_i32 s3, 0, s9
	s_delay_alu instid0(VALU_DEP_1) | instskip(SKIP_2) | instid1(VALU_DEP_1)
	v_rcp_iflag_f32_e32 v1, v1
	s_waitcnt_depctr 0xfff
	v_mul_f32_e32 v1, 0x4f7ffffe, v1
	v_cvt_u32_f32_e32 v1, v1
	s_delay_alu instid0(VALU_DEP_1) | instskip(NEXT) | instid1(VALU_DEP_1)
	v_readfirstlane_b32 s2, v1
	s_mul_i32 s3, s3, s2
	s_delay_alu instid0(SALU_CYCLE_1) | instskip(NEXT) | instid1(SALU_CYCLE_1)
	s_mul_hi_u32 s3, s2, s3
	s_add_i32 s2, s2, s3
	s_delay_alu instid0(SALU_CYCLE_1) | instskip(NEXT) | instid1(SALU_CYCLE_1)
	s_mul_hi_u32 s2, s6, s2
	s_mul_i32 s3, s2, s9
	s_delay_alu instid0(SALU_CYCLE_1)
	s_sub_i32 s3, s6, s3
	s_add_i32 s6, s2, 1
	s_sub_i32 s7, s3, s9
	s_cmp_ge_u32 s3, s9
	s_cselect_b32 s2, s6, s2
	s_cselect_b32 s3, s7, s3
	s_add_i32 s6, s2, 1
	s_cmp_ge_u32 s3, s9
	s_mov_b32 s3, 0
	s_cselect_b32 s2, s6, s2
.LBB80_5:
	v_mov_b32_e32 v1, 0
	s_add_u32 s2, s2, 1
	s_addc_u32 s3, s3, 0
	s_mul_hi_u32 s6, s8, s2
	s_mul_i32 s3, s8, s3
	v_mad_u64_u32 v[13:14], null, s10, s15, v[0:1]
	s_mul_hi_u32 s7, s11, s10
	s_add_i32 s3, s6, s3
	s_mul_i32 s7, s7, s2
	s_mul_i32 s2, s8, s2
	s_add_i32 s3, s3, s7
	s_mov_b32 s6, exec_lo
	s_lshl_b64 s[2:3], s[2:3], 1
	s_delay_alu instid0(SALU_CYCLE_1)
	v_cmpx_gt_i64_e64 s[2:3], v[13:14]
	s_cbranch_execz .LBB80_22
; %bb.6:
	v_alignbit_b32 v17, v3, v2, 2
	v_mad_u64_u32 v[6:7], null, 0xcd9e8d57, v13, 0
	v_lshrrev_b32_e32 v18, 2, v3
	s_waitcnt vmcnt(0)
	v_dual_mov_b32 v15, v12 :: v_dual_add_nc_u32 v34, 0x8ff34781, v11
	v_mad_u64_u32 v[4:5], null, 0xd2511f53, v17, 0
	v_add_co_u32 v20, null, 0x9e3779b9, v11
	v_xor3_b32 v3, v11, v7, v18
	s_delay_alu instid0(VALU_DEP_4) | instskip(SKIP_2) | instid1(VALU_DEP_4)
	v_add_co_u32 v19, null, 0xbb67ae85, v15
	v_add_co_u32 v21, null, 0x3c6ef372, v11
	v_xor_b32_e32 v1, v5, v12
	v_mad_u64_u32 v[7:8], null, 0xd2511f53, v3, 0
	v_add_co_u32 v22, null, 0x76cf5d0a, v15
	s_delay_alu instid0(VALU_DEP_3) | instskip(SKIP_2) | instid1(VALU_DEP_3)
	v_xor_b32_e32 v1, v1, v14
	v_add_co_u32 v23, null, 0x32370b8f, v15
	v_add_co_u32 v24, null, 0xdaa66d2b, v11
	v_mad_u64_u32 v[9:10], null, 0xcd9e8d57, v1, 0
	v_xor3_b32 v1, v19, v8, v4
	v_add_co_u32 v25, null, 0x78dde6e4, v11
	v_add_co_u32 v26, null, 0xed9eba14, v15
	s_delay_alu instid0(VALU_DEP_3) | instskip(SKIP_3) | instid1(VALU_DEP_3)
	v_mad_u64_u32 v[3:4], null, 0xcd9e8d57, v1, 0
	v_xor3_b32 v8, v20, v10, v6
	v_add_co_u32 v27, null, 0xa9066899, v15
	v_add_co_u32 v28, null, 0x1715609d, v11
	v_mad_u64_u32 v[5:6], null, 0xd2511f53, v8, 0
	v_xor3_b32 v1, v21, v4, v9
	v_add_co_u32 v29, null, 0xb54cda56, v11
	v_add_co_u32 v30, null, 0x646e171e, v15
	;; [unrolled: 1-line block ×3, first 2 shown]
	v_xor3_b32 v4, v22, v6, v7
	v_mad_u64_u32 v[6:7], null, 0xd2511f53, v1, 0
	v_add_co_u32 v32, null, 0x5384540f, v11
	s_delay_alu instid0(VALU_DEP_3) | instskip(SKIP_1) | instid1(VALU_DEP_4)
	v_mad_u64_u32 v[8:9], null, 0xcd9e8d57, v4, 0
	v_dual_mov_b32 v38, v13 :: v_dual_and_b32 v33, 3, v2
	v_xor3_b32 v1, v23, v7, v5
	s_clause 0x1
	s_load_b64 s[6:7], s[0:1], 0x30
	s_load_b32 s0, s[0:1], 0x38
	v_add_co_u32 v35, null, 0xf1bbcdc8, v11
	s_delay_alu instid0(VALU_DEP_4) | instskip(SKIP_2) | instid1(VALU_DEP_3)
	v_xor3_b32 v5, v24, v9, v3
	v_mad_u64_u32 v[3:4], null, 0xcd9e8d57, v1, 0
	v_add_co_u32 v36, null, 0xdb3d7428, v15
	v_mad_u64_u32 v[9:10], null, 0xd2511f53, v5, 0
	v_add_nc_u32_e32 v37, 0x96a522ad, v12
	v_mov_b32_e32 v41, v14
	v_xor3_b32 v1, v25, v4, v8
	s_delay_alu instid0(VALU_DEP_4) | instskip(NEXT) | instid1(VALU_DEP_2)
	v_xor3_b32 v8, v26, v10, v6
	v_mad_u64_u32 v[4:5], null, 0xd2511f53, v1, 0
	s_waitcnt lgkmcnt(0)
	s_mul_i32 s1, s11, s0
	s_delay_alu instid0(VALU_DEP_2) | instskip(SKIP_1) | instid1(VALU_DEP_2)
	v_mad_u64_u32 v[6:7], null, 0xcd9e8d57, v8, 0
	s_mul_i32 s1, s1, s10
	v_xor3_b32 v1, v27, v5, v9
	s_lshl_b32 s1, s1, 1
	s_delay_alu instid0(VALU_DEP_2) | instskip(NEXT) | instid1(VALU_DEP_2)
	v_xor3_b32 v3, v28, v7, v3
	v_mad_u64_u32 v[7:8], null, 0xcd9e8d57, v1, 0
	s_delay_alu instid0(VALU_DEP_2) | instskip(NEXT) | instid1(VALU_DEP_2)
	v_mad_u64_u32 v[9:10], null, 0xd2511f53, v3, 0
	v_xor3_b32 v1, v29, v8, v6
	s_delay_alu instid0(VALU_DEP_2) | instskip(NEXT) | instid1(VALU_DEP_2)
	v_xor3_b32 v8, v30, v10, v4
	v_mad_u64_u32 v[3:4], null, 0xd2511f53, v1, 0
	s_delay_alu instid0(VALU_DEP_2) | instskip(NEXT) | instid1(VALU_DEP_2)
	v_mad_u64_u32 v[5:6], null, 0xcd9e8d57, v8, 0
	v_xor3_b32 v1, v31, v4, v9
	s_delay_alu instid0(VALU_DEP_2) | instskip(NEXT) | instid1(VALU_DEP_2)
	v_xor3_b32 v2, v32, v6, v7
	v_mad_u64_u32 v[6:7], null, 0xcd9e8d57, v1, 0
	v_mad_u64_u32 v[15:16], null, s15, s10, v[0:1]
	s_delay_alu instid0(VALU_DEP_3) | instskip(SKIP_1) | instid1(VALU_DEP_3)
	v_mad_u64_u32 v[8:9], null, 0xd2511f53, v2, 0
	s_add_i32 s15, s15, s11
	v_xor3_b32 v1, v35, v7, v5
	s_delay_alu instid0(VALU_DEP_3) | instskip(NEXT) | instid1(VALU_DEP_3)
	v_mul_lo_u32 v39, s0, v15
	v_xor3_b32 v7, v36, v9, v3
	s_delay_alu instid0(VALU_DEP_3) | instskip(SKIP_1) | instid1(VALU_DEP_3)
	v_mad_u64_u32 v[3:4], null, s15, s10, v[0:1]
	v_mad_u64_u32 v[4:5], null, 0xd2511f53, v1, 0
	;; [unrolled: 1-line block ×3, first 2 shown]
	s_mov_b32 s10, 0
	s_delay_alu instid0(VALU_DEP_3) | instskip(SKIP_1) | instid1(VALU_DEP_3)
	v_mul_lo_u32 v40, s0, v3
	s_mov_b32 s0, 0
	v_mov_b32_e32 v3, v4
	s_delay_alu instid0(VALU_DEP_3)
	v_xor3_b32 v0, v2, v6, v34
	v_xor3_b32 v2, v5, v8, v37
	s_branch .LBB80_8
.LBB80_7:                               ;   in Loop: Header=BB80_8 Depth=1
	s_or_b32 exec_lo, exec_lo, s11
	v_add_co_u32 v13, vcc_lo, v13, s9
	v_add_co_ci_u32_e32 v14, vcc_lo, 0, v14, vcc_lo
	v_mov_b32_e32 v7, v15
	v_dual_mov_b32 v0, v4 :: v_dual_mov_b32 v1, v5
	s_delay_alu instid0(VALU_DEP_3) | instskip(NEXT) | instid1(VALU_DEP_3)
	v_cmp_le_i64_e32 vcc_lo, s[2:3], v[13:14]
	v_dual_mov_b32 v2, v6 :: v_dual_mov_b32 v3, v7
	s_add_i32 s10, s10, s1
	s_waitcnt_vscnt null, 0x0
	s_barrier
	s_or_b32 s0, vcc_lo, s0
	buffer_gl0_inv
	s_and_not1_b32 exec_lo, exec_lo, s0
	s_cbranch_execz .LBB80_22
.LBB80_8:                               ; =>This Inner Loop Header: Depth=1
	v_add_co_u32 v17, vcc_lo, v17, 1
	s_delay_alu instid0(VALU_DEP_1) | instskip(SKIP_2) | instid1(VALU_DEP_1)
	v_cndmask_b32_e64 v4, 0, 1, vcc_lo
	v_add_co_ci_u32_e32 v18, vcc_lo, 0, v18, vcc_lo
	s_mov_b32 s11, exec_lo
	v_cmp_eq_u32_e32 vcc_lo, 0, v18
	s_delay_alu instid0(VALU_DEP_3) | instskip(NEXT) | instid1(VALU_DEP_1)
	v_cndmask_b32_e32 v4, 0, v4, vcc_lo
	v_add_nc_u32_e32 v38, v4, v38
	s_delay_alu instid0(VALU_DEP_1) | instskip(SKIP_2) | instid1(VALU_DEP_2)
	v_cmp_eq_u32_e32 vcc_lo, 0, v38
	v_mad_u64_u32 v[6:7], null, 0xcd9e8d57, v38, 0
	v_cndmask_b32_e32 v4, 0, v4, vcc_lo
	v_xor3_b32 v9, v7, v11, v18
	s_delay_alu instid0(VALU_DEP_2) | instskip(SKIP_1) | instid1(VALU_DEP_3)
	v_add_nc_u32_e32 v41, v4, v41
	v_mad_u64_u32 v[4:5], null, 0xd2511f53, v17, 0
	v_mad_u64_u32 v[7:8], null, 0xd2511f53, v9, 0
	s_delay_alu instid0(VALU_DEP_2) | instskip(NEXT) | instid1(VALU_DEP_2)
	v_xor_b32_e32 v5, v5, v12
	v_xor3_b32 v8, v19, v8, v4
	s_delay_alu instid0(VALU_DEP_2) | instskip(NEXT) | instid1(VALU_DEP_1)
	v_xor_b32_e32 v5, v41, v5
	v_mad_u64_u32 v[9:10], null, 0xcd9e8d57, v5, 0
	s_delay_alu instid0(VALU_DEP_3) | instskip(NEXT) | instid1(VALU_DEP_2)
	v_mad_u64_u32 v[4:5], null, 0xcd9e8d57, v8, 0
	v_xor3_b32 v6, v20, v10, v6
	s_delay_alu instid0(VALU_DEP_2) | instskip(NEXT) | instid1(VALU_DEP_2)
	v_xor3_b32 v8, v21, v5, v9
	v_mad_u64_u32 v[15:16], null, 0xd2511f53, v6, 0
	s_delay_alu instid0(VALU_DEP_2) | instskip(NEXT) | instid1(VALU_DEP_2)
	v_mad_u64_u32 v[5:6], null, 0xd2511f53, v8, 0
	v_xor3_b32 v9, v22, v16, v7
	s_delay_alu instid0(VALU_DEP_2) | instskip(NEXT) | instid1(VALU_DEP_2)
	v_xor3_b32 v6, v23, v6, v15
	v_mad_u64_u32 v[7:8], null, 0xcd9e8d57, v9, 0
	s_delay_alu instid0(VALU_DEP_1) | instskip(NEXT) | instid1(VALU_DEP_3)
	v_xor3_b32 v4, v24, v8, v4
	v_mad_u64_u32 v[8:9], null, 0xcd9e8d57, v6, 0
	s_delay_alu instid0(VALU_DEP_2) | instskip(NEXT) | instid1(VALU_DEP_2)
	v_mad_u64_u32 v[15:16], null, 0xd2511f53, v4, 0
	v_xor3_b32 v6, v25, v9, v7
	s_delay_alu instid0(VALU_DEP_2) | instskip(NEXT) | instid1(VALU_DEP_2)
	v_xor3_b32 v9, v26, v16, v5
	v_mad_u64_u32 v[4:5], null, 0xd2511f53, v6, 0
	s_delay_alu instid0(VALU_DEP_2) | instskip(NEXT) | instid1(VALU_DEP_2)
	v_mad_u64_u32 v[6:7], null, 0xcd9e8d57, v9, 0
	v_xor3_b32 v5, v27, v5, v15
	s_delay_alu instid0(VALU_DEP_2) | instskip(NEXT) | instid1(VALU_DEP_2)
	;; [unrolled: 6-line block ×6, first 2 shown]
	v_xor3_b32 v4, v6, v7, v34
	v_mov_b32_e32 v6, v10
	v_cmpx_lt_i32_e32 1, v33
	s_xor_b32 s11, exec_lo, s11
	s_cbranch_execnz .LBB80_14
; %bb.9:                                ;   in Loop: Header=BB80_8 Depth=1
	s_and_not1_saveexec_b32 s11, s11
	s_cbranch_execnz .LBB80_19
.LBB80_10:                              ;   in Loop: Header=BB80_8 Depth=1
	s_or_b32 exec_lo, exec_lo, s11
	s_delay_alu instid0(SALU_CYCLE_1)
	s_mov_b32 s11, exec_lo
	v_cmpx_gt_i64_e64 s[4:5], v[13:14]
	s_cbranch_execz .LBB80_12
.LBB80_11:                              ;   in Loop: Header=BB80_8 Depth=1
	v_add_nc_u32_e32 v7, s10, v39
	v_and_b32_e32 v8, 0x7fffffff, v0
	s_delay_alu instid0(VALU_DEP_2) | instskip(SKIP_2) | instid1(VALU_DEP_3)
	v_ashrrev_i32_e32 v10, 31, v7
	v_add_co_u32 v9, vcc_lo, s6, v7
	v_mov_b32_e32 v7, v1
	v_add_co_ci_u32_e32 v10, vcc_lo, s7, v10, vcc_lo
	global_store_b64 v[9:10], v[7:8], off
.LBB80_12:                              ;   in Loop: Header=BB80_8 Depth=1
	s_or_b32 exec_lo, exec_lo, s11
	v_add_co_u32 v0, vcc_lo, s8, v13
	v_add_co_ci_u32_e32 v1, vcc_lo, 0, v14, vcc_lo
	s_mov_b32 s11, exec_lo
	s_delay_alu instid0(VALU_DEP_1)
	v_cmpx_gt_i64_e64 s[4:5], v[0:1]
	s_cbranch_execz .LBB80_7
; %bb.13:                               ;   in Loop: Header=BB80_8 Depth=1
	v_add_nc_u32_e32 v0, s10, v40
	v_and_b32_e32 v1, 0x7fffffff, v2
	s_delay_alu instid0(VALU_DEP_2) | instskip(SKIP_2) | instid1(VALU_DEP_3)
	v_ashrrev_i32_e32 v8, 31, v0
	v_add_co_u32 v7, vcc_lo, s6, v0
	v_mov_b32_e32 v0, v3
	v_add_co_ci_u32_e32 v8, vcc_lo, s7, v8, vcc_lo
	global_store_b64 v[7:8], v[0:1], off
	s_branch .LBB80_7
.LBB80_14:                              ;   in Loop: Header=BB80_8 Depth=1
	s_mov_b32 s12, exec_lo
	v_cmpx_lt_i32_e32 2, v33
	s_xor_b32 s12, exec_lo, s12
; %bb.15:                               ;   in Loop: Header=BB80_8 Depth=1
	v_dual_mov_b32 v7, v3 :: v_dual_mov_b32 v8, v4
	v_mov_b32_e32 v9, v5
	s_delay_alu instid0(VALU_DEP_2) | instskip(NEXT) | instid1(VALU_DEP_2)
	v_dual_mov_b32 v0, v7 :: v_dual_mov_b32 v1, v8
	v_dual_mov_b32 v2, v9 :: v_dual_mov_b32 v3, v10
; %bb.16:                               ;   in Loop: Header=BB80_8 Depth=1
	s_and_not1_saveexec_b32 s12, s12
; %bb.17:                               ;   in Loop: Header=BB80_8 Depth=1
	s_delay_alu instid0(VALU_DEP_1)
	v_dual_mov_b32 v0, v2 :: v_dual_mov_b32 v1, v3
	v_dual_mov_b32 v2, v4 :: v_dual_mov_b32 v3, v5
; %bb.18:                               ;   in Loop: Header=BB80_8 Depth=1
	s_or_b32 exec_lo, exec_lo, s12
	s_and_not1_saveexec_b32 s11, s11
	s_cbranch_execz .LBB80_10
.LBB80_19:                              ;   in Loop: Header=BB80_8 Depth=1
	s_mov_b32 s12, exec_lo
	v_cmpx_eq_u32_e32 1, v33
; %bb.20:                               ;   in Loop: Header=BB80_8 Depth=1
	v_dual_mov_b32 v0, v1 :: v_dual_mov_b32 v1, v2
	v_dual_mov_b32 v2, v3 :: v_dual_mov_b32 v3, v4
; %bb.21:                               ;   in Loop: Header=BB80_8 Depth=1
	s_or_b32 exec_lo, exec_lo, s12
	s_delay_alu instid0(SALU_CYCLE_1) | instskip(NEXT) | instid1(SALU_CYCLE_1)
	s_or_b32 exec_lo, exec_lo, s11
	s_mov_b32 s11, exec_lo
	v_cmpx_gt_i64_e64 s[4:5], v[13:14]
	s_cbranch_execnz .LBB80_11
	s_branch .LBB80_12
.LBB80_22:
	s_endpgm
.LBB80_23:
                                        ; implicit-def: $sgpr2_sgpr3
	s_branch .LBB80_4
	.section	.rodata,"a",@progbits
	.p2align	6, 0x0
	.amdhsa_kernel _ZN2at6native12_GLOBAL__N_143distribution_elementwise_grid_stride_kernelImLi2EZZZNS0_9templates4cuda13random_kernelIPNS_17CUDAGeneratorImplEEEvRNS_18TensorIteratorBaseET_ENKUlvE_clEvENKUlvE2_clEvEUlP25hiprandStatePhilox4_32_10E_ZNS1_27distribution_nullary_kernelIlm15HIP_vector_typeIyLj2EES7_SF_ZZZNS5_IS7_EEvS9_SA_ENKSB_clEvENKSC_clEvEUlmE_EEvS9_T2_RKT3_T4_EUlimE_EEvlNS_15PhiloxCudaStateET1_SK_
		.amdhsa_group_segment_fixed_size 0
		.amdhsa_private_segment_fixed_size 0
		.amdhsa_kernarg_size 320
		.amdhsa_user_sgpr_count 15
		.amdhsa_user_sgpr_dispatch_ptr 0
		.amdhsa_user_sgpr_queue_ptr 0
		.amdhsa_user_sgpr_kernarg_segment_ptr 1
		.amdhsa_user_sgpr_dispatch_id 0
		.amdhsa_user_sgpr_private_segment_size 0
		.amdhsa_wavefront_size32 1
		.amdhsa_uses_dynamic_stack 0
		.amdhsa_enable_private_segment 0
		.amdhsa_system_sgpr_workgroup_id_x 1
		.amdhsa_system_sgpr_workgroup_id_y 0
		.amdhsa_system_sgpr_workgroup_id_z 0
		.amdhsa_system_sgpr_workgroup_info 0
		.amdhsa_system_vgpr_workitem_id 0
		.amdhsa_next_free_vgpr 42
		.amdhsa_next_free_sgpr 23
		.amdhsa_reserve_vcc 1
		.amdhsa_float_round_mode_32 0
		.amdhsa_float_round_mode_16_64 0
		.amdhsa_float_denorm_mode_32 3
		.amdhsa_float_denorm_mode_16_64 3
		.amdhsa_dx10_clamp 1
		.amdhsa_ieee_mode 1
		.amdhsa_fp16_overflow 0
		.amdhsa_workgroup_processor_mode 1
		.amdhsa_memory_ordered 1
		.amdhsa_forward_progress 0
		.amdhsa_shared_vgpr_count 0
		.amdhsa_exception_fp_ieee_invalid_op 0
		.amdhsa_exception_fp_denorm_src 0
		.amdhsa_exception_fp_ieee_div_zero 0
		.amdhsa_exception_fp_ieee_overflow 0
		.amdhsa_exception_fp_ieee_underflow 0
		.amdhsa_exception_fp_ieee_inexact 0
		.amdhsa_exception_int_div_zero 0
	.end_amdhsa_kernel
	.section	.text._ZN2at6native12_GLOBAL__N_143distribution_elementwise_grid_stride_kernelImLi2EZZZNS0_9templates4cuda13random_kernelIPNS_17CUDAGeneratorImplEEEvRNS_18TensorIteratorBaseET_ENKUlvE_clEvENKUlvE2_clEvEUlP25hiprandStatePhilox4_32_10E_ZNS1_27distribution_nullary_kernelIlm15HIP_vector_typeIyLj2EES7_SF_ZZZNS5_IS7_EEvS9_SA_ENKSB_clEvENKSC_clEvEUlmE_EEvS9_T2_RKT3_T4_EUlimE_EEvlNS_15PhiloxCudaStateET1_SK_,"axG",@progbits,_ZN2at6native12_GLOBAL__N_143distribution_elementwise_grid_stride_kernelImLi2EZZZNS0_9templates4cuda13random_kernelIPNS_17CUDAGeneratorImplEEEvRNS_18TensorIteratorBaseET_ENKUlvE_clEvENKUlvE2_clEvEUlP25hiprandStatePhilox4_32_10E_ZNS1_27distribution_nullary_kernelIlm15HIP_vector_typeIyLj2EES7_SF_ZZZNS5_IS7_EEvS9_SA_ENKSB_clEvENKSC_clEvEUlmE_EEvS9_T2_RKT3_T4_EUlimE_EEvlNS_15PhiloxCudaStateET1_SK_,comdat
.Lfunc_end80:
	.size	_ZN2at6native12_GLOBAL__N_143distribution_elementwise_grid_stride_kernelImLi2EZZZNS0_9templates4cuda13random_kernelIPNS_17CUDAGeneratorImplEEEvRNS_18TensorIteratorBaseET_ENKUlvE_clEvENKUlvE2_clEvEUlP25hiprandStatePhilox4_32_10E_ZNS1_27distribution_nullary_kernelIlm15HIP_vector_typeIyLj2EES7_SF_ZZZNS5_IS7_EEvS9_SA_ENKSB_clEvENKSC_clEvEUlmE_EEvS9_T2_RKT3_T4_EUlimE_EEvlNS_15PhiloxCudaStateET1_SK_, .Lfunc_end80-_ZN2at6native12_GLOBAL__N_143distribution_elementwise_grid_stride_kernelImLi2EZZZNS0_9templates4cuda13random_kernelIPNS_17CUDAGeneratorImplEEEvRNS_18TensorIteratorBaseET_ENKUlvE_clEvENKUlvE2_clEvEUlP25hiprandStatePhilox4_32_10E_ZNS1_27distribution_nullary_kernelIlm15HIP_vector_typeIyLj2EES7_SF_ZZZNS5_IS7_EEvS9_SA_ENKSB_clEvENKSC_clEvEUlmE_EEvS9_T2_RKT3_T4_EUlimE_EEvlNS_15PhiloxCudaStateET1_SK_
                                        ; -- End function
	.section	.AMDGPU.csdata,"",@progbits
; Kernel info:
; codeLenInByte = 2636
; NumSgprs: 25
; NumVgprs: 42
; ScratchSize: 0
; MemoryBound: 0
; FloatMode: 240
; IeeeMode: 1
; LDSByteSize: 0 bytes/workgroup (compile time only)
; SGPRBlocks: 3
; VGPRBlocks: 5
; NumSGPRsForWavesPerEU: 25
; NumVGPRsForWavesPerEU: 42
; Occupancy: 16
; WaveLimiterHint : 0
; COMPUTE_PGM_RSRC2:SCRATCH_EN: 0
; COMPUTE_PGM_RSRC2:USER_SGPR: 15
; COMPUTE_PGM_RSRC2:TRAP_HANDLER: 0
; COMPUTE_PGM_RSRC2:TGID_X_EN: 1
; COMPUTE_PGM_RSRC2:TGID_Y_EN: 0
; COMPUTE_PGM_RSRC2:TGID_Z_EN: 0
; COMPUTE_PGM_RSRC2:TIDIG_COMP_CNT: 0
	.section	.text._ZN2at6native12_GLOBAL__N_143distribution_elementwise_grid_stride_kernelImLi2EZZZNS0_9templates4cuda13random_kernelIPNS_17CUDAGeneratorImplEEEvRNS_18TensorIteratorBaseET_ENKUlvE_clEvENKUlvE2_clEvEUlP25hiprandStatePhilox4_32_10E_ZNS1_27distribution_nullary_kernelIlm15HIP_vector_typeIyLj2EES7_SF_ZZZNS5_IS7_EEvS9_SA_ENKSB_clEvENKSC_clEvEUlmE_EEvS9_T2_RKT3_T4_EUlimE0_EEvlNS_15PhiloxCudaStateET1_SK_,"axG",@progbits,_ZN2at6native12_GLOBAL__N_143distribution_elementwise_grid_stride_kernelImLi2EZZZNS0_9templates4cuda13random_kernelIPNS_17CUDAGeneratorImplEEEvRNS_18TensorIteratorBaseET_ENKUlvE_clEvENKUlvE2_clEvEUlP25hiprandStatePhilox4_32_10E_ZNS1_27distribution_nullary_kernelIlm15HIP_vector_typeIyLj2EES7_SF_ZZZNS5_IS7_EEvS9_SA_ENKSB_clEvENKSC_clEvEUlmE_EEvS9_T2_RKT3_T4_EUlimE0_EEvlNS_15PhiloxCudaStateET1_SK_,comdat
	.globl	_ZN2at6native12_GLOBAL__N_143distribution_elementwise_grid_stride_kernelImLi2EZZZNS0_9templates4cuda13random_kernelIPNS_17CUDAGeneratorImplEEEvRNS_18TensorIteratorBaseET_ENKUlvE_clEvENKUlvE2_clEvEUlP25hiprandStatePhilox4_32_10E_ZNS1_27distribution_nullary_kernelIlm15HIP_vector_typeIyLj2EES7_SF_ZZZNS5_IS7_EEvS9_SA_ENKSB_clEvENKSC_clEvEUlmE_EEvS9_T2_RKT3_T4_EUlimE0_EEvlNS_15PhiloxCudaStateET1_SK_ ; -- Begin function _ZN2at6native12_GLOBAL__N_143distribution_elementwise_grid_stride_kernelImLi2EZZZNS0_9templates4cuda13random_kernelIPNS_17CUDAGeneratorImplEEEvRNS_18TensorIteratorBaseET_ENKUlvE_clEvENKUlvE2_clEvEUlP25hiprandStatePhilox4_32_10E_ZNS1_27distribution_nullary_kernelIlm15HIP_vector_typeIyLj2EES7_SF_ZZZNS5_IS7_EEvS9_SA_ENKSB_clEvENKSC_clEvEUlmE_EEvS9_T2_RKT3_T4_EUlimE0_EEvlNS_15PhiloxCudaStateET1_SK_
	.p2align	8
	.type	_ZN2at6native12_GLOBAL__N_143distribution_elementwise_grid_stride_kernelImLi2EZZZNS0_9templates4cuda13random_kernelIPNS_17CUDAGeneratorImplEEEvRNS_18TensorIteratorBaseET_ENKUlvE_clEvENKUlvE2_clEvEUlP25hiprandStatePhilox4_32_10E_ZNS1_27distribution_nullary_kernelIlm15HIP_vector_typeIyLj2EES7_SF_ZZZNS5_IS7_EEvS9_SA_ENKSB_clEvENKSC_clEvEUlmE_EEvS9_T2_RKT3_T4_EUlimE0_EEvlNS_15PhiloxCudaStateET1_SK_,@function
_ZN2at6native12_GLOBAL__N_143distribution_elementwise_grid_stride_kernelImLi2EZZZNS0_9templates4cuda13random_kernelIPNS_17CUDAGeneratorImplEEEvRNS_18TensorIteratorBaseET_ENKUlvE_clEvENKUlvE2_clEvEUlP25hiprandStatePhilox4_32_10E_ZNS1_27distribution_nullary_kernelIlm15HIP_vector_typeIyLj2EES7_SF_ZZZNS5_IS7_EEvS9_SA_ENKSB_clEvENKSC_clEvEUlmE_EEvS9_T2_RKT3_T4_EUlimE0_EEvlNS_15PhiloxCudaStateET1_SK_: ; @_ZN2at6native12_GLOBAL__N_143distribution_elementwise_grid_stride_kernelImLi2EZZZNS0_9templates4cuda13random_kernelIPNS_17CUDAGeneratorImplEEEvRNS_18TensorIteratorBaseET_ENKUlvE_clEvENKUlvE2_clEvEUlP25hiprandStatePhilox4_32_10E_ZNS1_27distribution_nullary_kernelIlm15HIP_vector_typeIyLj2EES7_SF_ZZZNS5_IS7_EEvS9_SA_ENKSB_clEvENKSC_clEvEUlmE_EEvS9_T2_RKT3_T4_EUlimE0_EEvlNS_15PhiloxCudaStateET1_SK_
; %bb.0:
	s_clause 0x2
	s_load_b64 s[4:5], s[0:1], 0x10
	s_load_b128 s[16:19], s[0:1], 0x0
	s_load_b32 s2, s[0:1], 0x20
	s_waitcnt lgkmcnt(0)
	v_dual_mov_b32 v2, s4 :: v_dual_mov_b32 v3, s5
	v_dual_mov_b32 v11, s18 :: v_dual_mov_b32 v12, s19
	s_bitcmp0_b32 s2, 0
	s_mov_b32 s2, 0
	s_cbranch_scc1 .LBB81_2
; %bb.1:
	v_dual_mov_b32 v1, s4 :: v_dual_mov_b32 v2, s5
	v_dual_mov_b32 v4, s18 :: v_dual_mov_b32 v5, s19
	s_load_b64 s[4:5], s[0:1], 0x18
	flat_load_b64 v[2:3], v[1:2]
	flat_load_b64 v[11:12], v[4:5]
	s_waitcnt vmcnt(1) lgkmcnt(0)
	v_add_co_u32 v2, vcc_lo, v2, s4
	v_add_co_ci_u32_e32 v3, vcc_lo, s5, v3, vcc_lo
.LBB81_2:
	s_clause 0x1
	s_load_b32 s3, s[0:1], 0x154
	s_load_b32 s4, s[0:1], 0x148
	s_waitcnt lgkmcnt(0)
	s_and_b32 s5, s3, 0xffff
	s_add_u32 s6, s16, -1
	s_mul_i32 s24, s4, s5
	s_addc_u32 s3, s17, -1
	s_lshl_b32 s25, s24, 1
	s_cmp_lg_u64 s[2:3], 0
	s_cbranch_scc0 .LBB81_49
; %bb.3:
	v_cvt_f32_ubyte0_e32 v1, 0
	v_cvt_f32_u32_e32 v4, s25
	s_sub_u32 s8, 0, s25
	s_subb_u32 s9, 0, 0
	s_delay_alu instid0(VALU_DEP_1) | instskip(NEXT) | instid1(VALU_DEP_1)
	v_fmamk_f32 v1, v1, 0x4f800000, v4
	v_rcp_f32_e32 v1, v1
	s_waitcnt_depctr 0xfff
	v_mul_f32_e32 v1, 0x5f7ffffc, v1
	s_delay_alu instid0(VALU_DEP_1) | instskip(NEXT) | instid1(VALU_DEP_1)
	v_mul_f32_e32 v4, 0x2f800000, v1
	v_trunc_f32_e32 v4, v4
	s_delay_alu instid0(VALU_DEP_1) | instskip(SKIP_1) | instid1(VALU_DEP_2)
	v_fmamk_f32 v1, v4, 0xcf800000, v1
	v_cvt_u32_f32_e32 v4, v4
	v_cvt_u32_f32_e32 v1, v1
	s_delay_alu instid0(VALU_DEP_2) | instskip(NEXT) | instid1(VALU_DEP_2)
	v_readfirstlane_b32 s2, v4
	v_readfirstlane_b32 s7, v1
	s_delay_alu instid0(VALU_DEP_2) | instskip(NEXT) | instid1(VALU_DEP_1)
	s_mul_i32 s10, s8, s2
	s_mul_hi_u32 s12, s8, s7
	s_mul_i32 s11, s9, s7
	s_add_i32 s10, s12, s10
	s_mul_i32 s13, s8, s7
	s_add_i32 s10, s10, s11
	s_mul_hi_u32 s12, s7, s13
	s_mul_hi_u32 s14, s2, s13
	s_mul_i32 s11, s2, s13
	s_mul_hi_u32 s13, s7, s10
	s_mul_i32 s7, s7, s10
	s_mul_hi_u32 s18, s2, s10
	s_add_u32 s7, s12, s7
	s_addc_u32 s12, 0, s13
	s_add_u32 s7, s7, s11
	s_mul_i32 s10, s2, s10
	s_addc_u32 s7, s12, s14
	s_addc_u32 s11, s18, 0
	s_add_u32 s7, s7, s10
	s_addc_u32 s10, 0, s11
	v_add_co_u32 v1, s7, v1, s7
	s_delay_alu instid0(VALU_DEP_1) | instskip(SKIP_1) | instid1(VALU_DEP_1)
	s_cmp_lg_u32 s7, 0
	s_addc_u32 s2, s2, s10
	v_readfirstlane_b32 s7, v1
	s_mul_i32 s10, s8, s2
	s_delay_alu instid0(VALU_DEP_1)
	s_mul_hi_u32 s11, s8, s7
	s_mul_i32 s9, s9, s7
	s_add_i32 s10, s11, s10
	s_mul_i32 s8, s8, s7
	s_add_i32 s10, s10, s9
	s_mul_hi_u32 s11, s2, s8
	s_mul_i32 s12, s2, s8
	s_mul_hi_u32 s8, s7, s8
	s_mul_hi_u32 s13, s7, s10
	s_mul_i32 s7, s7, s10
	s_mul_hi_u32 s9, s2, s10
	s_add_u32 s7, s8, s7
	s_addc_u32 s8, 0, s13
	s_add_u32 s7, s7, s12
	s_mul_i32 s10, s2, s10
	s_addc_u32 s7, s8, s11
	s_addc_u32 s8, s9, 0
	s_add_u32 s7, s7, s10
	s_addc_u32 s8, 0, s8
	v_add_co_u32 v1, s7, v1, s7
	s_delay_alu instid0(VALU_DEP_1) | instskip(SKIP_2) | instid1(VALU_DEP_1)
	s_cmp_lg_u32 s7, 0
	s_addc_u32 s7, s2, s8
	s_ashr_i32 s8, s3, 31
	v_readfirstlane_b32 s10, v1
	s_add_u32 s2, s6, s8
	s_mov_b32 s9, s8
	s_addc_u32 s3, s3, s8
	s_delay_alu instid0(SALU_CYCLE_1) | instskip(NEXT) | instid1(SALU_CYCLE_1)
	s_xor_b64 s[2:3], s[2:3], s[8:9]
	s_mul_i32 s12, s2, s7
	s_mul_hi_u32 s13, s2, s10
	s_mul_hi_u32 s11, s2, s7
	;; [unrolled: 1-line block ×3, first 2 shown]
	s_mul_i32 s10, s3, s10
	s_add_u32 s12, s13, s12
	s_addc_u32 s11, 0, s11
	s_mul_hi_u32 s14, s3, s7
	s_add_u32 s10, s12, s10
	s_mul_i32 s7, s3, s7
	s_addc_u32 s10, s11, s18
	s_addc_u32 s11, s14, 0
	s_add_u32 s7, s10, s7
	s_addc_u32 s10, 0, s11
	s_mul_i32 s12, s25, s7
	s_add_u32 s11, s7, 1
	v_sub_co_u32 v1, s2, s2, s12
	s_mul_hi_u32 s12, s25, s7
	s_addc_u32 s13, s10, 0
	s_mul_i32 s14, s25, s10
	s_delay_alu instid0(VALU_DEP_1)
	v_sub_co_u32 v4, s18, v1, s25
	s_add_u32 s19, s7, 2
	s_addc_u32 s20, s10, 0
	s_add_i32 s12, s12, s14
	s_cmp_lg_u32 s2, 0
	v_readfirstlane_b32 s2, v4
	s_subb_u32 s3, s3, s12
	s_cmp_lg_u32 s18, 0
	s_subb_u32 s12, s3, 0
	s_delay_alu instid0(VALU_DEP_1) | instskip(SKIP_4) | instid1(SALU_CYCLE_1)
	s_cmp_ge_u32 s2, s25
	s_cselect_b32 s2, -1, 0
	s_cmp_eq_u32 s12, 0
	v_readfirstlane_b32 s12, v1
	s_cselect_b32 s2, s2, -1
	s_cmp_lg_u32 s2, 0
	s_cselect_b32 s2, s19, s11
	s_cselect_b32 s11, s20, s13
	s_cmp_ge_u32 s12, s25
	s_cselect_b32 s12, -1, 0
	s_cmp_eq_u32 s3, 0
	s_cselect_b32 s3, s12, -1
	s_delay_alu instid0(SALU_CYCLE_1) | instskip(SKIP_2) | instid1(SALU_CYCLE_1)
	s_cmp_lg_u32 s3, 0
	s_cselect_b32 s3, s11, s10
	s_cselect_b32 s2, s2, s7
	s_xor_b64 s[2:3], s[2:3], s[8:9]
	s_delay_alu instid0(SALU_CYCLE_1)
	s_sub_u32 s2, s2, s8
	s_subb_u32 s3, s3, s8
	s_cbranch_execnz .LBB81_5
.LBB81_4:
	v_cvt_f32_u32_e32 v1, s25
	s_sub_i32 s3, 0, s25
	s_delay_alu instid0(VALU_DEP_1) | instskip(SKIP_2) | instid1(VALU_DEP_1)
	v_rcp_iflag_f32_e32 v1, v1
	s_waitcnt_depctr 0xfff
	v_mul_f32_e32 v1, 0x4f7ffffe, v1
	v_cvt_u32_f32_e32 v1, v1
	s_delay_alu instid0(VALU_DEP_1) | instskip(NEXT) | instid1(VALU_DEP_1)
	v_readfirstlane_b32 s2, v1
	s_mul_i32 s3, s3, s2
	s_delay_alu instid0(SALU_CYCLE_1) | instskip(NEXT) | instid1(SALU_CYCLE_1)
	s_mul_hi_u32 s3, s2, s3
	s_add_i32 s2, s2, s3
	s_delay_alu instid0(SALU_CYCLE_1) | instskip(NEXT) | instid1(SALU_CYCLE_1)
	s_mul_hi_u32 s2, s6, s2
	s_mul_i32 s3, s2, s25
	s_delay_alu instid0(SALU_CYCLE_1)
	s_sub_i32 s3, s6, s3
	s_add_i32 s6, s2, 1
	s_sub_i32 s7, s3, s25
	s_cmp_ge_u32 s3, s25
	s_cselect_b32 s2, s6, s2
	s_cselect_b32 s3, s7, s3
	s_add_i32 s6, s2, 1
	s_cmp_ge_u32 s3, s25
	s_mov_b32 s3, 0
	s_cselect_b32 s2, s6, s2
.LBB81_5:
	v_mov_b32_e32 v1, 0
	s_add_u32 s2, s2, 1
	s_addc_u32 s3, s3, 0
	s_mul_hi_u32 s6, s24, s2
	s_mul_i32 s3, s24, s3
	v_mad_u64_u32 v[13:14], null, s5, s15, v[0:1]
	s_mul_hi_u32 s4, s4, s5
	s_add_i32 s3, s6, s3
	s_mul_i32 s4, s4, s2
	s_mul_i32 s2, s24, s2
	s_add_i32 s3, s3, s4
	s_mov_b32 s4, exec_lo
	s_lshl_b64 s[2:3], s[2:3], 1
	s_delay_alu instid0(SALU_CYCLE_1)
	v_cmpx_gt_i64_e64 s[2:3], v[13:14]
	s_cbranch_execz .LBB81_48
; %bb.6:
	v_alignbit_b32 v17, v3, v2, 2
	v_mad_u64_u32 v[4:5], null, 0xcd9e8d57, v13, 0
	v_lshrrev_b32_e32 v18, 2, v3
	s_waitcnt vmcnt(0)
	v_dual_mov_b32 v9, v12 :: v_dual_add_nc_u32 v28, 0x8ff34781, v11
	v_mad_u64_u32 v[0:1], null, 0xd2511f53, v17, 0
	v_add_co_u32 v20, null, 0x9e3779b9, v11
	v_xor3_b32 v3, v11, v5, v18
	s_delay_alu instid0(VALU_DEP_4) | instskip(SKIP_2) | instid1(VALU_DEP_4)
	v_add_co_u32 v19, null, 0xbb67ae85, v9
	v_add_co_u32 v21, null, 0x3c6ef372, v11
	v_xor_b32_e32 v1, v1, v12
	v_mad_u64_u32 v[5:6], null, 0xd2511f53, v3, 0
	v_add_co_u32 v22, null, 0x76cf5d0a, v9
	s_delay_alu instid0(VALU_DEP_3) | instskip(SKIP_2) | instid1(VALU_DEP_3)
	v_xor_b32_e32 v1, v1, v14
	v_add_co_u32 v23, null, 0x32370b8f, v9
	v_add_co_u32 v24, null, 0xdaa66d2b, v11
	v_mad_u64_u32 v[7:8], null, 0xcd9e8d57, v1, 0
	v_xor3_b32 v3, v19, v6, v0
	v_add_co_u32 v25, null, 0x78dde6e4, v11
	v_add_co_u32 v26, null, 0xed9eba14, v9
	s_delay_alu instid0(VALU_DEP_3) | instskip(SKIP_3) | instid1(VALU_DEP_3)
	v_mad_u64_u32 v[0:1], null, 0xcd9e8d57, v3, 0
	v_xor3_b32 v6, v20, v8, v4
	v_dual_mov_b32 v38, v13 :: v_dual_and_b32 v27, 3, v2
	v_add_co_u32 v29, null, 0xa9066899, v9
	v_mad_u64_u32 v[3:4], null, 0xd2511f53, v6, 0
	v_xor3_b32 v1, v21, v1, v7
	v_add_co_u32 v30, null, 0x1715609d, v11
	v_add_co_u32 v32, null, 0xb54cda56, v11
	;; [unrolled: 1-line block ×3, first 2 shown]
	v_xor3_b32 v8, v22, v4, v5
	v_mad_u64_u32 v[4:5], null, 0xd2511f53, v1, 0
	s_load_b256 s[4:11], s[0:1], 0x30
	v_add_co_u32 v31, null, 0x5384540f, v11
	s_delay_alu instid0(VALU_DEP_3) | instskip(SKIP_1) | instid1(VALU_DEP_4)
	v_mad_u64_u32 v[6:7], null, 0xcd9e8d57, v8, 0
	v_add_co_u32 v35, null, 0x1fd5c5a3, v9
	v_xor3_b32 v3, v23, v5, v3
	v_add_co_u32 v34, null, 0xf1bbcdc8, v11
	v_add_co_u32 v36, null, 0xdb3d7428, v9
	v_xor3_b32 v5, v24, v7, v0
	s_delay_alu instid0(VALU_DEP_4)
	v_mad_u64_u32 v[0:1], null, 0xcd9e8d57, v3, 0
	s_add_u32 s12, s0, 48
	s_clause 0x1
	s_load_b64 s[14:15], s[0:1], 0xf4
	s_load_b64 s[18:19], s[0:1], 0x138
	v_mad_u64_u32 v[7:8], null, 0xd2511f53, v5, 0
	s_addc_u32 s13, s1, 0
	s_waitcnt lgkmcnt(0)
	s_add_i32 s20, s4, -1
	v_xor3_b32 v3, v25, v1, v6
	s_cmp_gt_u32 s20, 1
	v_add_nc_u32_e32 v37, 0x96a522ad, v12
	s_cselect_b32 s11, -1, 0
	v_xor3_b32 v5, v26, v8, v4
	v_mad_u64_u32 v[1:2], null, 0xd2511f53, v3, 0
	s_cmp_lg_u32 s4, 0
	v_mov_b32_e32 v39, v14
	s_delay_alu instid0(VALU_DEP_3) | instskip(SKIP_2) | instid1(VALU_DEP_3)
	v_mad_u64_u32 v[3:4], null, 0xcd9e8d57, v5, 0
	s_cselect_b32 s27, -1, 0
	s_add_u32 s0, s0, 0xf4
	v_xor3_b32 v2, v29, v2, v7
	s_addc_u32 s1, s1, 0
	s_min_u32 s21, s20, 15
	s_cmp_gt_u32 s4, 1
	s_delay_alu instid0(VALU_DEP_2) | instskip(SKIP_3) | instid1(VALU_DEP_2)
	v_xor3_b32 v0, v30, v4, v0
	v_mad_u64_u32 v[4:5], null, 0xcd9e8d57, v2, 0
	s_cselect_b32 s4, -1, 0
	s_add_i32 s21, s21, 1
	v_mad_u64_u32 v[6:7], null, 0xd2511f53, v0, 0
	s_and_b32 s28, s21, 3
	s_cmp_lg_u32 s20, 2
	s_delay_alu instid0(VALU_DEP_2) | instskip(SKIP_3) | instid1(VALU_DEP_2)
	v_xor3_b32 v2, v32, v5, v3
	s_cselect_b32 s29, -1, 0
	s_and_b32 s30, s21, 28
	s_cmp_lg_u32 s28, 0
	v_xor3_b32 v5, v33, v7, v1
	v_mad_u64_u32 v[0:1], null, 0xd2511f53, v2, 0
	s_mov_b32 s26, 0
	s_cselect_b32 s31, -1, 0
	s_delay_alu instid0(VALU_DEP_2) | instskip(NEXT) | instid1(VALU_DEP_2)
	v_mad_u64_u32 v[2:3], null, 0xcd9e8d57, v5, 0
	v_xor3_b32 v1, v35, v1, v6
	s_delay_alu instid0(VALU_DEP_2) | instskip(NEXT) | instid1(VALU_DEP_2)
	v_xor3_b32 v3, v31, v3, v4
	v_mad_u64_u32 v[4:5], null, 0xcd9e8d57, v1, 0
	s_delay_alu instid0(VALU_DEP_2) | instskip(NEXT) | instid1(VALU_DEP_2)
	v_mad_u64_u32 v[6:7], null, 0xd2511f53, v3, 0
	v_xor3_b32 v1, v34, v5, v2
	s_delay_alu instid0(VALU_DEP_2) | instskip(NEXT) | instid1(VALU_DEP_2)
	v_xor3_b32 v0, v36, v7, v0
	v_mad_u64_u32 v[7:8], null, 0xd2511f53, v1, 0
	s_delay_alu instid0(VALU_DEP_2) | instskip(NEXT) | instid1(VALU_DEP_2)
	v_mad_u64_u32 v[1:2], null, 0xcd9e8d57, v0, 0
	v_mov_b32_e32 v3, v7
	s_delay_alu instid0(VALU_DEP_2) | instskip(NEXT) | instid1(VALU_DEP_4)
	v_xor3_b32 v0, v2, v4, v28
	v_xor3_b32 v2, v8, v6, v37
	s_branch .LBB81_9
.LBB81_7:                               ;   in Loop: Header=BB81_9 Depth=1
	v_dual_mov_b32 v7, v3 :: v_dual_and_b32 v8, 0x7fffffff, v2
	global_store_b64 v1, v[7:8], s[18:19]
.LBB81_8:                               ;   in Loop: Header=BB81_9 Depth=1
	s_or_b32 exec_lo, exec_lo, s33
	v_add_co_u32 v13, vcc_lo, v13, s25
	v_add_co_ci_u32_e32 v14, vcc_lo, 0, v14, vcc_lo
	v_mov_b32_e32 v7, v15
	v_dual_mov_b32 v0, v4 :: v_dual_mov_b32 v1, v5
	s_delay_alu instid0(VALU_DEP_3) | instskip(NEXT) | instid1(VALU_DEP_3)
	v_cmp_le_i64_e32 vcc_lo, s[2:3], v[13:14]
	v_dual_mov_b32 v2, v6 :: v_dual_mov_b32 v3, v7
	s_waitcnt_vscnt null, 0x0
	s_barrier
	buffer_gl0_inv
	s_or_b32 s26, vcc_lo, s26
	s_delay_alu instid0(SALU_CYCLE_1)
	s_and_not1_b32 exec_lo, exec_lo, s26
	s_cbranch_execz .LBB81_48
.LBB81_9:                               ; =>This Loop Header: Depth=1
                                        ;     Child Loop BB81_24 Depth 2
                                        ;     Child Loop BB81_29 Depth 2
	;; [unrolled: 1-line block ×4, first 2 shown]
	v_add_co_u32 v17, vcc_lo, v17, 1
	s_delay_alu instid0(VALU_DEP_1) | instskip(SKIP_2) | instid1(VALU_DEP_1)
	v_cndmask_b32_e64 v4, 0, 1, vcc_lo
	v_add_co_ci_u32_e32 v18, vcc_lo, 0, v18, vcc_lo
	s_mov_b32 s20, exec_lo
	v_cmp_eq_u32_e32 vcc_lo, 0, v18
	s_delay_alu instid0(VALU_DEP_3) | instskip(NEXT) | instid1(VALU_DEP_1)
	v_cndmask_b32_e32 v4, 0, v4, vcc_lo
	v_add_nc_u32_e32 v38, v4, v38
	s_delay_alu instid0(VALU_DEP_1) | instskip(SKIP_2) | instid1(VALU_DEP_2)
	v_cmp_eq_u32_e32 vcc_lo, 0, v38
	v_mad_u64_u32 v[6:7], null, 0xcd9e8d57, v38, 0
	v_cndmask_b32_e32 v4, 0, v4, vcc_lo
	v_xor3_b32 v9, v7, v11, v18
	s_delay_alu instid0(VALU_DEP_2) | instskip(SKIP_1) | instid1(VALU_DEP_3)
	v_add_nc_u32_e32 v39, v4, v39
	v_mad_u64_u32 v[4:5], null, 0xd2511f53, v17, 0
	v_mad_u64_u32 v[7:8], null, 0xd2511f53, v9, 0
	s_delay_alu instid0(VALU_DEP_2) | instskip(NEXT) | instid1(VALU_DEP_2)
	v_xor_b32_e32 v5, v5, v12
	v_xor3_b32 v8, v19, v8, v4
	s_delay_alu instid0(VALU_DEP_2) | instskip(NEXT) | instid1(VALU_DEP_1)
	v_xor_b32_e32 v5, v39, v5
	v_mad_u64_u32 v[9:10], null, 0xcd9e8d57, v5, 0
	s_delay_alu instid0(VALU_DEP_3) | instskip(NEXT) | instid1(VALU_DEP_2)
	v_mad_u64_u32 v[4:5], null, 0xcd9e8d57, v8, 0
	v_xor3_b32 v6, v20, v10, v6
	s_delay_alu instid0(VALU_DEP_2) | instskip(NEXT) | instid1(VALU_DEP_2)
	v_xor3_b32 v8, v21, v5, v9
	v_mad_u64_u32 v[15:16], null, 0xd2511f53, v6, 0
	s_delay_alu instid0(VALU_DEP_2) | instskip(NEXT) | instid1(VALU_DEP_2)
	v_mad_u64_u32 v[5:6], null, 0xd2511f53, v8, 0
	v_xor3_b32 v9, v22, v16, v7
	s_delay_alu instid0(VALU_DEP_2) | instskip(NEXT) | instid1(VALU_DEP_2)
	v_xor3_b32 v6, v23, v6, v15
	v_mad_u64_u32 v[7:8], null, 0xcd9e8d57, v9, 0
	s_delay_alu instid0(VALU_DEP_1) | instskip(NEXT) | instid1(VALU_DEP_3)
	v_xor3_b32 v4, v24, v8, v4
	v_mad_u64_u32 v[8:9], null, 0xcd9e8d57, v6, 0
	s_delay_alu instid0(VALU_DEP_2) | instskip(NEXT) | instid1(VALU_DEP_2)
	v_mad_u64_u32 v[15:16], null, 0xd2511f53, v4, 0
	v_xor3_b32 v6, v25, v9, v7
	s_delay_alu instid0(VALU_DEP_2) | instskip(NEXT) | instid1(VALU_DEP_2)
	v_xor3_b32 v9, v26, v16, v5
	v_mad_u64_u32 v[4:5], null, 0xd2511f53, v6, 0
	s_delay_alu instid0(VALU_DEP_2) | instskip(NEXT) | instid1(VALU_DEP_2)
	v_mad_u64_u32 v[6:7], null, 0xcd9e8d57, v9, 0
	v_xor3_b32 v5, v29, v5, v15
	s_delay_alu instid0(VALU_DEP_2) | instskip(NEXT) | instid1(VALU_DEP_2)
	;; [unrolled: 6-line block ×6, first 2 shown]
	v_xor3_b32 v4, v6, v7, v28
	v_mov_b32_e32 v6, v10
	v_cmpx_lt_i32_e32 1, v27
	s_xor_b32 s20, exec_lo, s20
	s_cbranch_execnz .LBB81_12
; %bb.10:                               ;   in Loop: Header=BB81_9 Depth=1
	s_and_not1_saveexec_b32 s20, s20
	s_cbranch_execnz .LBB81_17
.LBB81_11:                              ;   in Loop: Header=BB81_9 Depth=1
	s_or_b32 exec_lo, exec_lo, s20
	s_delay_alu instid0(SALU_CYCLE_1)
	s_mov_b32 s33, exec_lo
	v_cmpx_gt_i64_e64 s[16:17], v[13:14]
	s_cbranch_execnz .LBB81_20
	s_branch .LBB81_34
.LBB81_12:                              ;   in Loop: Header=BB81_9 Depth=1
	s_mov_b32 s21, exec_lo
	v_cmpx_lt_i32_e32 2, v27
	s_xor_b32 s21, exec_lo, s21
; %bb.13:                               ;   in Loop: Header=BB81_9 Depth=1
	v_dual_mov_b32 v7, v3 :: v_dual_mov_b32 v8, v4
	v_mov_b32_e32 v9, v5
	s_delay_alu instid0(VALU_DEP_2) | instskip(NEXT) | instid1(VALU_DEP_2)
	v_dual_mov_b32 v0, v7 :: v_dual_mov_b32 v1, v8
	v_dual_mov_b32 v2, v9 :: v_dual_mov_b32 v3, v10
; %bb.14:                               ;   in Loop: Header=BB81_9 Depth=1
	s_and_not1_saveexec_b32 s21, s21
; %bb.15:                               ;   in Loop: Header=BB81_9 Depth=1
	s_delay_alu instid0(VALU_DEP_1)
	v_dual_mov_b32 v0, v2 :: v_dual_mov_b32 v1, v3
	v_dual_mov_b32 v2, v4 :: v_dual_mov_b32 v3, v5
; %bb.16:                               ;   in Loop: Header=BB81_9 Depth=1
	s_or_b32 exec_lo, exec_lo, s21
	s_and_not1_saveexec_b32 s20, s20
	s_cbranch_execz .LBB81_11
.LBB81_17:                              ;   in Loop: Header=BB81_9 Depth=1
	s_mov_b32 s21, exec_lo
	v_cmpx_eq_u32_e32 1, v27
; %bb.18:                               ;   in Loop: Header=BB81_9 Depth=1
	v_dual_mov_b32 v0, v1 :: v_dual_mov_b32 v1, v2
	v_dual_mov_b32 v2, v3 :: v_dual_mov_b32 v3, v4
; %bb.19:                               ;   in Loop: Header=BB81_9 Depth=1
	s_or_b32 exec_lo, exec_lo, s21
	s_delay_alu instid0(SALU_CYCLE_1) | instskip(NEXT) | instid1(SALU_CYCLE_1)
	s_or_b32 exec_lo, exec_lo, s20
	s_mov_b32 s33, exec_lo
	v_cmpx_gt_i64_e64 s[16:17], v[13:14]
	s_cbranch_execz .LBB81_34
.LBB81_20:                              ;   in Loop: Header=BB81_9 Depth=1
	s_and_not1_b32 vcc_lo, exec_lo, s11
	s_cbranch_vccnz .LBB81_26
; %bb.21:                               ;   in Loop: Header=BB81_9 Depth=1
	v_mov_b32_e32 v7, 0
	s_and_not1_b32 vcc_lo, exec_lo, s27
	s_cbranch_vccnz .LBB81_30
; %bb.22:                               ;   in Loop: Header=BB81_9 Depth=1
	s_and_not1_b32 vcc_lo, exec_lo, s29
	s_mov_b32 s20, 0
	s_cbranch_vccnz .LBB81_27
; %bb.23:                               ;   in Loop: Header=BB81_9 Depth=1
	v_dual_mov_b32 v7, 0 :: v_dual_mov_b32 v8, v13
	s_mov_b32 s34, 0
	s_mov_b64 s[20:21], s[12:13]
	s_mov_b64 s[22:23], s[0:1]
.LBB81_24:                              ;   Parent Loop BB81_9 Depth=1
                                        ; =>  This Inner Loop Header: Depth=2
	s_clause 0x1
	s_load_b256 s[36:43], s[20:21], 0x4
	s_load_b128 s[44:47], s[20:21], 0x24
	s_load_b128 s[48:51], s[22:23], 0x0
	s_add_u32 s20, s20, 48
	s_addc_u32 s21, s21, 0
	s_add_i32 s34, s34, 4
	s_add_u32 s22, s22, 16
	s_addc_u32 s23, s23, 0
	s_cmp_lg_u32 s30, s34
	s_waitcnt lgkmcnt(0)
	v_mul_hi_u32 v9, s37, v8
	s_delay_alu instid0(VALU_DEP_1) | instskip(NEXT) | instid1(VALU_DEP_1)
	v_add_nc_u32_e32 v9, v8, v9
	v_lshrrev_b32_e32 v9, s38, v9
	s_delay_alu instid0(VALU_DEP_1) | instskip(SKIP_1) | instid1(VALU_DEP_2)
	v_mul_hi_u32 v10, s40, v9
	v_mul_lo_u32 v41, v9, s36
	v_add_nc_u32_e32 v10, v9, v10
	s_delay_alu instid0(VALU_DEP_2) | instskip(NEXT) | instid1(VALU_DEP_2)
	v_sub_nc_u32_e32 v41, v8, v41
	v_lshrrev_b32_e32 v10, s41, v10
	s_delay_alu instid0(VALU_DEP_2) | instskip(NEXT) | instid1(VALU_DEP_2)
	v_mul_lo_u32 v41, v41, s48
	v_mul_hi_u32 v16, s43, v10
	v_mul_lo_u32 v42, v10, s39
	s_delay_alu instid0(VALU_DEP_2) | instskip(NEXT) | instid1(VALU_DEP_2)
	v_add_nc_u32_e32 v16, v10, v16
	v_sub_nc_u32_e32 v9, v9, v42
	s_delay_alu instid0(VALU_DEP_2) | instskip(NEXT) | instid1(VALU_DEP_2)
	v_lshrrev_b32_e32 v16, s44, v16
	v_mul_lo_u32 v9, v9, s49
	s_delay_alu instid0(VALU_DEP_2) | instskip(NEXT) | instid1(VALU_DEP_2)
	v_mul_hi_u32 v40, s46, v16
	v_add3_u32 v7, v41, v7, v9
	s_delay_alu instid0(VALU_DEP_2) | instskip(NEXT) | instid1(VALU_DEP_1)
	v_add_nc_u32_e32 v40, v16, v40
	v_lshrrev_b32_e32 v8, s47, v40
	v_mul_lo_u32 v40, v16, s42
	s_delay_alu instid0(VALU_DEP_2) | instskip(NEXT) | instid1(VALU_DEP_2)
	v_mul_lo_u32 v43, v8, s45
	v_sub_nc_u32_e32 v10, v10, v40
	s_delay_alu instid0(VALU_DEP_2) | instskip(NEXT) | instid1(VALU_DEP_2)
	v_sub_nc_u32_e32 v16, v16, v43
	v_mul_lo_u32 v10, v10, s50
	s_delay_alu instid0(VALU_DEP_2) | instskip(NEXT) | instid1(VALU_DEP_1)
	v_mul_lo_u32 v16, v16, s51
	v_add3_u32 v7, v10, v7, v16
	s_cbranch_scc1 .LBB81_24
; %bb.25:                               ;   in Loop: Header=BB81_9 Depth=1
	s_mov_b32 s20, s30
	s_and_not1_b32 vcc_lo, exec_lo, s31
	s_cbranch_vccz .LBB81_28
	s_branch .LBB81_30
.LBB81_26:                              ;   in Loop: Header=BB81_9 Depth=1
                                        ; implicit-def: $vgpr7
	s_branch .LBB81_31
.LBB81_27:                              ;   in Loop: Header=BB81_9 Depth=1
	v_mov_b32_e32 v8, v13
	s_and_not1_b32 vcc_lo, exec_lo, s31
	s_cbranch_vccnz .LBB81_30
.LBB81_28:                              ;   in Loop: Header=BB81_9 Depth=1
	s_lshl_b32 s21, s20, 2
	s_mul_i32 s22, s20, 12
	s_add_u32 s20, s0, s21
	s_addc_u32 s21, s1, 0
	s_add_u32 s22, s12, s22
	s_addc_u32 s23, s13, 0
	s_mov_b32 s34, s28
	.p2align	6
.LBB81_29:                              ;   Parent Loop BB81_9 Depth=1
                                        ; =>  This Inner Loop Header: Depth=2
	s_clause 0x1
	s_load_b64 s[36:37], s[22:23], 0x4
	s_load_b32 s35, s[22:23], 0xc
	s_add_u32 s22, s22, 12
	s_addc_u32 s23, s23, 0
	s_waitcnt lgkmcnt(0)
	v_mul_hi_u32 v9, s37, v8
	s_load_b32 s37, s[20:21], 0x0
	s_add_u32 s20, s20, 4
	s_addc_u32 s21, s21, 0
	s_add_i32 s34, s34, -1
	s_delay_alu instid0(SALU_CYCLE_1) | instskip(NEXT) | instid1(VALU_DEP_1)
	s_cmp_lg_u32 s34, 0
	v_add_nc_u32_e32 v9, v8, v9
	s_delay_alu instid0(VALU_DEP_1) | instskip(NEXT) | instid1(VALU_DEP_1)
	v_lshrrev_b32_e32 v16, s35, v9
	v_mul_lo_u32 v9, v16, s36
	s_delay_alu instid0(VALU_DEP_1) | instskip(SKIP_1) | instid1(VALU_DEP_1)
	v_sub_nc_u32_e32 v8, v8, v9
	s_waitcnt lgkmcnt(0)
	v_mad_u64_u32 v[9:10], null, v8, s37, v[7:8]
	s_delay_alu instid0(VALU_DEP_1)
	v_dual_mov_b32 v8, v16 :: v_dual_mov_b32 v7, v9
	s_cbranch_scc1 .LBB81_29
.LBB81_30:                              ;   in Loop: Header=BB81_9 Depth=1
	s_cbranch_execnz .LBB81_33
.LBB81_31:                              ;   in Loop: Header=BB81_9 Depth=1
	v_mul_hi_u32 v7, v13, s6
	s_and_not1_b32 vcc_lo, exec_lo, s4
	s_delay_alu instid0(VALU_DEP_1) | instskip(NEXT) | instid1(VALU_DEP_1)
	v_add_nc_u32_e32 v7, v7, v13
	v_lshrrev_b32_e32 v8, s7, v7
	s_delay_alu instid0(VALU_DEP_1) | instskip(NEXT) | instid1(VALU_DEP_1)
	v_mul_lo_u32 v7, v8, s5
	v_sub_nc_u32_e32 v7, v13, v7
	s_delay_alu instid0(VALU_DEP_1)
	v_mul_lo_u32 v7, v7, s14
	s_cbranch_vccnz .LBB81_33
; %bb.32:                               ;   in Loop: Header=BB81_9 Depth=1
	v_mul_hi_u32 v9, s9, v8
	s_delay_alu instid0(VALU_DEP_1) | instskip(NEXT) | instid1(VALU_DEP_1)
	v_add_nc_u32_e32 v9, v8, v9
	v_lshrrev_b32_e32 v9, s10, v9
	s_delay_alu instid0(VALU_DEP_1) | instskip(NEXT) | instid1(VALU_DEP_1)
	v_mul_lo_u32 v9, v9, s8
	v_sub_nc_u32_e32 v10, v8, v9
	s_delay_alu instid0(VALU_DEP_1) | instskip(NEXT) | instid1(VALU_DEP_1)
	v_mad_u64_u32 v[8:9], null, v10, s15, v[7:8]
	v_mov_b32_e32 v7, v8
.LBB81_33:                              ;   in Loop: Header=BB81_9 Depth=1
	v_dual_mov_b32 v8, v1 :: v_dual_and_b32 v9, 0x7fffffff, v0
	global_store_b64 v7, v[8:9], s[18:19]
.LBB81_34:                              ;   in Loop: Header=BB81_9 Depth=1
	s_or_b32 exec_lo, exec_lo, s33
	v_add_co_u32 v0, vcc_lo, v13, s24
	v_add_co_ci_u32_e32 v1, vcc_lo, 0, v14, vcc_lo
	s_mov_b32 s33, exec_lo
	s_delay_alu instid0(VALU_DEP_1)
	v_cmpx_gt_i64_e64 s[16:17], v[0:1]
	s_cbranch_execz .LBB81_8
; %bb.35:                               ;   in Loop: Header=BB81_9 Depth=1
	s_and_not1_b32 vcc_lo, exec_lo, s11
	s_cbranch_vccnz .LBB81_41
; %bb.36:                               ;   in Loop: Header=BB81_9 Depth=1
	v_mov_b32_e32 v1, 0
	s_and_not1_b32 vcc_lo, exec_lo, s27
	s_cbranch_vccnz .LBB81_45
; %bb.37:                               ;   in Loop: Header=BB81_9 Depth=1
	s_and_not1_b32 vcc_lo, exec_lo, s29
	s_mov_b32 s20, 0
	s_cbranch_vccnz .LBB81_42
; %bb.38:                               ;   in Loop: Header=BB81_9 Depth=1
	v_mov_b32_e32 v1, 0
	v_mov_b32_e32 v7, v0
	s_mov_b32 s34, 0
	s_mov_b64 s[20:21], s[12:13]
	s_mov_b64 s[22:23], s[0:1]
.LBB81_39:                              ;   Parent Loop BB81_9 Depth=1
                                        ; =>  This Inner Loop Header: Depth=2
	s_clause 0x1
	s_load_b256 s[36:43], s[20:21], 0x4
	s_load_b128 s[44:47], s[20:21], 0x24
	s_load_b128 s[48:51], s[22:23], 0x0
	s_add_u32 s20, s20, 48
	s_addc_u32 s21, s21, 0
	s_add_i32 s34, s34, 4
	s_add_u32 s22, s22, 16
	s_addc_u32 s23, s23, 0
	s_cmp_eq_u32 s30, s34
	s_waitcnt lgkmcnt(0)
	v_mul_hi_u32 v8, s37, v7
	s_delay_alu instid0(VALU_DEP_1) | instskip(NEXT) | instid1(VALU_DEP_1)
	v_add_nc_u32_e32 v8, v7, v8
	v_lshrrev_b32_e32 v8, s38, v8
	s_delay_alu instid0(VALU_DEP_1) | instskip(SKIP_1) | instid1(VALU_DEP_2)
	v_mul_hi_u32 v9, s40, v8
	v_mul_lo_u32 v40, v8, s36
	v_add_nc_u32_e32 v9, v8, v9
	s_delay_alu instid0(VALU_DEP_2) | instskip(NEXT) | instid1(VALU_DEP_2)
	v_sub_nc_u32_e32 v40, v7, v40
	v_lshrrev_b32_e32 v9, s41, v9
	s_delay_alu instid0(VALU_DEP_2) | instskip(NEXT) | instid1(VALU_DEP_2)
	v_mul_lo_u32 v40, v40, s48
	v_mul_hi_u32 v10, s43, v9
	v_mul_lo_u32 v41, v9, s39
	s_delay_alu instid0(VALU_DEP_2) | instskip(NEXT) | instid1(VALU_DEP_2)
	v_add_nc_u32_e32 v10, v9, v10
	v_sub_nc_u32_e32 v8, v8, v41
	s_delay_alu instid0(VALU_DEP_2) | instskip(NEXT) | instid1(VALU_DEP_2)
	v_lshrrev_b32_e32 v10, s44, v10
	v_mul_lo_u32 v8, v8, s49
	s_delay_alu instid0(VALU_DEP_2) | instskip(NEXT) | instid1(VALU_DEP_2)
	v_mul_hi_u32 v16, s46, v10
	v_add3_u32 v1, v40, v1, v8
	s_delay_alu instid0(VALU_DEP_2) | instskip(NEXT) | instid1(VALU_DEP_1)
	v_add_nc_u32_e32 v16, v10, v16
	v_lshrrev_b32_e32 v7, s47, v16
	v_mul_lo_u32 v16, v10, s42
	s_delay_alu instid0(VALU_DEP_2) | instskip(NEXT) | instid1(VALU_DEP_2)
	v_mul_lo_u32 v42, v7, s45
	v_sub_nc_u32_e32 v9, v9, v16
	s_delay_alu instid0(VALU_DEP_2) | instskip(NEXT) | instid1(VALU_DEP_2)
	v_sub_nc_u32_e32 v10, v10, v42
	v_mul_lo_u32 v9, v9, s50
	s_delay_alu instid0(VALU_DEP_2) | instskip(NEXT) | instid1(VALU_DEP_1)
	v_mul_lo_u32 v10, v10, s51
	v_add3_u32 v1, v9, v1, v10
	s_cbranch_scc0 .LBB81_39
; %bb.40:                               ;   in Loop: Header=BB81_9 Depth=1
	s_mov_b32 s20, s30
	s_and_not1_b32 vcc_lo, exec_lo, s31
	s_cbranch_vccz .LBB81_43
	s_branch .LBB81_45
.LBB81_41:                              ;   in Loop: Header=BB81_9 Depth=1
                                        ; implicit-def: $vgpr1
	s_branch .LBB81_46
.LBB81_42:                              ;   in Loop: Header=BB81_9 Depth=1
	v_mov_b32_e32 v7, v0
	s_and_not1_b32 vcc_lo, exec_lo, s31
	s_cbranch_vccnz .LBB81_45
.LBB81_43:                              ;   in Loop: Header=BB81_9 Depth=1
	s_lshl_b32 s21, s20, 2
	s_mul_i32 s22, s20, 12
	s_add_u32 s20, s0, s21
	s_addc_u32 s21, s1, 0
	s_add_u32 s22, s12, s22
	s_addc_u32 s23, s13, 0
	s_mov_b32 s34, s28
	.p2align	6
.LBB81_44:                              ;   Parent Loop BB81_9 Depth=1
                                        ; =>  This Inner Loop Header: Depth=2
	s_clause 0x1
	s_load_b64 s[36:37], s[22:23], 0x4
	s_load_b32 s35, s[22:23], 0xc
	s_add_u32 s22, s22, 12
	s_addc_u32 s23, s23, 0
	s_waitcnt lgkmcnt(0)
	v_mul_hi_u32 v8, s37, v7
	s_load_b32 s37, s[20:21], 0x0
	s_add_u32 s20, s20, 4
	s_addc_u32 s21, s21, 0
	s_add_i32 s34, s34, -1
	s_delay_alu instid0(SALU_CYCLE_1) | instskip(NEXT) | instid1(VALU_DEP_1)
	s_cmp_lg_u32 s34, 0
	v_add_nc_u32_e32 v8, v7, v8
	s_delay_alu instid0(VALU_DEP_1) | instskip(NEXT) | instid1(VALU_DEP_1)
	v_lshrrev_b32_e32 v10, s35, v8
	v_mul_lo_u32 v8, v10, s36
	s_delay_alu instid0(VALU_DEP_1) | instskip(SKIP_1) | instid1(VALU_DEP_1)
	v_sub_nc_u32_e32 v7, v7, v8
	s_waitcnt lgkmcnt(0)
	v_mad_u64_u32 v[8:9], null, v7, s37, v[1:2]
	v_mov_b32_e32 v7, v10
	s_delay_alu instid0(VALU_DEP_2)
	v_mov_b32_e32 v1, v8
	s_cbranch_scc1 .LBB81_44
.LBB81_45:                              ;   in Loop: Header=BB81_9 Depth=1
	s_cbranch_execnz .LBB81_7
.LBB81_46:                              ;   in Loop: Header=BB81_9 Depth=1
	v_mul_hi_u32 v1, v0, s6
	s_and_not1_b32 vcc_lo, exec_lo, s4
	s_delay_alu instid0(VALU_DEP_1) | instskip(NEXT) | instid1(VALU_DEP_1)
	v_add_nc_u32_e32 v1, v1, v0
	v_lshrrev_b32_e32 v7, s7, v1
	s_delay_alu instid0(VALU_DEP_1) | instskip(NEXT) | instid1(VALU_DEP_1)
	v_mul_lo_u32 v1, v7, s5
	v_sub_nc_u32_e32 v0, v0, v1
	s_delay_alu instid0(VALU_DEP_1)
	v_mul_lo_u32 v1, v0, s14
	s_cbranch_vccnz .LBB81_7
; %bb.47:                               ;   in Loop: Header=BB81_9 Depth=1
	v_mul_hi_u32 v0, s9, v7
	s_delay_alu instid0(VALU_DEP_1) | instskip(NEXT) | instid1(VALU_DEP_1)
	v_add_nc_u32_e32 v0, v7, v0
	v_lshrrev_b32_e32 v0, s10, v0
	s_delay_alu instid0(VALU_DEP_1) | instskip(NEXT) | instid1(VALU_DEP_1)
	v_mul_lo_u32 v0, v0, s8
	v_sub_nc_u32_e32 v0, v7, v0
	s_delay_alu instid0(VALU_DEP_1) | instskip(NEXT) | instid1(VALU_DEP_1)
	v_mad_u64_u32 v[7:8], null, v0, s15, v[1:2]
	v_mov_b32_e32 v1, v7
	s_branch .LBB81_7
.LBB81_48:
	s_endpgm
.LBB81_49:
                                        ; implicit-def: $sgpr2_sgpr3
	s_branch .LBB81_4
	.section	.rodata,"a",@progbits
	.p2align	6, 0x0
	.amdhsa_kernel _ZN2at6native12_GLOBAL__N_143distribution_elementwise_grid_stride_kernelImLi2EZZZNS0_9templates4cuda13random_kernelIPNS_17CUDAGeneratorImplEEEvRNS_18TensorIteratorBaseET_ENKUlvE_clEvENKUlvE2_clEvEUlP25hiprandStatePhilox4_32_10E_ZNS1_27distribution_nullary_kernelIlm15HIP_vector_typeIyLj2EES7_SF_ZZZNS5_IS7_EEvS9_SA_ENKSB_clEvENKSC_clEvEUlmE_EEvS9_T2_RKT3_T4_EUlimE0_EEvlNS_15PhiloxCudaStateET1_SK_
		.amdhsa_group_segment_fixed_size 0
		.amdhsa_private_segment_fixed_size 0
		.amdhsa_kernarg_size 584
		.amdhsa_user_sgpr_count 15
		.amdhsa_user_sgpr_dispatch_ptr 0
		.amdhsa_user_sgpr_queue_ptr 0
		.amdhsa_user_sgpr_kernarg_segment_ptr 1
		.amdhsa_user_sgpr_dispatch_id 0
		.amdhsa_user_sgpr_private_segment_size 0
		.amdhsa_wavefront_size32 1
		.amdhsa_uses_dynamic_stack 0
		.amdhsa_enable_private_segment 0
		.amdhsa_system_sgpr_workgroup_id_x 1
		.amdhsa_system_sgpr_workgroup_id_y 0
		.amdhsa_system_sgpr_workgroup_id_z 0
		.amdhsa_system_sgpr_workgroup_info 0
		.amdhsa_system_vgpr_workitem_id 0
		.amdhsa_next_free_vgpr 44
		.amdhsa_next_free_sgpr 52
		.amdhsa_reserve_vcc 1
		.amdhsa_float_round_mode_32 0
		.amdhsa_float_round_mode_16_64 0
		.amdhsa_float_denorm_mode_32 3
		.amdhsa_float_denorm_mode_16_64 3
		.amdhsa_dx10_clamp 1
		.amdhsa_ieee_mode 1
		.amdhsa_fp16_overflow 0
		.amdhsa_workgroup_processor_mode 1
		.amdhsa_memory_ordered 1
		.amdhsa_forward_progress 0
		.amdhsa_shared_vgpr_count 0
		.amdhsa_exception_fp_ieee_invalid_op 0
		.amdhsa_exception_fp_denorm_src 0
		.amdhsa_exception_fp_ieee_div_zero 0
		.amdhsa_exception_fp_ieee_overflow 0
		.amdhsa_exception_fp_ieee_underflow 0
		.amdhsa_exception_fp_ieee_inexact 0
		.amdhsa_exception_int_div_zero 0
	.end_amdhsa_kernel
	.section	.text._ZN2at6native12_GLOBAL__N_143distribution_elementwise_grid_stride_kernelImLi2EZZZNS0_9templates4cuda13random_kernelIPNS_17CUDAGeneratorImplEEEvRNS_18TensorIteratorBaseET_ENKUlvE_clEvENKUlvE2_clEvEUlP25hiprandStatePhilox4_32_10E_ZNS1_27distribution_nullary_kernelIlm15HIP_vector_typeIyLj2EES7_SF_ZZZNS5_IS7_EEvS9_SA_ENKSB_clEvENKSC_clEvEUlmE_EEvS9_T2_RKT3_T4_EUlimE0_EEvlNS_15PhiloxCudaStateET1_SK_,"axG",@progbits,_ZN2at6native12_GLOBAL__N_143distribution_elementwise_grid_stride_kernelImLi2EZZZNS0_9templates4cuda13random_kernelIPNS_17CUDAGeneratorImplEEEvRNS_18TensorIteratorBaseET_ENKUlvE_clEvENKUlvE2_clEvEUlP25hiprandStatePhilox4_32_10E_ZNS1_27distribution_nullary_kernelIlm15HIP_vector_typeIyLj2EES7_SF_ZZZNS5_IS7_EEvS9_SA_ENKSB_clEvENKSC_clEvEUlmE_EEvS9_T2_RKT3_T4_EUlimE0_EEvlNS_15PhiloxCudaStateET1_SK_,comdat
.Lfunc_end81:
	.size	_ZN2at6native12_GLOBAL__N_143distribution_elementwise_grid_stride_kernelImLi2EZZZNS0_9templates4cuda13random_kernelIPNS_17CUDAGeneratorImplEEEvRNS_18TensorIteratorBaseET_ENKUlvE_clEvENKUlvE2_clEvEUlP25hiprandStatePhilox4_32_10E_ZNS1_27distribution_nullary_kernelIlm15HIP_vector_typeIyLj2EES7_SF_ZZZNS5_IS7_EEvS9_SA_ENKSB_clEvENKSC_clEvEUlmE_EEvS9_T2_RKT3_T4_EUlimE0_EEvlNS_15PhiloxCudaStateET1_SK_, .Lfunc_end81-_ZN2at6native12_GLOBAL__N_143distribution_elementwise_grid_stride_kernelImLi2EZZZNS0_9templates4cuda13random_kernelIPNS_17CUDAGeneratorImplEEEvRNS_18TensorIteratorBaseET_ENKUlvE_clEvENKUlvE2_clEvEUlP25hiprandStatePhilox4_32_10E_ZNS1_27distribution_nullary_kernelIlm15HIP_vector_typeIyLj2EES7_SF_ZZZNS5_IS7_EEvS9_SA_ENKSB_clEvENKSC_clEvEUlmE_EEvS9_T2_RKT3_T4_EUlimE0_EEvlNS_15PhiloxCudaStateET1_SK_
                                        ; -- End function
	.section	.AMDGPU.csdata,"",@progbits
; Kernel info:
; codeLenInByte = 3836
; NumSgprs: 54
; NumVgprs: 44
; ScratchSize: 0
; MemoryBound: 0
; FloatMode: 240
; IeeeMode: 1
; LDSByteSize: 0 bytes/workgroup (compile time only)
; SGPRBlocks: 6
; VGPRBlocks: 5
; NumSGPRsForWavesPerEU: 54
; NumVGPRsForWavesPerEU: 44
; Occupancy: 16
; WaveLimiterHint : 1
; COMPUTE_PGM_RSRC2:SCRATCH_EN: 0
; COMPUTE_PGM_RSRC2:USER_SGPR: 15
; COMPUTE_PGM_RSRC2:TRAP_HANDLER: 0
; COMPUTE_PGM_RSRC2:TGID_X_EN: 1
; COMPUTE_PGM_RSRC2:TGID_Y_EN: 0
; COMPUTE_PGM_RSRC2:TGID_Z_EN: 0
; COMPUTE_PGM_RSRC2:TIDIG_COMP_CNT: 0
	.section	.text._ZN2at6native12_GLOBAL__N_143distribution_elementwise_grid_stride_kernelIjLi4EZZZNS0_9templates4cuda13random_kernelIPNS_17CUDAGeneratorImplEEEvRNS_18TensorIteratorBaseET_ENKUlvE_clEvENKUlvE2_clEvEUlP25hiprandStatePhilox4_32_10E0_ZNS1_27distribution_nullary_kernelIlj15HIP_vector_typeIjLj4EES7_SF_ZZZNS5_IS7_EEvS9_SA_ENKSB_clEvENKSC_clEvEUljE_EEvS9_T2_RKT3_T4_EUlijE_EEvlNS_15PhiloxCudaStateET1_SK_,"axG",@progbits,_ZN2at6native12_GLOBAL__N_143distribution_elementwise_grid_stride_kernelIjLi4EZZZNS0_9templates4cuda13random_kernelIPNS_17CUDAGeneratorImplEEEvRNS_18TensorIteratorBaseET_ENKUlvE_clEvENKUlvE2_clEvEUlP25hiprandStatePhilox4_32_10E0_ZNS1_27distribution_nullary_kernelIlj15HIP_vector_typeIjLj4EES7_SF_ZZZNS5_IS7_EEvS9_SA_ENKSB_clEvENKSC_clEvEUljE_EEvS9_T2_RKT3_T4_EUlijE_EEvlNS_15PhiloxCudaStateET1_SK_,comdat
	.globl	_ZN2at6native12_GLOBAL__N_143distribution_elementwise_grid_stride_kernelIjLi4EZZZNS0_9templates4cuda13random_kernelIPNS_17CUDAGeneratorImplEEEvRNS_18TensorIteratorBaseET_ENKUlvE_clEvENKUlvE2_clEvEUlP25hiprandStatePhilox4_32_10E0_ZNS1_27distribution_nullary_kernelIlj15HIP_vector_typeIjLj4EES7_SF_ZZZNS5_IS7_EEvS9_SA_ENKSB_clEvENKSC_clEvEUljE_EEvS9_T2_RKT3_T4_EUlijE_EEvlNS_15PhiloxCudaStateET1_SK_ ; -- Begin function _ZN2at6native12_GLOBAL__N_143distribution_elementwise_grid_stride_kernelIjLi4EZZZNS0_9templates4cuda13random_kernelIPNS_17CUDAGeneratorImplEEEvRNS_18TensorIteratorBaseET_ENKUlvE_clEvENKUlvE2_clEvEUlP25hiprandStatePhilox4_32_10E0_ZNS1_27distribution_nullary_kernelIlj15HIP_vector_typeIjLj4EES7_SF_ZZZNS5_IS7_EEvS9_SA_ENKSB_clEvENKSC_clEvEUljE_EEvS9_T2_RKT3_T4_EUlijE_EEvlNS_15PhiloxCudaStateET1_SK_
	.p2align	8
	.type	_ZN2at6native12_GLOBAL__N_143distribution_elementwise_grid_stride_kernelIjLi4EZZZNS0_9templates4cuda13random_kernelIPNS_17CUDAGeneratorImplEEEvRNS_18TensorIteratorBaseET_ENKUlvE_clEvENKUlvE2_clEvEUlP25hiprandStatePhilox4_32_10E0_ZNS1_27distribution_nullary_kernelIlj15HIP_vector_typeIjLj4EES7_SF_ZZZNS5_IS7_EEvS9_SA_ENKSB_clEvENKSC_clEvEUljE_EEvS9_T2_RKT3_T4_EUlijE_EEvlNS_15PhiloxCudaStateET1_SK_,@function
_ZN2at6native12_GLOBAL__N_143distribution_elementwise_grid_stride_kernelIjLi4EZZZNS0_9templates4cuda13random_kernelIPNS_17CUDAGeneratorImplEEEvRNS_18TensorIteratorBaseET_ENKUlvE_clEvENKUlvE2_clEvEUlP25hiprandStatePhilox4_32_10E0_ZNS1_27distribution_nullary_kernelIlj15HIP_vector_typeIjLj4EES7_SF_ZZZNS5_IS7_EEvS9_SA_ENKSB_clEvENKSC_clEvEUljE_EEvS9_T2_RKT3_T4_EUlijE_EEvlNS_15PhiloxCudaStateET1_SK_: ; @_ZN2at6native12_GLOBAL__N_143distribution_elementwise_grid_stride_kernelIjLi4EZZZNS0_9templates4cuda13random_kernelIPNS_17CUDAGeneratorImplEEEvRNS_18TensorIteratorBaseET_ENKUlvE_clEvENKUlvE2_clEvEUlP25hiprandStatePhilox4_32_10E0_ZNS1_27distribution_nullary_kernelIlj15HIP_vector_typeIjLj4EES7_SF_ZZZNS5_IS7_EEvS9_SA_ENKSB_clEvENKSC_clEvEUljE_EEvS9_T2_RKT3_T4_EUlijE_EEvlNS_15PhiloxCudaStateET1_SK_
; %bb.0:
	s_clause 0x2
	s_load_b64 s[8:9], s[0:1], 0x10
	s_load_b128 s[4:7], s[0:1], 0x0
	s_load_b32 s2, s[0:1], 0x20
	s_waitcnt lgkmcnt(0)
	v_dual_mov_b32 v2, s8 :: v_dual_mov_b32 v3, s9
	v_dual_mov_b32 v14, s7 :: v_dual_mov_b32 v13, s6
	s_bitcmp0_b32 s2, 0
	s_mov_b32 s2, 0
	s_cbranch_scc1 .LBB82_2
; %bb.1:
	v_dual_mov_b32 v1, s8 :: v_dual_mov_b32 v2, s9
	v_dual_mov_b32 v4, s6 :: v_dual_mov_b32 v5, s7
	s_load_b64 s[6:7], s[0:1], 0x18
	flat_load_b64 v[2:3], v[1:2]
	flat_load_b64 v[13:14], v[4:5]
	s_waitcnt vmcnt(1) lgkmcnt(0)
	v_add_co_u32 v2, vcc_lo, v2, s6
	v_add_co_ci_u32_e32 v3, vcc_lo, s7, v3, vcc_lo
.LBB82_2:
	s_clause 0x1
	s_load_b32 s3, s[0:1], 0x4c
	s_load_b32 s11, s[0:1], 0x40
	s_waitcnt lgkmcnt(0)
	s_and_b32 s10, s3, 0xffff
	s_add_u32 s6, s4, -1
	s_mul_i32 s8, s11, s10
	s_addc_u32 s3, s5, -1
	s_lshl_b32 s9, s8, 2
	s_cmp_lg_u64 s[2:3], 0
	s_cbranch_scc0 .LBB82_27
; %bb.3:
	v_cvt_f32_ubyte0_e32 v1, 0
	v_cvt_f32_u32_e32 v4, s9
	s_sub_u32 s12, 0, s9
	s_subb_u32 s13, 0, 0
	s_delay_alu instid0(VALU_DEP_1) | instskip(NEXT) | instid1(VALU_DEP_1)
	v_fmamk_f32 v1, v1, 0x4f800000, v4
	v_rcp_f32_e32 v1, v1
	s_waitcnt_depctr 0xfff
	v_mul_f32_e32 v1, 0x5f7ffffc, v1
	s_delay_alu instid0(VALU_DEP_1) | instskip(NEXT) | instid1(VALU_DEP_1)
	v_mul_f32_e32 v4, 0x2f800000, v1
	v_trunc_f32_e32 v4, v4
	s_delay_alu instid0(VALU_DEP_1) | instskip(SKIP_1) | instid1(VALU_DEP_2)
	v_fmamk_f32 v1, v4, 0xcf800000, v1
	v_cvt_u32_f32_e32 v4, v4
	v_cvt_u32_f32_e32 v1, v1
	s_delay_alu instid0(VALU_DEP_2) | instskip(NEXT) | instid1(VALU_DEP_2)
	v_readfirstlane_b32 s2, v4
	v_readfirstlane_b32 s7, v1
	s_delay_alu instid0(VALU_DEP_2) | instskip(NEXT) | instid1(VALU_DEP_1)
	s_mul_i32 s14, s12, s2
	s_mul_hi_u32 s17, s12, s7
	s_mul_i32 s16, s13, s7
	s_add_i32 s14, s17, s14
	s_mul_i32 s18, s12, s7
	s_add_i32 s14, s14, s16
	s_mul_hi_u32 s17, s7, s18
	s_mul_hi_u32 s19, s2, s18
	s_mul_i32 s16, s2, s18
	s_mul_hi_u32 s18, s7, s14
	s_mul_i32 s7, s7, s14
	s_mul_hi_u32 s20, s2, s14
	s_add_u32 s7, s17, s7
	s_addc_u32 s17, 0, s18
	s_add_u32 s7, s7, s16
	s_mul_i32 s14, s2, s14
	s_addc_u32 s7, s17, s19
	s_addc_u32 s16, s20, 0
	s_add_u32 s7, s7, s14
	s_addc_u32 s14, 0, s16
	v_add_co_u32 v1, s7, v1, s7
	s_delay_alu instid0(VALU_DEP_1) | instskip(SKIP_1) | instid1(VALU_DEP_1)
	s_cmp_lg_u32 s7, 0
	s_addc_u32 s2, s2, s14
	v_readfirstlane_b32 s7, v1
	s_mul_i32 s14, s12, s2
	s_delay_alu instid0(VALU_DEP_1)
	s_mul_hi_u32 s16, s12, s7
	s_mul_i32 s13, s13, s7
	s_add_i32 s14, s16, s14
	s_mul_i32 s12, s12, s7
	s_add_i32 s14, s14, s13
	s_mul_hi_u32 s16, s2, s12
	s_mul_i32 s17, s2, s12
	s_mul_hi_u32 s12, s7, s12
	s_mul_hi_u32 s18, s7, s14
	s_mul_i32 s7, s7, s14
	s_mul_hi_u32 s13, s2, s14
	s_add_u32 s7, s12, s7
	s_addc_u32 s12, 0, s18
	s_add_u32 s7, s7, s17
	s_mul_i32 s14, s2, s14
	s_addc_u32 s7, s12, s16
	s_addc_u32 s12, s13, 0
	s_add_u32 s7, s7, s14
	s_addc_u32 s12, 0, s12
	v_add_co_u32 v1, s7, v1, s7
	s_delay_alu instid0(VALU_DEP_1) | instskip(SKIP_2) | instid1(VALU_DEP_1)
	s_cmp_lg_u32 s7, 0
	s_addc_u32 s7, s2, s12
	s_ashr_i32 s12, s3, 31
	v_readfirstlane_b32 s14, v1
	s_add_u32 s2, s6, s12
	s_mov_b32 s13, s12
	s_addc_u32 s3, s3, s12
	s_delay_alu instid0(SALU_CYCLE_1) | instskip(NEXT) | instid1(SALU_CYCLE_1)
	s_xor_b64 s[2:3], s[2:3], s[12:13]
	s_mul_i32 s17, s2, s7
	s_mul_hi_u32 s18, s2, s14
	s_mul_hi_u32 s16, s2, s7
	;; [unrolled: 1-line block ×3, first 2 shown]
	s_mul_i32 s14, s3, s14
	s_add_u32 s17, s18, s17
	s_addc_u32 s16, 0, s16
	s_mul_hi_u32 s19, s3, s7
	s_add_u32 s14, s17, s14
	s_mul_i32 s7, s3, s7
	s_addc_u32 s14, s16, s20
	s_addc_u32 s16, s19, 0
	s_add_u32 s7, s14, s7
	s_addc_u32 s14, 0, s16
	s_mul_i32 s17, s9, s7
	s_add_u32 s16, s7, 1
	v_sub_co_u32 v1, s2, s2, s17
	s_mul_hi_u32 s17, s9, s7
	s_addc_u32 s18, s14, 0
	s_mul_i32 s19, s9, s14
	s_delay_alu instid0(VALU_DEP_1)
	v_sub_co_u32 v4, s20, v1, s9
	s_add_u32 s21, s7, 2
	s_addc_u32 s22, s14, 0
	s_add_i32 s17, s17, s19
	s_cmp_lg_u32 s2, 0
	v_readfirstlane_b32 s2, v4
	s_subb_u32 s3, s3, s17
	s_cmp_lg_u32 s20, 0
	s_subb_u32 s17, s3, 0
	s_delay_alu instid0(VALU_DEP_1) | instskip(SKIP_4) | instid1(SALU_CYCLE_1)
	s_cmp_ge_u32 s2, s9
	s_cselect_b32 s2, -1, 0
	s_cmp_eq_u32 s17, 0
	v_readfirstlane_b32 s17, v1
	s_cselect_b32 s2, s2, -1
	s_cmp_lg_u32 s2, 0
	s_cselect_b32 s2, s21, s16
	s_cselect_b32 s16, s22, s18
	s_cmp_ge_u32 s17, s9
	s_cselect_b32 s17, -1, 0
	s_cmp_eq_u32 s3, 0
	s_cselect_b32 s3, s17, -1
	s_delay_alu instid0(SALU_CYCLE_1) | instskip(SKIP_2) | instid1(SALU_CYCLE_1)
	s_cmp_lg_u32 s3, 0
	s_cselect_b32 s3, s16, s14
	s_cselect_b32 s2, s2, s7
	s_xor_b64 s[2:3], s[2:3], s[12:13]
	s_delay_alu instid0(SALU_CYCLE_1)
	s_sub_u32 s2, s2, s12
	s_subb_u32 s3, s3, s12
	s_cbranch_execnz .LBB82_5
.LBB82_4:
	v_cvt_f32_u32_e32 v1, s9
	s_sub_i32 s3, 0, s9
	s_delay_alu instid0(VALU_DEP_1) | instskip(SKIP_2) | instid1(VALU_DEP_1)
	v_rcp_iflag_f32_e32 v1, v1
	s_waitcnt_depctr 0xfff
	v_mul_f32_e32 v1, 0x4f7ffffe, v1
	v_cvt_u32_f32_e32 v1, v1
	s_delay_alu instid0(VALU_DEP_1) | instskip(NEXT) | instid1(VALU_DEP_1)
	v_readfirstlane_b32 s2, v1
	s_mul_i32 s3, s3, s2
	s_delay_alu instid0(SALU_CYCLE_1) | instskip(NEXT) | instid1(SALU_CYCLE_1)
	s_mul_hi_u32 s3, s2, s3
	s_add_i32 s2, s2, s3
	s_delay_alu instid0(SALU_CYCLE_1) | instskip(NEXT) | instid1(SALU_CYCLE_1)
	s_mul_hi_u32 s2, s6, s2
	s_mul_i32 s3, s2, s9
	s_delay_alu instid0(SALU_CYCLE_1)
	s_sub_i32 s3, s6, s3
	s_add_i32 s6, s2, 1
	s_sub_i32 s7, s3, s9
	s_cmp_ge_u32 s3, s9
	s_cselect_b32 s2, s6, s2
	s_cselect_b32 s3, s7, s3
	s_add_i32 s6, s2, 1
	s_cmp_ge_u32 s3, s9
	s_mov_b32 s3, 0
	s_cselect_b32 s2, s6, s2
.LBB82_5:
	v_mov_b32_e32 v1, 0
	s_add_u32 s2, s2, 1
	s_addc_u32 s3, s3, 0
	s_mul_hi_u32 s6, s8, s2
	s_mul_i32 s3, s8, s3
	v_mad_u64_u32 v[15:16], null, s10, s15, v[0:1]
	s_mul_hi_u32 s7, s11, s10
	s_add_i32 s3, s6, s3
	s_mul_i32 s7, s7, s2
	s_mul_i32 s2, s8, s2
	s_add_i32 s3, s3, s7
	s_mov_b32 s6, exec_lo
	s_lshl_b64 s[2:3], s[2:3], 2
	s_delay_alu instid0(SALU_CYCLE_1)
	v_cmpx_gt_i64_e64 s[2:3], v[15:16]
	s_cbranch_execz .LBB82_26
; %bb.6:
	v_alignbit_b32 v19, v3, v2, 2
	v_mad_u64_u32 v[6:7], null, 0xcd9e8d57, v15, 0
	v_lshrrev_b32_e32 v20, 2, v3
	s_waitcnt vmcnt(0)
	v_dual_mov_b32 v11, v14 :: v_dual_add_nc_u32 v32, 0x8ff34781, v13
	v_mad_u64_u32 v[4:5], null, 0xd2511f53, v19, 0
	v_add_co_u32 v22, null, 0x9e3779b9, v13
	s_delay_alu instid0(VALU_DEP_3) | instskip(SKIP_1) | instid1(VALU_DEP_4)
	v_add_co_u32 v21, null, 0xbb67ae85, v11
	v_add_co_u32 v23, null, 0x3c6ef372, v13
	v_xor_b32_e32 v3, v5, v14
	v_xor3_b32 v5, v13, v7, v20
	v_add_co_u32 v24, null, 0x76cf5d0a, v11
	v_add_co_u32 v25, null, 0x32370b8f, v11
	s_delay_alu instid0(VALU_DEP_4) | instskip(NEXT) | instid1(VALU_DEP_4)
	v_xor_b32_e32 v3, v3, v16
	v_mad_u64_u32 v[7:8], null, 0xd2511f53, v5, 0
	v_add_co_u32 v26, null, 0xdaa66d2b, v13
	s_delay_alu instid0(VALU_DEP_3) | instskip(SKIP_1) | instid1(VALU_DEP_4)
	v_mad_u64_u32 v[9:10], null, 0xcd9e8d57, v3, 0
	v_add_co_u32 v27, null, 0x78dde6e4, v13
	v_xor3_b32 v5, v21, v8, v4
	v_add_co_u32 v28, null, 0xed9eba14, v11
	v_add_co_u32 v29, null, 0xa9066899, v11
	v_xor3_b32 v8, v22, v10, v6
	s_delay_alu instid0(VALU_DEP_4) | instskip(SKIP_1) | instid1(VALU_DEP_3)
	v_mad_u64_u32 v[3:4], null, 0xcd9e8d57, v5, 0
	v_add_co_u32 v30, null, 0x1715609d, v13
	v_mad_u64_u32 v[5:6], null, 0xd2511f53, v8, 0
	v_and_b32_e32 v31, 3, v2
	v_add_co_u32 v35, null, 0xb54cda56, v13
	v_xor3_b32 v4, v23, v4, v9
	v_add_co_u32 v36, null, 0x646e171e, v11
	v_xor3_b32 v10, v24, v6, v7
	v_add_co_u32 v34, null, 0x5384540f, v13
	s_delay_alu instid0(VALU_DEP_4) | instskip(NEXT) | instid1(VALU_DEP_3)
	v_mad_u64_u32 v[6:7], null, 0xd2511f53, v4, 0
	v_mad_u64_u32 v[8:9], null, 0xcd9e8d57, v10, 0
	v_add_co_u32 v38, null, 0x1fd5c5a3, v11
	s_clause 0x1
	s_load_b64 s[6:7], s[0:1], 0x30
	s_load_b32 s12, s[0:1], 0x38
	v_add_co_u32 v37, null, 0xf1bbcdc8, v13
	s_delay_alu instid0(VALU_DEP_4) | instskip(NEXT) | instid1(VALU_DEP_4)
	v_xor3_b32 v5, v25, v7, v5
	v_xor3_b32 v7, v26, v9, v3
	v_add_co_u32 v40, null, 0xdb3d7428, v11
	s_mul_i32 s13, s11, 3
	s_delay_alu instid0(VALU_DEP_3) | instskip(NEXT) | instid1(VALU_DEP_3)
	v_mad_u64_u32 v[3:4], null, 0xcd9e8d57, v5, 0
	v_mad_u64_u32 v[9:10], null, 0xd2511f53, v7, 0
	s_lshl_b32 s14, s11, 1
	s_add_i32 s16, s15, s11
	s_add_i32 s13, s15, s13
	v_mad_u64_u32 v[11:12], null, s16, s10, v[0:1]
	s_delay_alu instid0(VALU_DEP_3) | instskip(NEXT) | instid1(VALU_DEP_3)
	v_xor3_b32 v7, v27, v4, v8
	v_xor3_b32 v8, v28, v10, v6
	v_mad_u64_u32 v[17:18], null, s13, s10, v[0:1]
	v_add_nc_u32_e32 v33, 0x96a522ad, v14
	s_delay_alu instid0(VALU_DEP_4) | instskip(NEXT) | instid1(VALU_DEP_4)
	v_mad_u64_u32 v[4:5], null, 0xd2511f53, v7, 0
	v_mad_u64_u32 v[6:7], null, 0xcd9e8d57, v8, 0
	s_waitcnt lgkmcnt(0)
	v_mul_lo_u32 v44, s12, v11
	v_mul_lo_u32 v42, s12, v17
	s_mul_i32 s11, s11, s12
	v_mov_b32_e32 v39, v15
	v_xor3_b32 v5, v29, v5, v9
	v_mov_b32_e32 v45, v16
	v_xor3_b32 v9, v30, v7, v3
	s_mul_i32 s11, s11, s10
	s_mov_b32 s0, 0
	v_mad_u64_u32 v[2:3], null, 0xcd9e8d57, v5, 0
	s_delay_alu instid0(VALU_DEP_2) | instskip(SKIP_2) | instid1(VALU_DEP_2)
	v_mad_u64_u32 v[7:8], null, 0xd2511f53, v9, 0
	s_lshl_b32 s1, s8, 1
	s_lshl_b32 s11, s11, 2
	v_xor3_b32 v9, v35, v3, v6
	v_mad_u64_u32 v[5:6], null, s15, s10, v[0:1]
	s_delay_alu instid0(VALU_DEP_3) | instskip(SKIP_1) | instid1(VALU_DEP_3)
	v_xor3_b32 v10, v36, v8, v4
	s_add_i32 s15, s15, s14
	v_mad_u64_u32 v[3:4], null, 0xd2511f53, v9, 0
	s_delay_alu instid0(VALU_DEP_2) | instskip(NEXT) | instid1(VALU_DEP_4)
	v_mad_u64_u32 v[8:9], null, 0xcd9e8d57, v10, 0
	v_mul_lo_u32 v41, s12, v5
	s_delay_alu instid0(VALU_DEP_3) | instskip(NEXT) | instid1(VALU_DEP_3)
	v_xor3_b32 v4, v38, v4, v7
	v_xor3_b32 v2, v34, v9, v2
	s_delay_alu instid0(VALU_DEP_2) | instskip(NEXT) | instid1(VALU_DEP_2)
	v_mad_u64_u32 v[6:7], null, 0xcd9e8d57, v4, 0
	v_mad_u64_u32 v[9:10], null, 0xd2511f53, v2, 0
	s_delay_alu instid0(VALU_DEP_2) | instskip(NEXT) | instid1(VALU_DEP_2)
	v_xor3_b32 v4, v37, v7, v8
	v_xor3_b32 v10, v40, v10, v3
	v_mad_u64_u32 v[2:3], null, s15, s10, v[0:1]
	s_delay_alu instid0(VALU_DEP_3) | instskip(NEXT) | instid1(VALU_DEP_3)
	v_mad_u64_u32 v[7:8], null, 0xd2511f53, v4, 0
	v_mad_u64_u32 v[3:4], null, 0xcd9e8d57, v10, 0
	s_mul_i32 s10, s8, 3
	s_delay_alu instid0(VALU_DEP_3) | instskip(SKIP_1) | instid1(VALU_DEP_3)
	v_mul_lo_u32 v43, s12, v2
	s_mov_b32 s12, 0
	v_mov_b32_e32 v5, v7
	s_delay_alu instid0(VALU_DEP_3)
	v_xor3_b32 v2, v4, v6, v32
	v_xor3_b32 v4, v8, v9, v33
	s_branch .LBB82_8
.LBB82_7:                               ;   in Loop: Header=BB82_8 Depth=1
	s_or_b32 exec_lo, exec_lo, s13
	v_add_co_u32 v15, vcc_lo, v15, s9
	v_add_co_ci_u32_e32 v16, vcc_lo, 0, v16, vcc_lo
	v_mov_b32_e32 v9, v17
	v_dual_mov_b32 v2, v6 :: v_dual_mov_b32 v3, v7
	s_delay_alu instid0(VALU_DEP_3) | instskip(NEXT) | instid1(VALU_DEP_3)
	v_cmp_le_i64_e32 vcc_lo, s[2:3], v[15:16]
	v_dual_mov_b32 v4, v8 :: v_dual_mov_b32 v5, v9
	s_add_i32 s12, s12, s11
	s_waitcnt_vscnt null, 0x0
	s_barrier
	s_or_b32 s0, vcc_lo, s0
	buffer_gl0_inv
	s_and_not1_b32 exec_lo, exec_lo, s0
	s_cbranch_execz .LBB82_26
.LBB82_8:                               ; =>This Inner Loop Header: Depth=1
	v_add_co_u32 v19, vcc_lo, v19, 1
	s_delay_alu instid0(VALU_DEP_1) | instskip(SKIP_1) | instid1(VALU_DEP_3)
	v_cndmask_b32_e64 v0, 0, 1, vcc_lo
	v_add_co_ci_u32_e32 v20, vcc_lo, 0, v20, vcc_lo
	v_mad_u64_u32 v[6:7], null, 0xd2511f53, v19, 0
	s_mov_b32 s13, exec_lo
	s_delay_alu instid0(VALU_DEP_2) | instskip(SKIP_1) | instid1(VALU_DEP_1)
	v_cmp_eq_u32_e32 vcc_lo, 0, v20
	v_cndmask_b32_e32 v0, 0, v0, vcc_lo
	v_add_nc_u32_e32 v39, v0, v39
	s_delay_alu instid0(VALU_DEP_1) | instskip(SKIP_2) | instid1(VALU_DEP_2)
	v_cmp_eq_u32_e32 vcc_lo, 0, v39
	v_cndmask_b32_e32 v0, 0, v0, vcc_lo
	v_mad_u64_u32 v[8:9], null, 0xcd9e8d57, v39, 0
	v_add_nc_u32_e32 v45, v0, v45
	v_xor_b32_e32 v0, v7, v14
	s_delay_alu instid0(VALU_DEP_3) | instskip(NEXT) | instid1(VALU_DEP_2)
	v_xor3_b32 v7, v9, v13, v20
	v_xor_b32_e32 v0, v45, v0
	s_delay_alu instid0(VALU_DEP_2) | instskip(NEXT) | instid1(VALU_DEP_2)
	v_mad_u64_u32 v[9:10], null, 0xd2511f53, v7, 0
	v_mad_u64_u32 v[11:12], null, 0xcd9e8d57, v0, 0
	s_delay_alu instid0(VALU_DEP_2) | instskip(NEXT) | instid1(VALU_DEP_2)
	v_xor3_b32 v0, v21, v10, v6
	v_xor3_b32 v8, v22, v12, v8
	s_delay_alu instid0(VALU_DEP_2) | instskip(NEXT) | instid1(VALU_DEP_2)
	v_mad_u64_u32 v[6:7], null, 0xcd9e8d57, v0, 0
	v_mad_u64_u32 v[17:18], null, 0xd2511f53, v8, 0
	s_delay_alu instid0(VALU_DEP_2) | instskip(NEXT) | instid1(VALU_DEP_2)
	v_xor3_b32 v0, v23, v7, v11
	v_xor3_b32 v11, v24, v18, v9
	;; [unrolled: 6-line block ×9, first 2 shown]
	s_delay_alu instid0(VALU_DEP_2)
	v_mov_b32_e32 v8, v12
	v_cmpx_lt_i32_e32 1, v31
	s_xor_b32 s13, exec_lo, s13
	s_cbranch_execnz .LBB82_18
; %bb.9:                                ;   in Loop: Header=BB82_8 Depth=1
	s_and_not1_saveexec_b32 s13, s13
	s_cbranch_execnz .LBB82_23
.LBB82_10:                              ;   in Loop: Header=BB82_8 Depth=1
	s_or_b32 exec_lo, exec_lo, s13
	s_delay_alu instid0(SALU_CYCLE_1)
	s_mov_b32 s13, exec_lo
	v_cmpx_gt_i64_e64 s[4:5], v[15:16]
	s_cbranch_execz .LBB82_12
.LBB82_11:                              ;   in Loop: Header=BB82_8 Depth=1
	v_add_nc_u32_e32 v0, s12, v41
	s_delay_alu instid0(VALU_DEP_1) | instskip(SKIP_2) | instid1(VALU_DEP_3)
	v_ashrrev_i32_e32 v10, 31, v0
	v_add_co_u32 v9, vcc_lo, s6, v0
	v_mov_b32_e32 v0, v2
	v_add_co_ci_u32_e32 v10, vcc_lo, s7, v10, vcc_lo
	global_store_b64 v[9:10], v[0:1], off
.LBB82_12:                              ;   in Loop: Header=BB82_8 Depth=1
	s_or_b32 exec_lo, exec_lo, s13
	v_add_co_u32 v9, vcc_lo, s8, v15
	v_add_co_ci_u32_e32 v10, vcc_lo, 0, v16, vcc_lo
	s_mov_b32 s13, exec_lo
	s_delay_alu instid0(VALU_DEP_1)
	v_cmpx_gt_i64_e64 s[4:5], v[9:10]
	s_cbranch_execz .LBB82_14
; %bb.13:                               ;   in Loop: Header=BB82_8 Depth=1
	v_add_nc_u32_e32 v0, s12, v44
	s_delay_alu instid0(VALU_DEP_1) | instskip(SKIP_2) | instid1(VALU_DEP_3)
	v_ashrrev_i32_e32 v2, 31, v0
	v_add_co_u32 v9, vcc_lo, s6, v0
	v_mov_b32_e32 v0, v3
	v_add_co_ci_u32_e32 v10, vcc_lo, s7, v2, vcc_lo
	global_store_b64 v[9:10], v[0:1], off
.LBB82_14:                              ;   in Loop: Header=BB82_8 Depth=1
	s_or_b32 exec_lo, exec_lo, s13
	v_add_co_u32 v2, vcc_lo, s1, v15
	v_add_co_ci_u32_e32 v3, vcc_lo, 0, v16, vcc_lo
	s_mov_b32 s13, exec_lo
	s_delay_alu instid0(VALU_DEP_1)
	v_cmpx_gt_i64_e64 s[4:5], v[2:3]
	s_cbranch_execz .LBB82_16
; %bb.15:                               ;   in Loop: Header=BB82_8 Depth=1
	v_add_nc_u32_e32 v0, s12, v43
	s_delay_alu instid0(VALU_DEP_1) | instskip(SKIP_2) | instid1(VALU_DEP_3)
	v_ashrrev_i32_e32 v3, 31, v0
	v_add_co_u32 v2, vcc_lo, s6, v0
	v_mov_b32_e32 v0, v4
	v_add_co_ci_u32_e32 v3, vcc_lo, s7, v3, vcc_lo
	global_store_b64 v[2:3], v[0:1], off
.LBB82_16:                              ;   in Loop: Header=BB82_8 Depth=1
	s_or_b32 exec_lo, exec_lo, s13
	v_add_co_u32 v2, vcc_lo, s10, v15
	v_add_co_ci_u32_e32 v3, vcc_lo, 0, v16, vcc_lo
	s_mov_b32 s13, exec_lo
	s_delay_alu instid0(VALU_DEP_1)
	v_cmpx_gt_i64_e64 s[4:5], v[2:3]
	s_cbranch_execz .LBB82_7
; %bb.17:                               ;   in Loop: Header=BB82_8 Depth=1
	v_add_nc_u32_e32 v0, s12, v42
	s_delay_alu instid0(VALU_DEP_1) | instskip(SKIP_2) | instid1(VALU_DEP_3)
	v_ashrrev_i32_e32 v3, 31, v0
	v_add_co_u32 v2, vcc_lo, s6, v0
	v_mov_b32_e32 v0, v5
	v_add_co_ci_u32_e32 v3, vcc_lo, s7, v3, vcc_lo
	global_store_b64 v[2:3], v[0:1], off
	s_branch .LBB82_7
.LBB82_18:                              ;   in Loop: Header=BB82_8 Depth=1
	s_mov_b32 s14, exec_lo
	v_cmpx_lt_i32_e32 2, v31
	s_xor_b32 s14, exec_lo, s14
; %bb.19:                               ;   in Loop: Header=BB82_8 Depth=1
	v_dual_mov_b32 v9, v5 :: v_dual_mov_b32 v10, v6
	v_mov_b32_e32 v11, v7
	s_delay_alu instid0(VALU_DEP_2) | instskip(NEXT) | instid1(VALU_DEP_2)
	v_dual_mov_b32 v2, v9 :: v_dual_mov_b32 v3, v10
	v_dual_mov_b32 v4, v11 :: v_dual_mov_b32 v5, v12
; %bb.20:                               ;   in Loop: Header=BB82_8 Depth=1
	s_and_not1_saveexec_b32 s14, s14
; %bb.21:                               ;   in Loop: Header=BB82_8 Depth=1
	s_delay_alu instid0(VALU_DEP_1)
	v_dual_mov_b32 v2, v4 :: v_dual_mov_b32 v3, v5
	v_dual_mov_b32 v4, v6 :: v_dual_mov_b32 v5, v7
; %bb.22:                               ;   in Loop: Header=BB82_8 Depth=1
	s_or_b32 exec_lo, exec_lo, s14
	s_and_not1_saveexec_b32 s13, s13
	s_cbranch_execz .LBB82_10
.LBB82_23:                              ;   in Loop: Header=BB82_8 Depth=1
	s_mov_b32 s14, exec_lo
	v_cmpx_eq_u32_e32 1, v31
; %bb.24:                               ;   in Loop: Header=BB82_8 Depth=1
	v_dual_mov_b32 v2, v3 :: v_dual_mov_b32 v3, v4
	v_dual_mov_b32 v4, v5 :: v_dual_mov_b32 v5, v6
; %bb.25:                               ;   in Loop: Header=BB82_8 Depth=1
	s_or_b32 exec_lo, exec_lo, s14
	s_delay_alu instid0(SALU_CYCLE_1) | instskip(NEXT) | instid1(SALU_CYCLE_1)
	s_or_b32 exec_lo, exec_lo, s13
	s_mov_b32 s13, exec_lo
	v_cmpx_gt_i64_e64 s[4:5], v[15:16]
	s_cbranch_execnz .LBB82_11
	s_branch .LBB82_12
.LBB82_26:
	s_endpgm
.LBB82_27:
                                        ; implicit-def: $sgpr2_sgpr3
	s_branch .LBB82_4
	.section	.rodata,"a",@progbits
	.p2align	6, 0x0
	.amdhsa_kernel _ZN2at6native12_GLOBAL__N_143distribution_elementwise_grid_stride_kernelIjLi4EZZZNS0_9templates4cuda13random_kernelIPNS_17CUDAGeneratorImplEEEvRNS_18TensorIteratorBaseET_ENKUlvE_clEvENKUlvE2_clEvEUlP25hiprandStatePhilox4_32_10E0_ZNS1_27distribution_nullary_kernelIlj15HIP_vector_typeIjLj4EES7_SF_ZZZNS5_IS7_EEvS9_SA_ENKSB_clEvENKSC_clEvEUljE_EEvS9_T2_RKT3_T4_EUlijE_EEvlNS_15PhiloxCudaStateET1_SK_
		.amdhsa_group_segment_fixed_size 0
		.amdhsa_private_segment_fixed_size 0
		.amdhsa_kernarg_size 320
		.amdhsa_user_sgpr_count 15
		.amdhsa_user_sgpr_dispatch_ptr 0
		.amdhsa_user_sgpr_queue_ptr 0
		.amdhsa_user_sgpr_kernarg_segment_ptr 1
		.amdhsa_user_sgpr_dispatch_id 0
		.amdhsa_user_sgpr_private_segment_size 0
		.amdhsa_wavefront_size32 1
		.amdhsa_uses_dynamic_stack 0
		.amdhsa_enable_private_segment 0
		.amdhsa_system_sgpr_workgroup_id_x 1
		.amdhsa_system_sgpr_workgroup_id_y 0
		.amdhsa_system_sgpr_workgroup_id_z 0
		.amdhsa_system_sgpr_workgroup_info 0
		.amdhsa_system_vgpr_workitem_id 0
		.amdhsa_next_free_vgpr 46
		.amdhsa_next_free_sgpr 23
		.amdhsa_reserve_vcc 1
		.amdhsa_float_round_mode_32 0
		.amdhsa_float_round_mode_16_64 0
		.amdhsa_float_denorm_mode_32 3
		.amdhsa_float_denorm_mode_16_64 3
		.amdhsa_dx10_clamp 1
		.amdhsa_ieee_mode 1
		.amdhsa_fp16_overflow 0
		.amdhsa_workgroup_processor_mode 1
		.amdhsa_memory_ordered 1
		.amdhsa_forward_progress 0
		.amdhsa_shared_vgpr_count 0
		.amdhsa_exception_fp_ieee_invalid_op 0
		.amdhsa_exception_fp_denorm_src 0
		.amdhsa_exception_fp_ieee_div_zero 0
		.amdhsa_exception_fp_ieee_overflow 0
		.amdhsa_exception_fp_ieee_underflow 0
		.amdhsa_exception_fp_ieee_inexact 0
		.amdhsa_exception_int_div_zero 0
	.end_amdhsa_kernel
	.section	.text._ZN2at6native12_GLOBAL__N_143distribution_elementwise_grid_stride_kernelIjLi4EZZZNS0_9templates4cuda13random_kernelIPNS_17CUDAGeneratorImplEEEvRNS_18TensorIteratorBaseET_ENKUlvE_clEvENKUlvE2_clEvEUlP25hiprandStatePhilox4_32_10E0_ZNS1_27distribution_nullary_kernelIlj15HIP_vector_typeIjLj4EES7_SF_ZZZNS5_IS7_EEvS9_SA_ENKSB_clEvENKSC_clEvEUljE_EEvS9_T2_RKT3_T4_EUlijE_EEvlNS_15PhiloxCudaStateET1_SK_,"axG",@progbits,_ZN2at6native12_GLOBAL__N_143distribution_elementwise_grid_stride_kernelIjLi4EZZZNS0_9templates4cuda13random_kernelIPNS_17CUDAGeneratorImplEEEvRNS_18TensorIteratorBaseET_ENKUlvE_clEvENKUlvE2_clEvEUlP25hiprandStatePhilox4_32_10E0_ZNS1_27distribution_nullary_kernelIlj15HIP_vector_typeIjLj4EES7_SF_ZZZNS5_IS7_EEvS9_SA_ENKSB_clEvENKSC_clEvEUljE_EEvS9_T2_RKT3_T4_EUlijE_EEvlNS_15PhiloxCudaStateET1_SK_,comdat
.Lfunc_end82:
	.size	_ZN2at6native12_GLOBAL__N_143distribution_elementwise_grid_stride_kernelIjLi4EZZZNS0_9templates4cuda13random_kernelIPNS_17CUDAGeneratorImplEEEvRNS_18TensorIteratorBaseET_ENKUlvE_clEvENKUlvE2_clEvEUlP25hiprandStatePhilox4_32_10E0_ZNS1_27distribution_nullary_kernelIlj15HIP_vector_typeIjLj4EES7_SF_ZZZNS5_IS7_EEvS9_SA_ENKSB_clEvENKSC_clEvEUljE_EEvS9_T2_RKT3_T4_EUlijE_EEvlNS_15PhiloxCudaStateET1_SK_, .Lfunc_end82-_ZN2at6native12_GLOBAL__N_143distribution_elementwise_grid_stride_kernelIjLi4EZZZNS0_9templates4cuda13random_kernelIPNS_17CUDAGeneratorImplEEEvRNS_18TensorIteratorBaseET_ENKUlvE_clEvENKUlvE2_clEvEUlP25hiprandStatePhilox4_32_10E0_ZNS1_27distribution_nullary_kernelIlj15HIP_vector_typeIjLj4EES7_SF_ZZZNS5_IS7_EEvS9_SA_ENKSB_clEvENKSC_clEvEUljE_EEvS9_T2_RKT3_T4_EUlijE_EEvlNS_15PhiloxCudaStateET1_SK_
                                        ; -- End function
	.section	.AMDGPU.csdata,"",@progbits
; Kernel info:
; codeLenInByte = 2824
; NumSgprs: 25
; NumVgprs: 46
; ScratchSize: 0
; MemoryBound: 0
; FloatMode: 240
; IeeeMode: 1
; LDSByteSize: 0 bytes/workgroup (compile time only)
; SGPRBlocks: 3
; VGPRBlocks: 5
; NumSGPRsForWavesPerEU: 25
; NumVGPRsForWavesPerEU: 46
; Occupancy: 16
; WaveLimiterHint : 0
; COMPUTE_PGM_RSRC2:SCRATCH_EN: 0
; COMPUTE_PGM_RSRC2:USER_SGPR: 15
; COMPUTE_PGM_RSRC2:TRAP_HANDLER: 0
; COMPUTE_PGM_RSRC2:TGID_X_EN: 1
; COMPUTE_PGM_RSRC2:TGID_Y_EN: 0
; COMPUTE_PGM_RSRC2:TGID_Z_EN: 0
; COMPUTE_PGM_RSRC2:TIDIG_COMP_CNT: 0
	.section	.text._ZN2at6native12_GLOBAL__N_143distribution_elementwise_grid_stride_kernelIjLi4EZZZNS0_9templates4cuda13random_kernelIPNS_17CUDAGeneratorImplEEEvRNS_18TensorIteratorBaseET_ENKUlvE_clEvENKUlvE2_clEvEUlP25hiprandStatePhilox4_32_10E0_ZNS1_27distribution_nullary_kernelIlj15HIP_vector_typeIjLj4EES7_SF_ZZZNS5_IS7_EEvS9_SA_ENKSB_clEvENKSC_clEvEUljE_EEvS9_T2_RKT3_T4_EUlijE0_EEvlNS_15PhiloxCudaStateET1_SK_,"axG",@progbits,_ZN2at6native12_GLOBAL__N_143distribution_elementwise_grid_stride_kernelIjLi4EZZZNS0_9templates4cuda13random_kernelIPNS_17CUDAGeneratorImplEEEvRNS_18TensorIteratorBaseET_ENKUlvE_clEvENKUlvE2_clEvEUlP25hiprandStatePhilox4_32_10E0_ZNS1_27distribution_nullary_kernelIlj15HIP_vector_typeIjLj4EES7_SF_ZZZNS5_IS7_EEvS9_SA_ENKSB_clEvENKSC_clEvEUljE_EEvS9_T2_RKT3_T4_EUlijE0_EEvlNS_15PhiloxCudaStateET1_SK_,comdat
	.globl	_ZN2at6native12_GLOBAL__N_143distribution_elementwise_grid_stride_kernelIjLi4EZZZNS0_9templates4cuda13random_kernelIPNS_17CUDAGeneratorImplEEEvRNS_18TensorIteratorBaseET_ENKUlvE_clEvENKUlvE2_clEvEUlP25hiprandStatePhilox4_32_10E0_ZNS1_27distribution_nullary_kernelIlj15HIP_vector_typeIjLj4EES7_SF_ZZZNS5_IS7_EEvS9_SA_ENKSB_clEvENKSC_clEvEUljE_EEvS9_T2_RKT3_T4_EUlijE0_EEvlNS_15PhiloxCudaStateET1_SK_ ; -- Begin function _ZN2at6native12_GLOBAL__N_143distribution_elementwise_grid_stride_kernelIjLi4EZZZNS0_9templates4cuda13random_kernelIPNS_17CUDAGeneratorImplEEEvRNS_18TensorIteratorBaseET_ENKUlvE_clEvENKUlvE2_clEvEUlP25hiprandStatePhilox4_32_10E0_ZNS1_27distribution_nullary_kernelIlj15HIP_vector_typeIjLj4EES7_SF_ZZZNS5_IS7_EEvS9_SA_ENKSB_clEvENKSC_clEvEUljE_EEvS9_T2_RKT3_T4_EUlijE0_EEvlNS_15PhiloxCudaStateET1_SK_
	.p2align	8
	.type	_ZN2at6native12_GLOBAL__N_143distribution_elementwise_grid_stride_kernelIjLi4EZZZNS0_9templates4cuda13random_kernelIPNS_17CUDAGeneratorImplEEEvRNS_18TensorIteratorBaseET_ENKUlvE_clEvENKUlvE2_clEvEUlP25hiprandStatePhilox4_32_10E0_ZNS1_27distribution_nullary_kernelIlj15HIP_vector_typeIjLj4EES7_SF_ZZZNS5_IS7_EEvS9_SA_ENKSB_clEvENKSC_clEvEUljE_EEvS9_T2_RKT3_T4_EUlijE0_EEvlNS_15PhiloxCudaStateET1_SK_,@function
_ZN2at6native12_GLOBAL__N_143distribution_elementwise_grid_stride_kernelIjLi4EZZZNS0_9templates4cuda13random_kernelIPNS_17CUDAGeneratorImplEEEvRNS_18TensorIteratorBaseET_ENKUlvE_clEvENKUlvE2_clEvEUlP25hiprandStatePhilox4_32_10E0_ZNS1_27distribution_nullary_kernelIlj15HIP_vector_typeIjLj4EES7_SF_ZZZNS5_IS7_EEvS9_SA_ENKSB_clEvENKSC_clEvEUljE_EEvS9_T2_RKT3_T4_EUlijE0_EEvlNS_15PhiloxCudaStateET1_SK_: ; @_ZN2at6native12_GLOBAL__N_143distribution_elementwise_grid_stride_kernelIjLi4EZZZNS0_9templates4cuda13random_kernelIPNS_17CUDAGeneratorImplEEEvRNS_18TensorIteratorBaseET_ENKUlvE_clEvENKUlvE2_clEvEUlP25hiprandStatePhilox4_32_10E0_ZNS1_27distribution_nullary_kernelIlj15HIP_vector_typeIjLj4EES7_SF_ZZZNS5_IS7_EEvS9_SA_ENKSB_clEvENKSC_clEvEUljE_EEvS9_T2_RKT3_T4_EUlijE0_EEvlNS_15PhiloxCudaStateET1_SK_
; %bb.0:
	s_clause 0x2
	s_load_b64 s[4:5], s[0:1], 0x10
	s_load_b128 s[16:19], s[0:1], 0x0
	s_load_b32 s2, s[0:1], 0x20
	s_waitcnt lgkmcnt(0)
	v_dual_mov_b32 v2, s4 :: v_dual_mov_b32 v3, s5
	v_dual_mov_b32 v13, s18 :: v_dual_mov_b32 v14, s19
	s_bitcmp0_b32 s2, 0
	s_mov_b32 s2, 0
	s_cbranch_scc1 .LBB83_2
; %bb.1:
	v_dual_mov_b32 v1, s4 :: v_dual_mov_b32 v2, s5
	v_dual_mov_b32 v4, s18 :: v_dual_mov_b32 v5, s19
	s_load_b64 s[4:5], s[0:1], 0x18
	flat_load_b64 v[2:3], v[1:2]
	flat_load_b64 v[13:14], v[4:5]
	s_waitcnt vmcnt(1) lgkmcnt(0)
	v_add_co_u32 v2, vcc_lo, v2, s4
	v_add_co_ci_u32_e32 v3, vcc_lo, s5, v3, vcc_lo
.LBB83_2:
	s_clause 0x1
	s_load_b32 s3, s[0:1], 0x154
	s_load_b32 s4, s[0:1], 0x148
	s_waitcnt lgkmcnt(0)
	s_and_b32 s5, s3, 0xffff
	s_add_u32 s6, s16, -1
	s_mul_i32 s24, s4, s5
	s_addc_u32 s3, s17, -1
	s_lshl_b32 s25, s24, 2
	s_cmp_lg_u64 s[2:3], 0
	s_cbranch_scc0 .LBB83_79
; %bb.3:
	v_cvt_f32_ubyte0_e32 v1, 0
	v_cvt_f32_u32_e32 v4, s25
	s_sub_u32 s8, 0, s25
	s_subb_u32 s9, 0, 0
	s_delay_alu instid0(VALU_DEP_1) | instskip(NEXT) | instid1(VALU_DEP_1)
	v_fmamk_f32 v1, v1, 0x4f800000, v4
	v_rcp_f32_e32 v1, v1
	s_waitcnt_depctr 0xfff
	v_mul_f32_e32 v1, 0x5f7ffffc, v1
	s_delay_alu instid0(VALU_DEP_1) | instskip(NEXT) | instid1(VALU_DEP_1)
	v_mul_f32_e32 v4, 0x2f800000, v1
	v_trunc_f32_e32 v4, v4
	s_delay_alu instid0(VALU_DEP_1) | instskip(SKIP_1) | instid1(VALU_DEP_2)
	v_fmamk_f32 v1, v4, 0xcf800000, v1
	v_cvt_u32_f32_e32 v4, v4
	v_cvt_u32_f32_e32 v1, v1
	s_delay_alu instid0(VALU_DEP_2) | instskip(NEXT) | instid1(VALU_DEP_2)
	v_readfirstlane_b32 s2, v4
	v_readfirstlane_b32 s7, v1
	s_delay_alu instid0(VALU_DEP_2) | instskip(NEXT) | instid1(VALU_DEP_1)
	s_mul_i32 s10, s8, s2
	s_mul_hi_u32 s12, s8, s7
	s_mul_i32 s11, s9, s7
	s_add_i32 s10, s12, s10
	s_mul_i32 s13, s8, s7
	s_add_i32 s10, s10, s11
	s_mul_hi_u32 s12, s7, s13
	s_mul_hi_u32 s14, s2, s13
	s_mul_i32 s11, s2, s13
	s_mul_hi_u32 s13, s7, s10
	s_mul_i32 s7, s7, s10
	s_mul_hi_u32 s18, s2, s10
	s_add_u32 s7, s12, s7
	s_addc_u32 s12, 0, s13
	s_add_u32 s7, s7, s11
	s_mul_i32 s10, s2, s10
	s_addc_u32 s7, s12, s14
	s_addc_u32 s11, s18, 0
	s_add_u32 s7, s7, s10
	s_addc_u32 s10, 0, s11
	v_add_co_u32 v1, s7, v1, s7
	s_delay_alu instid0(VALU_DEP_1) | instskip(SKIP_1) | instid1(VALU_DEP_1)
	s_cmp_lg_u32 s7, 0
	s_addc_u32 s2, s2, s10
	v_readfirstlane_b32 s7, v1
	s_mul_i32 s10, s8, s2
	s_delay_alu instid0(VALU_DEP_1)
	s_mul_hi_u32 s11, s8, s7
	s_mul_i32 s9, s9, s7
	s_add_i32 s10, s11, s10
	s_mul_i32 s8, s8, s7
	s_add_i32 s10, s10, s9
	s_mul_hi_u32 s11, s2, s8
	s_mul_i32 s12, s2, s8
	s_mul_hi_u32 s8, s7, s8
	s_mul_hi_u32 s13, s7, s10
	s_mul_i32 s7, s7, s10
	s_mul_hi_u32 s9, s2, s10
	s_add_u32 s7, s8, s7
	s_addc_u32 s8, 0, s13
	s_add_u32 s7, s7, s12
	s_mul_i32 s10, s2, s10
	s_addc_u32 s7, s8, s11
	s_addc_u32 s8, s9, 0
	s_add_u32 s7, s7, s10
	s_addc_u32 s8, 0, s8
	v_add_co_u32 v1, s7, v1, s7
	s_delay_alu instid0(VALU_DEP_1) | instskip(SKIP_2) | instid1(VALU_DEP_1)
	s_cmp_lg_u32 s7, 0
	s_addc_u32 s7, s2, s8
	s_ashr_i32 s8, s3, 31
	v_readfirstlane_b32 s10, v1
	s_add_u32 s2, s6, s8
	s_mov_b32 s9, s8
	s_addc_u32 s3, s3, s8
	s_delay_alu instid0(SALU_CYCLE_1) | instskip(NEXT) | instid1(SALU_CYCLE_1)
	s_xor_b64 s[2:3], s[2:3], s[8:9]
	s_mul_i32 s12, s2, s7
	s_mul_hi_u32 s13, s2, s10
	s_mul_hi_u32 s11, s2, s7
	;; [unrolled: 1-line block ×3, first 2 shown]
	s_mul_i32 s10, s3, s10
	s_add_u32 s12, s13, s12
	s_addc_u32 s11, 0, s11
	s_mul_hi_u32 s14, s3, s7
	s_add_u32 s10, s12, s10
	s_mul_i32 s7, s3, s7
	s_addc_u32 s10, s11, s18
	s_addc_u32 s11, s14, 0
	s_add_u32 s7, s10, s7
	s_addc_u32 s10, 0, s11
	s_mul_i32 s12, s25, s7
	s_add_u32 s11, s7, 1
	v_sub_co_u32 v1, s2, s2, s12
	s_mul_hi_u32 s12, s25, s7
	s_addc_u32 s13, s10, 0
	s_mul_i32 s14, s25, s10
	s_delay_alu instid0(VALU_DEP_1)
	v_sub_co_u32 v4, s18, v1, s25
	s_add_u32 s19, s7, 2
	s_addc_u32 s20, s10, 0
	s_add_i32 s12, s12, s14
	s_cmp_lg_u32 s2, 0
	v_readfirstlane_b32 s2, v4
	s_subb_u32 s3, s3, s12
	s_cmp_lg_u32 s18, 0
	s_subb_u32 s12, s3, 0
	s_delay_alu instid0(VALU_DEP_1) | instskip(SKIP_4) | instid1(SALU_CYCLE_1)
	s_cmp_ge_u32 s2, s25
	s_cselect_b32 s2, -1, 0
	s_cmp_eq_u32 s12, 0
	v_readfirstlane_b32 s12, v1
	s_cselect_b32 s2, s2, -1
	s_cmp_lg_u32 s2, 0
	s_cselect_b32 s2, s19, s11
	s_cselect_b32 s11, s20, s13
	s_cmp_ge_u32 s12, s25
	s_cselect_b32 s12, -1, 0
	s_cmp_eq_u32 s3, 0
	s_cselect_b32 s3, s12, -1
	s_delay_alu instid0(SALU_CYCLE_1) | instskip(SKIP_2) | instid1(SALU_CYCLE_1)
	s_cmp_lg_u32 s3, 0
	s_cselect_b32 s3, s11, s10
	s_cselect_b32 s2, s2, s7
	s_xor_b64 s[2:3], s[2:3], s[8:9]
	s_delay_alu instid0(SALU_CYCLE_1)
	s_sub_u32 s2, s2, s8
	s_subb_u32 s3, s3, s8
	s_cbranch_execnz .LBB83_5
.LBB83_4:
	v_cvt_f32_u32_e32 v1, s25
	s_sub_i32 s3, 0, s25
	s_delay_alu instid0(VALU_DEP_1) | instskip(SKIP_2) | instid1(VALU_DEP_1)
	v_rcp_iflag_f32_e32 v1, v1
	s_waitcnt_depctr 0xfff
	v_mul_f32_e32 v1, 0x4f7ffffe, v1
	v_cvt_u32_f32_e32 v1, v1
	s_delay_alu instid0(VALU_DEP_1) | instskip(NEXT) | instid1(VALU_DEP_1)
	v_readfirstlane_b32 s2, v1
	s_mul_i32 s3, s3, s2
	s_delay_alu instid0(SALU_CYCLE_1) | instskip(NEXT) | instid1(SALU_CYCLE_1)
	s_mul_hi_u32 s3, s2, s3
	s_add_i32 s2, s2, s3
	s_delay_alu instid0(SALU_CYCLE_1) | instskip(NEXT) | instid1(SALU_CYCLE_1)
	s_mul_hi_u32 s2, s6, s2
	s_mul_i32 s3, s2, s25
	s_delay_alu instid0(SALU_CYCLE_1)
	s_sub_i32 s3, s6, s3
	s_add_i32 s6, s2, 1
	s_sub_i32 s7, s3, s25
	s_cmp_ge_u32 s3, s25
	s_cselect_b32 s2, s6, s2
	s_cselect_b32 s3, s7, s3
	s_add_i32 s6, s2, 1
	s_cmp_ge_u32 s3, s25
	s_mov_b32 s3, 0
	s_cselect_b32 s2, s6, s2
.LBB83_5:
	v_mov_b32_e32 v1, 0
	s_add_u32 s2, s2, 1
	s_addc_u32 s3, s3, 0
	s_mul_hi_u32 s6, s24, s2
	s_mul_i32 s3, s24, s3
	v_mad_u64_u32 v[15:16], null, s5, s15, v[0:1]
	s_mul_hi_u32 s4, s4, s5
	s_add_i32 s3, s6, s3
	s_mul_i32 s4, s4, s2
	s_mul_i32 s2, s24, s2
	s_add_i32 s3, s3, s4
	s_mov_b32 s4, exec_lo
	s_lshl_b64 s[2:3], s[2:3], 2
	s_delay_alu instid0(SALU_CYCLE_1)
	v_cmpx_gt_i64_e64 s[2:3], v[15:16]
	s_cbranch_execz .LBB83_78
; %bb.6:
	v_alignbit_b32 v19, v3, v2, 2
	v_mad_u64_u32 v[6:7], null, 0xcd9e8d57, v15, 0
	v_lshrrev_b32_e32 v20, 2, v3
	s_waitcnt vmcnt(0)
	v_dual_mov_b32 v11, v14 :: v_dual_and_b32 v28, 3, v2
	v_mad_u64_u32 v[4:5], null, 0xd2511f53, v19, 0
	v_add_co_u32 v22, null, 0x9e3779b9, v13
	v_xor3_b32 v3, v13, v7, v20
	s_delay_alu instid0(VALU_DEP_4) | instskip(SKIP_2) | instid1(VALU_DEP_4)
	v_add_co_u32 v21, null, 0xbb67ae85, v11
	v_add_co_u32 v23, null, 0x3c6ef372, v13
	v_xor_b32_e32 v0, v5, v14
	v_mad_u64_u32 v[7:8], null, 0xd2511f53, v3, 0
	v_add_co_u32 v24, null, 0x76cf5d0a, v11
	s_delay_alu instid0(VALU_DEP_3) | instskip(SKIP_2) | instid1(VALU_DEP_3)
	v_xor_b32_e32 v0, v0, v16
	v_add_co_u32 v25, null, 0x32370b8f, v11
	v_add_co_u32 v26, null, 0xdaa66d2b, v13
	v_mad_u64_u32 v[9:10], null, 0xcd9e8d57, v0, 0
	v_xor3_b32 v0, v21, v8, v4
	v_add_co_u32 v27, null, 0x78dde6e4, v13
	v_add_co_u32 v29, null, 0xed9eba14, v11
	s_delay_alu instid0(VALU_DEP_3) | instskip(SKIP_3) | instid1(VALU_DEP_3)
	v_mad_u64_u32 v[3:4], null, 0xcd9e8d57, v0, 0
	v_xor3_b32 v8, v22, v10, v6
	v_add_co_u32 v32, null, 0xa9066899, v11
	v_add_co_u32 v33, null, 0x1715609d, v13
	v_mad_u64_u32 v[5:6], null, 0xd2511f53, v8, 0
	v_xor3_b32 v0, v23, v4, v9
	v_add_co_u32 v35, null, 0xb54cda56, v13
	v_add_co_u32 v37, null, 0x646e171e, v11
	s_load_b256 s[4:11], s[0:1], 0x30
	s_delay_alu instid0(VALU_DEP_4) | instskip(SKIP_2) | instid1(VALU_DEP_3)
	v_xor3_b32 v4, v24, v6, v7
	v_mad_u64_u32 v[6:7], null, 0xd2511f53, v0, 0
	v_add_co_u32 v34, null, 0x5384540f, v13
	v_mad_u64_u32 v[8:9], null, 0xcd9e8d57, v4, 0
	v_add_co_u32 v39, null, 0x1fd5c5a3, v11
	s_delay_alu instid0(VALU_DEP_4) | instskip(SKIP_3) | instid1(VALU_DEP_4)
	v_xor3_b32 v0, v25, v7, v5
	v_add_co_u32 v36, null, 0xf1bbcdc8, v13
	v_add_co_u32 v40, null, 0xdb3d7428, v11
	v_xor3_b32 v5, v26, v9, v3
	v_mad_u64_u32 v[3:4], null, 0xcd9e8d57, v0, 0
	s_add_u32 s12, s0, 48
	s_clause 0x1
	s_load_b64 s[14:15], s[0:1], 0xf4
	s_load_b64 s[18:19], s[0:1], 0x138
	v_mad_u64_u32 v[9:10], null, 0xd2511f53, v5, 0
	s_addc_u32 s13, s1, 0
	s_waitcnt lgkmcnt(0)
	s_add_i32 s20, s4, -1
	v_xor3_b32 v0, v27, v4, v8
	s_cmp_gt_u32 s20, 1
	v_dual_mov_b32 v38, v15 :: v_dual_add_nc_u32 v31, 0x96a522ad, v14
	s_delay_alu instid0(VALU_DEP_3) | instskip(NEXT) | instid1(VALU_DEP_3)
	v_xor3_b32 v2, v29, v10, v6
	v_mad_u64_u32 v[4:5], null, 0xd2511f53, v0, 0
	s_cselect_b32 s11, -1, 0
	s_cmp_lg_u32 s4, 0
	s_delay_alu instid0(VALU_DEP_2) | instskip(SKIP_2) | instid1(VALU_DEP_2)
	v_mad_u64_u32 v[6:7], null, 0xcd9e8d57, v2, 0
	s_cselect_b32 s27, -1, 0
	s_add_u32 s0, s0, 0xf4
	v_xor3_b32 v0, v32, v5, v9
	s_addc_u32 s1, s1, 0
	s_min_u32 s21, s20, 15
	s_cmp_gt_u32 s4, 1
	s_delay_alu instid0(VALU_DEP_2) | instskip(SKIP_3) | instid1(VALU_DEP_2)
	v_xor3_b32 v5, v33, v7, v3
	v_mad_u64_u32 v[2:3], null, 0xcd9e8d57, v0, 0
	s_cselect_b32 s4, -1, 0
	s_add_i32 s21, s21, 1
	v_mad_u64_u32 v[7:8], null, 0xd2511f53, v5, 0
	s_lshl_b32 s28, s24, 1
	s_and_b32 s29, s21, 3
	s_delay_alu instid0(VALU_DEP_2) | instskip(SKIP_3) | instid1(VALU_DEP_3)
	v_xor3_b32 v0, v35, v3, v6
	s_cmp_lg_u32 s20, 2
	v_mov_b32_e32 v41, v16
	s_cselect_b32 s30, -1, 0
	v_xor3_b32 v8, v37, v8, v4
	v_mad_u64_u32 v[3:4], null, 0xd2511f53, v0, 0
	s_and_b32 s31, s21, 28
	s_cmp_lg_u32 s29, 0
	s_delay_alu instid0(VALU_DEP_2) | instskip(SKIP_2) | instid1(VALU_DEP_2)
	v_mad_u64_u32 v[5:6], null, 0xcd9e8d57, v8, 0
	s_mov_b32 s26, 0
	s_mul_i32 s33, s24, 3
	v_xor3_b32 v0, v39, v4, v7
	s_cselect_b32 s34, -1, 0
	s_delay_alu instid0(VALU_DEP_2) | instskip(NEXT) | instid1(VALU_DEP_2)
	v_xor3_b32 v2, v34, v6, v2
	v_mad_u64_u32 v[6:7], null, 0xcd9e8d57, v0, 0
	s_delay_alu instid0(VALU_DEP_2) | instskip(NEXT) | instid1(VALU_DEP_2)
	v_mad_u64_u32 v[8:9], null, 0xd2511f53, v2, 0
	v_xor3_b32 v0, v36, v7, v5
	s_delay_alu instid0(VALU_DEP_2) | instskip(NEXT) | instid1(VALU_DEP_2)
	v_xor3_b32 v2, v40, v9, v3
	v_mad_u64_u32 v[9:10], null, 0xd2511f53, v0, 0
	v_add_nc_u32_e32 v30, 0x8ff34781, v13
	s_delay_alu instid0(VALU_DEP_3) | instskip(NEXT) | instid1(VALU_DEP_3)
	v_mad_u64_u32 v[3:4], null, 0xcd9e8d57, v2, 0
	v_mov_b32_e32 v5, v9
	s_delay_alu instid0(VALU_DEP_2)
	v_xor3_b32 v2, v4, v6, v30
	v_xor3_b32 v4, v10, v8, v31
	s_branch .LBB83_9
.LBB83_7:                               ;   in Loop: Header=BB83_9 Depth=1
	v_mov_b32_e32 v0, v5
	global_store_b64 v3, v[0:1], s[18:19]
.LBB83_8:                               ;   in Loop: Header=BB83_9 Depth=1
	s_or_b32 exec_lo, exec_lo, s35
	v_add_co_u32 v15, vcc_lo, v15, s25
	v_add_co_ci_u32_e32 v16, vcc_lo, 0, v16, vcc_lo
	v_mov_b32_e32 v9, v17
	v_dual_mov_b32 v2, v6 :: v_dual_mov_b32 v3, v7
	s_delay_alu instid0(VALU_DEP_3) | instskip(NEXT) | instid1(VALU_DEP_3)
	v_cmp_le_i64_e32 vcc_lo, s[2:3], v[15:16]
	v_dual_mov_b32 v4, v8 :: v_dual_mov_b32 v5, v9
	s_waitcnt_vscnt null, 0x0
	s_barrier
	buffer_gl0_inv
	s_or_b32 s26, vcc_lo, s26
	s_delay_alu instid0(SALU_CYCLE_1)
	s_and_not1_b32 exec_lo, exec_lo, s26
	s_cbranch_execz .LBB83_78
.LBB83_9:                               ; =>This Loop Header: Depth=1
                                        ;     Child Loop BB83_24 Depth 2
                                        ;     Child Loop BB83_29 Depth 2
	;; [unrolled: 1-line block ×8, first 2 shown]
	v_add_co_u32 v19, vcc_lo, v19, 1
	s_delay_alu instid0(VALU_DEP_1) | instskip(SKIP_1) | instid1(VALU_DEP_3)
	v_cndmask_b32_e64 v0, 0, 1, vcc_lo
	v_add_co_ci_u32_e32 v20, vcc_lo, 0, v20, vcc_lo
	v_mad_u64_u32 v[6:7], null, 0xd2511f53, v19, 0
	s_mov_b32 s20, exec_lo
	s_delay_alu instid0(VALU_DEP_2) | instskip(SKIP_1) | instid1(VALU_DEP_1)
	v_cmp_eq_u32_e32 vcc_lo, 0, v20
	v_cndmask_b32_e32 v0, 0, v0, vcc_lo
	v_add_nc_u32_e32 v38, v0, v38
	s_delay_alu instid0(VALU_DEP_1) | instskip(SKIP_2) | instid1(VALU_DEP_1)
	v_cmp_eq_u32_e32 vcc_lo, 0, v38
	v_mad_u64_u32 v[8:9], null, 0xcd9e8d57, v38, 0
	v_cndmask_b32_e32 v0, 0, v0, vcc_lo
	v_add_nc_u32_e32 v41, v0, v41
	v_xor_b32_e32 v0, v7, v14
	s_delay_alu instid0(VALU_DEP_4) | instskip(NEXT) | instid1(VALU_DEP_2)
	v_xor3_b32 v7, v9, v13, v20
	v_xor_b32_e32 v0, v41, v0
	s_delay_alu instid0(VALU_DEP_2) | instskip(NEXT) | instid1(VALU_DEP_2)
	v_mad_u64_u32 v[9:10], null, 0xd2511f53, v7, 0
	v_mad_u64_u32 v[11:12], null, 0xcd9e8d57, v0, 0
	s_delay_alu instid0(VALU_DEP_2) | instskip(NEXT) | instid1(VALU_DEP_2)
	v_xor3_b32 v0, v21, v10, v6
	v_xor3_b32 v8, v22, v12, v8
	s_delay_alu instid0(VALU_DEP_2) | instskip(NEXT) | instid1(VALU_DEP_2)
	v_mad_u64_u32 v[6:7], null, 0xcd9e8d57, v0, 0
	v_mad_u64_u32 v[17:18], null, 0xd2511f53, v8, 0
	s_delay_alu instid0(VALU_DEP_2) | instskip(NEXT) | instid1(VALU_DEP_2)
	v_xor3_b32 v0, v23, v7, v11
	v_xor3_b32 v11, v24, v18, v9
	;; [unrolled: 6-line block ×9, first 2 shown]
	s_delay_alu instid0(VALU_DEP_2)
	v_mov_b32_e32 v8, v12
	v_cmpx_lt_i32_e32 1, v28
	s_xor_b32 s20, exec_lo, s20
	s_cbranch_execnz .LBB83_12
; %bb.10:                               ;   in Loop: Header=BB83_9 Depth=1
	s_and_not1_saveexec_b32 s20, s20
	s_cbranch_execnz .LBB83_17
.LBB83_11:                              ;   in Loop: Header=BB83_9 Depth=1
	s_or_b32 exec_lo, exec_lo, s20
	s_delay_alu instid0(SALU_CYCLE_1)
	s_mov_b32 s35, exec_lo
	v_cmpx_gt_i64_e64 s[16:17], v[15:16]
	s_cbranch_execnz .LBB83_20
	s_branch .LBB83_34
.LBB83_12:                              ;   in Loop: Header=BB83_9 Depth=1
	s_mov_b32 s21, exec_lo
	v_cmpx_lt_i32_e32 2, v28
	s_xor_b32 s21, exec_lo, s21
; %bb.13:                               ;   in Loop: Header=BB83_9 Depth=1
	v_dual_mov_b32 v9, v5 :: v_dual_mov_b32 v10, v6
	v_mov_b32_e32 v11, v7
	s_delay_alu instid0(VALU_DEP_2) | instskip(NEXT) | instid1(VALU_DEP_2)
	v_dual_mov_b32 v2, v9 :: v_dual_mov_b32 v3, v10
	v_dual_mov_b32 v4, v11 :: v_dual_mov_b32 v5, v12
; %bb.14:                               ;   in Loop: Header=BB83_9 Depth=1
	s_and_not1_saveexec_b32 s21, s21
; %bb.15:                               ;   in Loop: Header=BB83_9 Depth=1
	s_delay_alu instid0(VALU_DEP_1)
	v_dual_mov_b32 v2, v4 :: v_dual_mov_b32 v3, v5
	v_dual_mov_b32 v4, v6 :: v_dual_mov_b32 v5, v7
; %bb.16:                               ;   in Loop: Header=BB83_9 Depth=1
	s_or_b32 exec_lo, exec_lo, s21
	s_and_not1_saveexec_b32 s20, s20
	s_cbranch_execz .LBB83_11
.LBB83_17:                              ;   in Loop: Header=BB83_9 Depth=1
	s_mov_b32 s21, exec_lo
	v_cmpx_eq_u32_e32 1, v28
; %bb.18:                               ;   in Loop: Header=BB83_9 Depth=1
	v_dual_mov_b32 v2, v3 :: v_dual_mov_b32 v3, v4
	v_dual_mov_b32 v4, v5 :: v_dual_mov_b32 v5, v6
; %bb.19:                               ;   in Loop: Header=BB83_9 Depth=1
	s_or_b32 exec_lo, exec_lo, s21
	s_delay_alu instid0(SALU_CYCLE_1) | instskip(NEXT) | instid1(SALU_CYCLE_1)
	s_or_b32 exec_lo, exec_lo, s20
	s_mov_b32 s35, exec_lo
	v_cmpx_gt_i64_e64 s[16:17], v[15:16]
	s_cbranch_execz .LBB83_34
.LBB83_20:                              ;   in Loop: Header=BB83_9 Depth=1
	s_and_not1_b32 vcc_lo, exec_lo, s11
	s_cbranch_vccnz .LBB83_26
; %bb.21:                               ;   in Loop: Header=BB83_9 Depth=1
	v_mov_b32_e32 v9, 0
	s_and_not1_b32 vcc_lo, exec_lo, s27
	s_cbranch_vccnz .LBB83_30
; %bb.22:                               ;   in Loop: Header=BB83_9 Depth=1
	s_and_not1_b32 vcc_lo, exec_lo, s30
	s_mov_b32 s20, 0
	s_cbranch_vccnz .LBB83_27
; %bb.23:                               ;   in Loop: Header=BB83_9 Depth=1
	v_dual_mov_b32 v9, 0 :: v_dual_mov_b32 v0, v15
	s_mov_b32 s36, 0
	s_mov_b64 s[20:21], s[12:13]
	s_mov_b64 s[22:23], s[0:1]
.LBB83_24:                              ;   Parent Loop BB83_9 Depth=1
                                        ; =>  This Inner Loop Header: Depth=2
	s_clause 0x1
	s_load_b256 s[40:47], s[20:21], 0x4
	s_load_b128 s[48:51], s[20:21], 0x24
	s_load_b128 s[52:55], s[22:23], 0x0
	s_add_u32 s20, s20, 48
	s_addc_u32 s21, s21, 0
	s_add_i32 s36, s36, 4
	s_add_u32 s22, s22, 16
	s_addc_u32 s23, s23, 0
	s_cmp_lg_u32 s31, s36
	s_waitcnt lgkmcnt(0)
	v_mul_hi_u32 v10, s41, v0
	s_delay_alu instid0(VALU_DEP_1) | instskip(NEXT) | instid1(VALU_DEP_1)
	v_add_nc_u32_e32 v10, v0, v10
	v_lshrrev_b32_e32 v10, s42, v10
	s_delay_alu instid0(VALU_DEP_1) | instskip(SKIP_1) | instid1(VALU_DEP_2)
	v_mul_hi_u32 v11, s44, v10
	v_mul_lo_u32 v42, v10, s40
	v_add_nc_u32_e32 v11, v10, v11
	s_delay_alu instid0(VALU_DEP_2) | instskip(NEXT) | instid1(VALU_DEP_2)
	v_sub_nc_u32_e32 v42, v0, v42
	v_lshrrev_b32_e32 v11, s45, v11
	s_delay_alu instid0(VALU_DEP_2) | instskip(NEXT) | instid1(VALU_DEP_2)
	v_mul_lo_u32 v42, v42, s52
	v_mul_hi_u32 v12, s47, v11
	v_mul_lo_u32 v43, v11, s43
	s_delay_alu instid0(VALU_DEP_2) | instskip(NEXT) | instid1(VALU_DEP_2)
	v_add_nc_u32_e32 v12, v11, v12
	v_sub_nc_u32_e32 v10, v10, v43
	s_delay_alu instid0(VALU_DEP_2) | instskip(NEXT) | instid1(VALU_DEP_2)
	v_lshrrev_b32_e32 v12, s48, v12
	v_mul_lo_u32 v10, v10, s53
	s_delay_alu instid0(VALU_DEP_2) | instskip(NEXT) | instid1(VALU_DEP_2)
	v_mul_hi_u32 v18, s50, v12
	v_add3_u32 v9, v42, v9, v10
	s_delay_alu instid0(VALU_DEP_2) | instskip(NEXT) | instid1(VALU_DEP_1)
	v_add_nc_u32_e32 v18, v12, v18
	v_lshrrev_b32_e32 v0, s51, v18
	v_mul_lo_u32 v18, v12, s46
	s_delay_alu instid0(VALU_DEP_2) | instskip(NEXT) | instid1(VALU_DEP_2)
	v_mul_lo_u32 v44, v0, s49
	v_sub_nc_u32_e32 v11, v11, v18
	s_delay_alu instid0(VALU_DEP_2) | instskip(NEXT) | instid1(VALU_DEP_2)
	v_sub_nc_u32_e32 v12, v12, v44
	v_mul_lo_u32 v11, v11, s54
	s_delay_alu instid0(VALU_DEP_2) | instskip(NEXT) | instid1(VALU_DEP_1)
	v_mul_lo_u32 v12, v12, s55
	v_add3_u32 v9, v11, v9, v12
	s_cbranch_scc1 .LBB83_24
; %bb.25:                               ;   in Loop: Header=BB83_9 Depth=1
	s_mov_b32 s20, s31
	s_and_not1_b32 vcc_lo, exec_lo, s34
	s_cbranch_vccz .LBB83_28
	s_branch .LBB83_30
.LBB83_26:                              ;   in Loop: Header=BB83_9 Depth=1
                                        ; implicit-def: $vgpr9
	s_branch .LBB83_31
.LBB83_27:                              ;   in Loop: Header=BB83_9 Depth=1
	v_mov_b32_e32 v0, v15
	s_and_not1_b32 vcc_lo, exec_lo, s34
	s_cbranch_vccnz .LBB83_30
.LBB83_28:                              ;   in Loop: Header=BB83_9 Depth=1
	s_lshl_b32 s21, s20, 2
	s_mul_i32 s22, s20, 12
	s_add_u32 s20, s0, s21
	s_addc_u32 s21, s1, 0
	s_add_u32 s22, s12, s22
	s_addc_u32 s23, s13, 0
	s_mov_b32 s36, s29
	.p2align	6
.LBB83_29:                              ;   Parent Loop BB83_9 Depth=1
                                        ; =>  This Inner Loop Header: Depth=2
	s_clause 0x1
	s_load_b64 s[38:39], s[22:23], 0x4
	s_load_b32 s37, s[22:23], 0xc
	s_add_u32 s22, s22, 12
	s_addc_u32 s23, s23, 0
	s_waitcnt lgkmcnt(0)
	v_mul_hi_u32 v10, s39, v0
	s_load_b32 s39, s[20:21], 0x0
	s_add_u32 s20, s20, 4
	s_addc_u32 s21, s21, 0
	s_add_i32 s36, s36, -1
	s_delay_alu instid0(SALU_CYCLE_1) | instskip(NEXT) | instid1(VALU_DEP_1)
	s_cmp_lg_u32 s36, 0
	v_add_nc_u32_e32 v10, v0, v10
	s_delay_alu instid0(VALU_DEP_1) | instskip(NEXT) | instid1(VALU_DEP_1)
	v_lshrrev_b32_e32 v12, s37, v10
	v_mul_lo_u32 v10, v12, s38
	s_delay_alu instid0(VALU_DEP_1) | instskip(SKIP_1) | instid1(VALU_DEP_1)
	v_sub_nc_u32_e32 v0, v0, v10
	s_waitcnt lgkmcnt(0)
	v_mad_u64_u32 v[10:11], null, v0, s39, v[9:10]
	s_delay_alu instid0(VALU_DEP_1)
	v_dual_mov_b32 v0, v12 :: v_dual_mov_b32 v9, v10
	s_cbranch_scc1 .LBB83_29
.LBB83_30:                              ;   in Loop: Header=BB83_9 Depth=1
	s_cbranch_execnz .LBB83_33
.LBB83_31:                              ;   in Loop: Header=BB83_9 Depth=1
	v_mul_hi_u32 v0, v15, s6
	s_and_not1_b32 vcc_lo, exec_lo, s4
	s_delay_alu instid0(VALU_DEP_1) | instskip(NEXT) | instid1(VALU_DEP_1)
	v_add_nc_u32_e32 v0, v0, v15
	v_lshrrev_b32_e32 v0, s7, v0
	s_delay_alu instid0(VALU_DEP_1) | instskip(NEXT) | instid1(VALU_DEP_1)
	v_mul_lo_u32 v9, v0, s5
	v_sub_nc_u32_e32 v9, v15, v9
	s_delay_alu instid0(VALU_DEP_1)
	v_mul_lo_u32 v9, v9, s14
	s_cbranch_vccnz .LBB83_33
; %bb.32:                               ;   in Loop: Header=BB83_9 Depth=1
	v_mul_hi_u32 v10, s9, v0
	s_delay_alu instid0(VALU_DEP_1) | instskip(NEXT) | instid1(VALU_DEP_1)
	v_add_nc_u32_e32 v10, v0, v10
	v_lshrrev_b32_e32 v10, s10, v10
	s_delay_alu instid0(VALU_DEP_1) | instskip(NEXT) | instid1(VALU_DEP_1)
	v_mul_lo_u32 v10, v10, s8
	v_sub_nc_u32_e32 v0, v0, v10
	s_delay_alu instid0(VALU_DEP_1) | instskip(NEXT) | instid1(VALU_DEP_1)
	v_mad_u64_u32 v[10:11], null, v0, s15, v[9:10]
	v_mov_b32_e32 v9, v10
.LBB83_33:                              ;   in Loop: Header=BB83_9 Depth=1
	v_mov_b32_e32 v0, v2
	global_store_b64 v9, v[0:1], s[18:19]
.LBB83_34:                              ;   in Loop: Header=BB83_9 Depth=1
	s_or_b32 exec_lo, exec_lo, s35
	v_add_co_u32 v9, vcc_lo, v15, s24
	v_add_co_ci_u32_e32 v10, vcc_lo, 0, v16, vcc_lo
	s_mov_b32 s35, exec_lo
	s_delay_alu instid0(VALU_DEP_1)
	v_cmpx_gt_i64_e64 s[16:17], v[9:10]
	s_cbranch_execz .LBB83_49
; %bb.35:                               ;   in Loop: Header=BB83_9 Depth=1
	s_and_not1_b32 vcc_lo, exec_lo, s11
	s_cbranch_vccnz .LBB83_41
; %bb.36:                               ;   in Loop: Header=BB83_9 Depth=1
	v_mov_b32_e32 v2, 0
	s_and_not1_b32 vcc_lo, exec_lo, s27
	s_cbranch_vccnz .LBB83_45
; %bb.37:                               ;   in Loop: Header=BB83_9 Depth=1
	s_and_not1_b32 vcc_lo, exec_lo, s30
	s_mov_b32 s20, 0
	s_cbranch_vccnz .LBB83_42
; %bb.38:                               ;   in Loop: Header=BB83_9 Depth=1
	v_mov_b32_e32 v2, 0
	v_mov_b32_e32 v0, v9
	s_mov_b32 s36, 0
	s_mov_b64 s[20:21], s[12:13]
	s_mov_b64 s[22:23], s[0:1]
.LBB83_39:                              ;   Parent Loop BB83_9 Depth=1
                                        ; =>  This Inner Loop Header: Depth=2
	s_clause 0x1
	s_load_b256 s[40:47], s[20:21], 0x4
	s_load_b128 s[48:51], s[20:21], 0x24
	s_load_b128 s[52:55], s[22:23], 0x0
	s_add_u32 s20, s20, 48
	s_addc_u32 s21, s21, 0
	s_add_i32 s36, s36, 4
	s_add_u32 s22, s22, 16
	s_addc_u32 s23, s23, 0
	s_cmp_eq_u32 s31, s36
	s_waitcnt lgkmcnt(0)
	v_mul_hi_u32 v10, s41, v0
	s_delay_alu instid0(VALU_DEP_1) | instskip(NEXT) | instid1(VALU_DEP_1)
	v_add_nc_u32_e32 v10, v0, v10
	v_lshrrev_b32_e32 v10, s42, v10
	s_delay_alu instid0(VALU_DEP_1) | instskip(SKIP_1) | instid1(VALU_DEP_2)
	v_mul_hi_u32 v11, s44, v10
	v_mul_lo_u32 v42, v10, s40
	v_add_nc_u32_e32 v11, v10, v11
	s_delay_alu instid0(VALU_DEP_2) | instskip(NEXT) | instid1(VALU_DEP_2)
	v_sub_nc_u32_e32 v42, v0, v42
	v_lshrrev_b32_e32 v11, s45, v11
	s_delay_alu instid0(VALU_DEP_2) | instskip(NEXT) | instid1(VALU_DEP_2)
	v_mul_lo_u32 v42, v42, s52
	v_mul_hi_u32 v12, s47, v11
	v_mul_lo_u32 v43, v11, s43
	s_delay_alu instid0(VALU_DEP_2) | instskip(NEXT) | instid1(VALU_DEP_2)
	v_add_nc_u32_e32 v12, v11, v12
	v_sub_nc_u32_e32 v10, v10, v43
	s_delay_alu instid0(VALU_DEP_2) | instskip(NEXT) | instid1(VALU_DEP_2)
	v_lshrrev_b32_e32 v12, s48, v12
	v_mul_lo_u32 v10, v10, s53
	s_delay_alu instid0(VALU_DEP_2) | instskip(NEXT) | instid1(VALU_DEP_2)
	v_mul_hi_u32 v18, s50, v12
	v_add3_u32 v2, v42, v2, v10
	s_delay_alu instid0(VALU_DEP_2) | instskip(NEXT) | instid1(VALU_DEP_1)
	v_add_nc_u32_e32 v18, v12, v18
	v_lshrrev_b32_e32 v0, s51, v18
	v_mul_lo_u32 v18, v12, s46
	s_delay_alu instid0(VALU_DEP_2) | instskip(NEXT) | instid1(VALU_DEP_2)
	v_mul_lo_u32 v44, v0, s49
	v_sub_nc_u32_e32 v11, v11, v18
	s_delay_alu instid0(VALU_DEP_2) | instskip(NEXT) | instid1(VALU_DEP_2)
	v_sub_nc_u32_e32 v12, v12, v44
	v_mul_lo_u32 v11, v11, s54
	s_delay_alu instid0(VALU_DEP_2) | instskip(NEXT) | instid1(VALU_DEP_1)
	v_mul_lo_u32 v12, v12, s55
	v_add3_u32 v2, v11, v2, v12
	s_cbranch_scc0 .LBB83_39
; %bb.40:                               ;   in Loop: Header=BB83_9 Depth=1
	s_mov_b32 s20, s31
	s_and_not1_b32 vcc_lo, exec_lo, s34
	s_cbranch_vccz .LBB83_43
	s_branch .LBB83_45
.LBB83_41:                              ;   in Loop: Header=BB83_9 Depth=1
                                        ; implicit-def: $vgpr2
	s_branch .LBB83_46
.LBB83_42:                              ;   in Loop: Header=BB83_9 Depth=1
	v_mov_b32_e32 v0, v9
	s_and_not1_b32 vcc_lo, exec_lo, s34
	s_cbranch_vccnz .LBB83_45
.LBB83_43:                              ;   in Loop: Header=BB83_9 Depth=1
	s_lshl_b32 s21, s20, 2
	s_mul_i32 s22, s20, 12
	s_add_u32 s20, s0, s21
	s_addc_u32 s21, s1, 0
	s_add_u32 s22, s12, s22
	s_addc_u32 s23, s13, 0
	s_mov_b32 s36, s29
	.p2align	6
.LBB83_44:                              ;   Parent Loop BB83_9 Depth=1
                                        ; =>  This Inner Loop Header: Depth=2
	s_clause 0x1
	s_load_b64 s[38:39], s[22:23], 0x4
	s_load_b32 s37, s[22:23], 0xc
	s_add_u32 s22, s22, 12
	s_addc_u32 s23, s23, 0
	s_waitcnt lgkmcnt(0)
	v_mul_hi_u32 v10, s39, v0
	s_load_b32 s39, s[20:21], 0x0
	s_add_u32 s20, s20, 4
	s_addc_u32 s21, s21, 0
	s_add_i32 s36, s36, -1
	s_delay_alu instid0(SALU_CYCLE_1) | instskip(NEXT) | instid1(VALU_DEP_1)
	s_cmp_lg_u32 s36, 0
	v_add_nc_u32_e32 v10, v0, v10
	s_delay_alu instid0(VALU_DEP_1) | instskip(NEXT) | instid1(VALU_DEP_1)
	v_lshrrev_b32_e32 v12, s37, v10
	v_mul_lo_u32 v10, v12, s38
	s_delay_alu instid0(VALU_DEP_1) | instskip(SKIP_1) | instid1(VALU_DEP_1)
	v_sub_nc_u32_e32 v0, v0, v10
	s_waitcnt lgkmcnt(0)
	v_mad_u64_u32 v[10:11], null, v0, s39, v[2:3]
	v_mov_b32_e32 v0, v12
	s_delay_alu instid0(VALU_DEP_2)
	v_mov_b32_e32 v2, v10
	s_cbranch_scc1 .LBB83_44
.LBB83_45:                              ;   in Loop: Header=BB83_9 Depth=1
	s_cbranch_execnz .LBB83_48
.LBB83_46:                              ;   in Loop: Header=BB83_9 Depth=1
	v_mul_hi_u32 v0, v9, s6
	s_and_not1_b32 vcc_lo, exec_lo, s4
	s_delay_alu instid0(VALU_DEP_1) | instskip(NEXT) | instid1(VALU_DEP_1)
	v_add_nc_u32_e32 v0, v0, v9
	v_lshrrev_b32_e32 v0, s7, v0
	s_delay_alu instid0(VALU_DEP_1) | instskip(NEXT) | instid1(VALU_DEP_1)
	v_mul_lo_u32 v2, v0, s5
	v_sub_nc_u32_e32 v2, v9, v2
	s_delay_alu instid0(VALU_DEP_1)
	v_mul_lo_u32 v2, v2, s14
	s_cbranch_vccnz .LBB83_48
; %bb.47:                               ;   in Loop: Header=BB83_9 Depth=1
	v_mul_hi_u32 v9, s9, v0
	s_delay_alu instid0(VALU_DEP_1) | instskip(NEXT) | instid1(VALU_DEP_1)
	v_add_nc_u32_e32 v9, v0, v9
	v_lshrrev_b32_e32 v9, s10, v9
	s_delay_alu instid0(VALU_DEP_1) | instskip(NEXT) | instid1(VALU_DEP_1)
	v_mul_lo_u32 v9, v9, s8
	v_sub_nc_u32_e32 v0, v0, v9
	s_delay_alu instid0(VALU_DEP_1) | instskip(NEXT) | instid1(VALU_DEP_1)
	v_mad_u64_u32 v[9:10], null, v0, s15, v[2:3]
	v_mov_b32_e32 v2, v9
.LBB83_48:                              ;   in Loop: Header=BB83_9 Depth=1
	v_mov_b32_e32 v0, v3
	global_store_b64 v2, v[0:1], s[18:19]
.LBB83_49:                              ;   in Loop: Header=BB83_9 Depth=1
	s_or_b32 exec_lo, exec_lo, s35
	v_add_co_u32 v2, vcc_lo, v15, s28
	v_add_co_ci_u32_e32 v3, vcc_lo, 0, v16, vcc_lo
	s_mov_b32 s35, exec_lo
	s_delay_alu instid0(VALU_DEP_1)
	v_cmpx_gt_i64_e64 s[16:17], v[2:3]
	s_cbranch_execz .LBB83_64
; %bb.50:                               ;   in Loop: Header=BB83_9 Depth=1
	s_and_not1_b32 vcc_lo, exec_lo, s11
	s_cbranch_vccnz .LBB83_56
; %bb.51:                               ;   in Loop: Header=BB83_9 Depth=1
	v_mov_b32_e32 v3, 0
	s_and_not1_b32 vcc_lo, exec_lo, s27
	s_cbranch_vccnz .LBB83_60
; %bb.52:                               ;   in Loop: Header=BB83_9 Depth=1
	s_and_not1_b32 vcc_lo, exec_lo, s30
	s_mov_b32 s20, 0
	s_cbranch_vccnz .LBB83_57
; %bb.53:                               ;   in Loop: Header=BB83_9 Depth=1
	v_dual_mov_b32 v3, 0 :: v_dual_mov_b32 v0, v2
	s_mov_b32 s36, 0
	s_mov_b64 s[20:21], s[12:13]
	s_mov_b64 s[22:23], s[0:1]
.LBB83_54:                              ;   Parent Loop BB83_9 Depth=1
                                        ; =>  This Inner Loop Header: Depth=2
	s_clause 0x1
	s_load_b256 s[40:47], s[20:21], 0x4
	s_load_b128 s[48:51], s[20:21], 0x24
	s_load_b128 s[52:55], s[22:23], 0x0
	s_add_u32 s20, s20, 48
	s_addc_u32 s21, s21, 0
	s_add_i32 s36, s36, 4
	s_add_u32 s22, s22, 16
	s_addc_u32 s23, s23, 0
	s_cmp_eq_u32 s31, s36
	s_waitcnt lgkmcnt(0)
	v_mul_hi_u32 v9, s41, v0
	s_delay_alu instid0(VALU_DEP_1) | instskip(NEXT) | instid1(VALU_DEP_1)
	v_add_nc_u32_e32 v9, v0, v9
	v_lshrrev_b32_e32 v9, s42, v9
	s_delay_alu instid0(VALU_DEP_1) | instskip(SKIP_1) | instid1(VALU_DEP_2)
	v_mul_hi_u32 v10, s44, v9
	v_mul_lo_u32 v18, v9, s40
	v_add_nc_u32_e32 v10, v9, v10
	s_delay_alu instid0(VALU_DEP_2) | instskip(NEXT) | instid1(VALU_DEP_2)
	v_sub_nc_u32_e32 v18, v0, v18
	v_lshrrev_b32_e32 v10, s45, v10
	s_delay_alu instid0(VALU_DEP_2) | instskip(NEXT) | instid1(VALU_DEP_2)
	v_mul_lo_u32 v18, v18, s52
	v_mul_hi_u32 v11, s47, v10
	v_mul_lo_u32 v42, v10, s43
	s_delay_alu instid0(VALU_DEP_2) | instskip(NEXT) | instid1(VALU_DEP_2)
	v_add_nc_u32_e32 v11, v10, v11
	v_sub_nc_u32_e32 v9, v9, v42
	s_delay_alu instid0(VALU_DEP_2) | instskip(NEXT) | instid1(VALU_DEP_2)
	v_lshrrev_b32_e32 v11, s48, v11
	v_mul_lo_u32 v9, v9, s53
	s_delay_alu instid0(VALU_DEP_2) | instskip(NEXT) | instid1(VALU_DEP_2)
	v_mul_hi_u32 v12, s50, v11
	v_add3_u32 v3, v18, v3, v9
	s_delay_alu instid0(VALU_DEP_2) | instskip(NEXT) | instid1(VALU_DEP_1)
	v_add_nc_u32_e32 v12, v11, v12
	v_lshrrev_b32_e32 v0, s51, v12
	v_mul_lo_u32 v12, v11, s46
	s_delay_alu instid0(VALU_DEP_2) | instskip(NEXT) | instid1(VALU_DEP_2)
	v_mul_lo_u32 v43, v0, s49
	v_sub_nc_u32_e32 v10, v10, v12
	s_delay_alu instid0(VALU_DEP_2) | instskip(NEXT) | instid1(VALU_DEP_2)
	v_sub_nc_u32_e32 v11, v11, v43
	v_mul_lo_u32 v10, v10, s54
	s_delay_alu instid0(VALU_DEP_2) | instskip(NEXT) | instid1(VALU_DEP_1)
	v_mul_lo_u32 v11, v11, s55
	v_add3_u32 v3, v10, v3, v11
	s_cbranch_scc0 .LBB83_54
; %bb.55:                               ;   in Loop: Header=BB83_9 Depth=1
	s_mov_b32 s20, s31
	s_and_not1_b32 vcc_lo, exec_lo, s34
	s_cbranch_vccz .LBB83_58
	s_branch .LBB83_60
.LBB83_56:                              ;   in Loop: Header=BB83_9 Depth=1
                                        ; implicit-def: $vgpr3
	s_branch .LBB83_61
.LBB83_57:                              ;   in Loop: Header=BB83_9 Depth=1
	v_mov_b32_e32 v0, v2
	s_and_not1_b32 vcc_lo, exec_lo, s34
	s_cbranch_vccnz .LBB83_60
.LBB83_58:                              ;   in Loop: Header=BB83_9 Depth=1
	s_lshl_b32 s21, s20, 2
	s_mul_i32 s22, s20, 12
	s_add_u32 s20, s0, s21
	s_addc_u32 s21, s1, 0
	s_add_u32 s22, s12, s22
	s_addc_u32 s23, s13, 0
	s_mov_b32 s36, s29
	.p2align	6
.LBB83_59:                              ;   Parent Loop BB83_9 Depth=1
                                        ; =>  This Inner Loop Header: Depth=2
	s_clause 0x1
	s_load_b64 s[38:39], s[22:23], 0x4
	s_load_b32 s37, s[22:23], 0xc
	s_add_u32 s22, s22, 12
	s_addc_u32 s23, s23, 0
	s_waitcnt lgkmcnt(0)
	v_mul_hi_u32 v9, s39, v0
	s_load_b32 s39, s[20:21], 0x0
	s_add_u32 s20, s20, 4
	s_addc_u32 s21, s21, 0
	s_add_i32 s36, s36, -1
	s_delay_alu instid0(SALU_CYCLE_1) | instskip(NEXT) | instid1(VALU_DEP_1)
	s_cmp_lg_u32 s36, 0
	v_add_nc_u32_e32 v9, v0, v9
	s_delay_alu instid0(VALU_DEP_1) | instskip(NEXT) | instid1(VALU_DEP_1)
	v_lshrrev_b32_e32 v11, s37, v9
	v_mul_lo_u32 v9, v11, s38
	s_delay_alu instid0(VALU_DEP_1) | instskip(SKIP_1) | instid1(VALU_DEP_1)
	v_sub_nc_u32_e32 v0, v0, v9
	s_waitcnt lgkmcnt(0)
	v_mad_u64_u32 v[9:10], null, v0, s39, v[3:4]
	s_delay_alu instid0(VALU_DEP_1)
	v_dual_mov_b32 v0, v11 :: v_dual_mov_b32 v3, v9
	s_cbranch_scc1 .LBB83_59
.LBB83_60:                              ;   in Loop: Header=BB83_9 Depth=1
	s_cbranch_execnz .LBB83_63
.LBB83_61:                              ;   in Loop: Header=BB83_9 Depth=1
	v_mul_hi_u32 v0, v2, s6
	s_and_not1_b32 vcc_lo, exec_lo, s4
	s_delay_alu instid0(VALU_DEP_1) | instskip(NEXT) | instid1(VALU_DEP_1)
	v_add_nc_u32_e32 v0, v0, v2
	v_lshrrev_b32_e32 v0, s7, v0
	s_delay_alu instid0(VALU_DEP_1) | instskip(NEXT) | instid1(VALU_DEP_1)
	v_mul_lo_u32 v3, v0, s5
	v_sub_nc_u32_e32 v2, v2, v3
	s_delay_alu instid0(VALU_DEP_1)
	v_mul_lo_u32 v3, v2, s14
	s_cbranch_vccnz .LBB83_63
; %bb.62:                               ;   in Loop: Header=BB83_9 Depth=1
	v_mul_hi_u32 v2, s9, v0
	s_delay_alu instid0(VALU_DEP_1) | instskip(NEXT) | instid1(VALU_DEP_1)
	v_add_nc_u32_e32 v2, v0, v2
	v_lshrrev_b32_e32 v2, s10, v2
	s_delay_alu instid0(VALU_DEP_1) | instskip(NEXT) | instid1(VALU_DEP_1)
	v_mul_lo_u32 v2, v2, s8
	v_sub_nc_u32_e32 v0, v0, v2
	s_delay_alu instid0(VALU_DEP_1) | instskip(NEXT) | instid1(VALU_DEP_1)
	v_mad_u64_u32 v[9:10], null, v0, s15, v[3:4]
	v_mov_b32_e32 v3, v9
.LBB83_63:                              ;   in Loop: Header=BB83_9 Depth=1
	v_mov_b32_e32 v0, v4
	global_store_b64 v3, v[0:1], s[18:19]
.LBB83_64:                              ;   in Loop: Header=BB83_9 Depth=1
	s_or_b32 exec_lo, exec_lo, s35
	v_add_co_u32 v2, vcc_lo, v15, s33
	v_add_co_ci_u32_e32 v3, vcc_lo, 0, v16, vcc_lo
	s_mov_b32 s35, exec_lo
	s_delay_alu instid0(VALU_DEP_1)
	v_cmpx_gt_i64_e64 s[16:17], v[2:3]
	s_cbranch_execz .LBB83_8
; %bb.65:                               ;   in Loop: Header=BB83_9 Depth=1
	s_and_not1_b32 vcc_lo, exec_lo, s11
	s_cbranch_vccnz .LBB83_71
; %bb.66:                               ;   in Loop: Header=BB83_9 Depth=1
	v_mov_b32_e32 v3, 0
	s_and_not1_b32 vcc_lo, exec_lo, s27
	s_cbranch_vccnz .LBB83_75
; %bb.67:                               ;   in Loop: Header=BB83_9 Depth=1
	s_and_not1_b32 vcc_lo, exec_lo, s30
	s_mov_b32 s20, 0
	s_cbranch_vccnz .LBB83_72
; %bb.68:                               ;   in Loop: Header=BB83_9 Depth=1
	v_dual_mov_b32 v3, 0 :: v_dual_mov_b32 v0, v2
	s_mov_b32 s36, 0
	s_mov_b64 s[20:21], s[12:13]
	s_mov_b64 s[22:23], s[0:1]
.LBB83_69:                              ;   Parent Loop BB83_9 Depth=1
                                        ; =>  This Inner Loop Header: Depth=2
	s_clause 0x1
	s_load_b256 s[40:47], s[20:21], 0x4
	s_load_b128 s[48:51], s[20:21], 0x24
	s_load_b128 s[52:55], s[22:23], 0x0
	s_add_u32 s20, s20, 48
	s_addc_u32 s21, s21, 0
	s_add_i32 s36, s36, 4
	s_add_u32 s22, s22, 16
	s_addc_u32 s23, s23, 0
	s_cmp_eq_u32 s31, s36
	s_waitcnt lgkmcnt(0)
	v_mul_hi_u32 v4, s41, v0
	s_delay_alu instid0(VALU_DEP_1) | instskip(NEXT) | instid1(VALU_DEP_1)
	v_add_nc_u32_e32 v4, v0, v4
	v_lshrrev_b32_e32 v4, s42, v4
	s_delay_alu instid0(VALU_DEP_1) | instskip(SKIP_1) | instid1(VALU_DEP_2)
	v_mul_hi_u32 v9, s44, v4
	v_mul_lo_u32 v12, v4, s40
	v_add_nc_u32_e32 v9, v4, v9
	s_delay_alu instid0(VALU_DEP_2) | instskip(NEXT) | instid1(VALU_DEP_2)
	v_sub_nc_u32_e32 v12, v0, v12
	v_lshrrev_b32_e32 v9, s45, v9
	s_delay_alu instid0(VALU_DEP_2) | instskip(NEXT) | instid1(VALU_DEP_2)
	v_mul_lo_u32 v12, v12, s52
	v_mul_hi_u32 v10, s47, v9
	v_mul_lo_u32 v18, v9, s43
	s_delay_alu instid0(VALU_DEP_2) | instskip(NEXT) | instid1(VALU_DEP_2)
	v_add_nc_u32_e32 v10, v9, v10
	v_sub_nc_u32_e32 v4, v4, v18
	s_delay_alu instid0(VALU_DEP_2) | instskip(NEXT) | instid1(VALU_DEP_2)
	v_lshrrev_b32_e32 v10, s48, v10
	v_mul_lo_u32 v4, v4, s53
	s_delay_alu instid0(VALU_DEP_2) | instskip(NEXT) | instid1(VALU_DEP_2)
	v_mul_hi_u32 v11, s50, v10
	v_add3_u32 v3, v12, v3, v4
	s_delay_alu instid0(VALU_DEP_2) | instskip(NEXT) | instid1(VALU_DEP_1)
	v_add_nc_u32_e32 v11, v10, v11
	v_lshrrev_b32_e32 v0, s51, v11
	v_mul_lo_u32 v11, v10, s46
	s_delay_alu instid0(VALU_DEP_2) | instskip(NEXT) | instid1(VALU_DEP_2)
	v_mul_lo_u32 v42, v0, s49
	v_sub_nc_u32_e32 v9, v9, v11
	s_delay_alu instid0(VALU_DEP_2) | instskip(NEXT) | instid1(VALU_DEP_2)
	v_sub_nc_u32_e32 v10, v10, v42
	v_mul_lo_u32 v9, v9, s54
	s_delay_alu instid0(VALU_DEP_2) | instskip(NEXT) | instid1(VALU_DEP_1)
	v_mul_lo_u32 v10, v10, s55
	v_add3_u32 v3, v9, v3, v10
	s_cbranch_scc0 .LBB83_69
; %bb.70:                               ;   in Loop: Header=BB83_9 Depth=1
	s_mov_b32 s20, s31
	s_and_not1_b32 vcc_lo, exec_lo, s34
	s_cbranch_vccz .LBB83_73
	s_branch .LBB83_75
.LBB83_71:                              ;   in Loop: Header=BB83_9 Depth=1
                                        ; implicit-def: $vgpr3
	s_branch .LBB83_76
.LBB83_72:                              ;   in Loop: Header=BB83_9 Depth=1
	v_mov_b32_e32 v0, v2
	s_and_not1_b32 vcc_lo, exec_lo, s34
	s_cbranch_vccnz .LBB83_75
.LBB83_73:                              ;   in Loop: Header=BB83_9 Depth=1
	s_lshl_b32 s21, s20, 2
	s_mul_i32 s22, s20, 12
	s_add_u32 s20, s0, s21
	s_addc_u32 s21, s1, 0
	s_add_u32 s22, s12, s22
	s_addc_u32 s23, s13, 0
	s_mov_b32 s36, s29
	.p2align	6
.LBB83_74:                              ;   Parent Loop BB83_9 Depth=1
                                        ; =>  This Inner Loop Header: Depth=2
	s_clause 0x1
	s_load_b64 s[38:39], s[22:23], 0x4
	s_load_b32 s37, s[22:23], 0xc
	s_add_u32 s22, s22, 12
	s_addc_u32 s23, s23, 0
	s_waitcnt lgkmcnt(0)
	v_mul_hi_u32 v4, s39, v0
	s_load_b32 s39, s[20:21], 0x0
	s_add_u32 s20, s20, 4
	s_addc_u32 s21, s21, 0
	s_add_i32 s36, s36, -1
	s_delay_alu instid0(SALU_CYCLE_1) | instskip(NEXT) | instid1(VALU_DEP_1)
	s_cmp_lg_u32 s36, 0
	v_add_nc_u32_e32 v4, v0, v4
	s_delay_alu instid0(VALU_DEP_1) | instskip(NEXT) | instid1(VALU_DEP_1)
	v_lshrrev_b32_e32 v4, s37, v4
	v_mul_lo_u32 v9, v4, s38
	s_delay_alu instid0(VALU_DEP_1) | instskip(SKIP_1) | instid1(VALU_DEP_1)
	v_sub_nc_u32_e32 v0, v0, v9
	s_waitcnt lgkmcnt(0)
	v_mad_u64_u32 v[9:10], null, v0, s39, v[3:4]
	s_delay_alu instid0(VALU_DEP_1)
	v_dual_mov_b32 v0, v4 :: v_dual_mov_b32 v3, v9
	s_cbranch_scc1 .LBB83_74
.LBB83_75:                              ;   in Loop: Header=BB83_9 Depth=1
	s_cbranch_execnz .LBB83_7
.LBB83_76:                              ;   in Loop: Header=BB83_9 Depth=1
	v_mul_hi_u32 v0, v2, s6
	s_and_not1_b32 vcc_lo, exec_lo, s4
	s_delay_alu instid0(VALU_DEP_1) | instskip(NEXT) | instid1(VALU_DEP_1)
	v_add_nc_u32_e32 v0, v0, v2
	v_lshrrev_b32_e32 v0, s7, v0
	s_delay_alu instid0(VALU_DEP_1) | instskip(NEXT) | instid1(VALU_DEP_1)
	v_mul_lo_u32 v3, v0, s5
	v_sub_nc_u32_e32 v2, v2, v3
	s_delay_alu instid0(VALU_DEP_1)
	v_mul_lo_u32 v3, v2, s14
	s_cbranch_vccnz .LBB83_7
; %bb.77:                               ;   in Loop: Header=BB83_9 Depth=1
	v_mul_hi_u32 v2, s9, v0
	s_delay_alu instid0(VALU_DEP_1) | instskip(NEXT) | instid1(VALU_DEP_1)
	v_add_nc_u32_e32 v2, v0, v2
	v_lshrrev_b32_e32 v2, s10, v2
	s_delay_alu instid0(VALU_DEP_1) | instskip(NEXT) | instid1(VALU_DEP_1)
	v_mul_lo_u32 v2, v2, s8
	v_sub_nc_u32_e32 v0, v0, v2
	s_delay_alu instid0(VALU_DEP_1) | instskip(NEXT) | instid1(VALU_DEP_1)
	v_mad_u64_u32 v[9:10], null, v0, s15, v[3:4]
	v_mov_b32_e32 v3, v9
	s_branch .LBB83_7
.LBB83_78:
	s_endpgm
.LBB83_79:
                                        ; implicit-def: $sgpr2_sgpr3
	s_branch .LBB83_4
	.section	.rodata,"a",@progbits
	.p2align	6, 0x0
	.amdhsa_kernel _ZN2at6native12_GLOBAL__N_143distribution_elementwise_grid_stride_kernelIjLi4EZZZNS0_9templates4cuda13random_kernelIPNS_17CUDAGeneratorImplEEEvRNS_18TensorIteratorBaseET_ENKUlvE_clEvENKUlvE2_clEvEUlP25hiprandStatePhilox4_32_10E0_ZNS1_27distribution_nullary_kernelIlj15HIP_vector_typeIjLj4EES7_SF_ZZZNS5_IS7_EEvS9_SA_ENKSB_clEvENKSC_clEvEUljE_EEvS9_T2_RKT3_T4_EUlijE0_EEvlNS_15PhiloxCudaStateET1_SK_
		.amdhsa_group_segment_fixed_size 0
		.amdhsa_private_segment_fixed_size 0
		.amdhsa_kernarg_size 584
		.amdhsa_user_sgpr_count 15
		.amdhsa_user_sgpr_dispatch_ptr 0
		.amdhsa_user_sgpr_queue_ptr 0
		.amdhsa_user_sgpr_kernarg_segment_ptr 1
		.amdhsa_user_sgpr_dispatch_id 0
		.amdhsa_user_sgpr_private_segment_size 0
		.amdhsa_wavefront_size32 1
		.amdhsa_uses_dynamic_stack 0
		.amdhsa_enable_private_segment 0
		.amdhsa_system_sgpr_workgroup_id_x 1
		.amdhsa_system_sgpr_workgroup_id_y 0
		.amdhsa_system_sgpr_workgroup_id_z 0
		.amdhsa_system_sgpr_workgroup_info 0
		.amdhsa_system_vgpr_workitem_id 0
		.amdhsa_next_free_vgpr 45
		.amdhsa_next_free_sgpr 56
		.amdhsa_reserve_vcc 1
		.amdhsa_float_round_mode_32 0
		.amdhsa_float_round_mode_16_64 0
		.amdhsa_float_denorm_mode_32 3
		.amdhsa_float_denorm_mode_16_64 3
		.amdhsa_dx10_clamp 1
		.amdhsa_ieee_mode 1
		.amdhsa_fp16_overflow 0
		.amdhsa_workgroup_processor_mode 1
		.amdhsa_memory_ordered 1
		.amdhsa_forward_progress 0
		.amdhsa_shared_vgpr_count 0
		.amdhsa_exception_fp_ieee_invalid_op 0
		.amdhsa_exception_fp_denorm_src 0
		.amdhsa_exception_fp_ieee_div_zero 0
		.amdhsa_exception_fp_ieee_overflow 0
		.amdhsa_exception_fp_ieee_underflow 0
		.amdhsa_exception_fp_ieee_inexact 0
		.amdhsa_exception_int_div_zero 0
	.end_amdhsa_kernel
	.section	.text._ZN2at6native12_GLOBAL__N_143distribution_elementwise_grid_stride_kernelIjLi4EZZZNS0_9templates4cuda13random_kernelIPNS_17CUDAGeneratorImplEEEvRNS_18TensorIteratorBaseET_ENKUlvE_clEvENKUlvE2_clEvEUlP25hiprandStatePhilox4_32_10E0_ZNS1_27distribution_nullary_kernelIlj15HIP_vector_typeIjLj4EES7_SF_ZZZNS5_IS7_EEvS9_SA_ENKSB_clEvENKSC_clEvEUljE_EEvS9_T2_RKT3_T4_EUlijE0_EEvlNS_15PhiloxCudaStateET1_SK_,"axG",@progbits,_ZN2at6native12_GLOBAL__N_143distribution_elementwise_grid_stride_kernelIjLi4EZZZNS0_9templates4cuda13random_kernelIPNS_17CUDAGeneratorImplEEEvRNS_18TensorIteratorBaseET_ENKUlvE_clEvENKUlvE2_clEvEUlP25hiprandStatePhilox4_32_10E0_ZNS1_27distribution_nullary_kernelIlj15HIP_vector_typeIjLj4EES7_SF_ZZZNS5_IS7_EEvS9_SA_ENKSB_clEvENKSC_clEvEUljE_EEvS9_T2_RKT3_T4_EUlijE0_EEvlNS_15PhiloxCudaStateET1_SK_,comdat
.Lfunc_end83:
	.size	_ZN2at6native12_GLOBAL__N_143distribution_elementwise_grid_stride_kernelIjLi4EZZZNS0_9templates4cuda13random_kernelIPNS_17CUDAGeneratorImplEEEvRNS_18TensorIteratorBaseET_ENKUlvE_clEvENKUlvE2_clEvEUlP25hiprandStatePhilox4_32_10E0_ZNS1_27distribution_nullary_kernelIlj15HIP_vector_typeIjLj4EES7_SF_ZZZNS5_IS7_EEvS9_SA_ENKSB_clEvENKSC_clEvEUljE_EEvS9_T2_RKT3_T4_EUlijE0_EEvlNS_15PhiloxCudaStateET1_SK_, .Lfunc_end83-_ZN2at6native12_GLOBAL__N_143distribution_elementwise_grid_stride_kernelIjLi4EZZZNS0_9templates4cuda13random_kernelIPNS_17CUDAGeneratorImplEEEvRNS_18TensorIteratorBaseET_ENKUlvE_clEvENKUlvE2_clEvEUlP25hiprandStatePhilox4_32_10E0_ZNS1_27distribution_nullary_kernelIlj15HIP_vector_typeIjLj4EES7_SF_ZZZNS5_IS7_EEvS9_SA_ENKSB_clEvENKSC_clEvEUljE_EEvS9_T2_RKT3_T4_EUlijE0_EEvlNS_15PhiloxCudaStateET1_SK_
                                        ; -- End function
	.section	.AMDGPU.csdata,"",@progbits
; Kernel info:
; codeLenInByte = 5152
; NumSgprs: 58
; NumVgprs: 45
; ScratchSize: 0
; MemoryBound: 0
; FloatMode: 240
; IeeeMode: 1
; LDSByteSize: 0 bytes/workgroup (compile time only)
; SGPRBlocks: 7
; VGPRBlocks: 5
; NumSGPRsForWavesPerEU: 58
; NumVGPRsForWavesPerEU: 45
; Occupancy: 16
; WaveLimiterHint : 1
; COMPUTE_PGM_RSRC2:SCRATCH_EN: 0
; COMPUTE_PGM_RSRC2:USER_SGPR: 15
; COMPUTE_PGM_RSRC2:TRAP_HANDLER: 0
; COMPUTE_PGM_RSRC2:TGID_X_EN: 1
; COMPUTE_PGM_RSRC2:TGID_Y_EN: 0
; COMPUTE_PGM_RSRC2:TGID_Z_EN: 0
; COMPUTE_PGM_RSRC2:TIDIG_COMP_CNT: 0
	.section	.text._ZN2at6native12_GLOBAL__N_143distribution_elementwise_grid_stride_kernelImLi2EZZZNS0_9templates4cuda13random_kernelIPNS_17CUDAGeneratorImplEEEvRNS_18TensorIteratorBaseET_ENKUlvE_clEvENKUlvE3_clEvEUlP25hiprandStatePhilox4_32_10E_ZNS1_27distribution_nullary_kernelIsm15HIP_vector_typeIyLj2EES7_SF_ZZZNS5_IS7_EEvS9_SA_ENKSB_clEvENKSC_clEvEUlmE_EEvS9_T2_RKT3_T4_EUlimE_EEvlNS_15PhiloxCudaStateET1_SK_,"axG",@progbits,_ZN2at6native12_GLOBAL__N_143distribution_elementwise_grid_stride_kernelImLi2EZZZNS0_9templates4cuda13random_kernelIPNS_17CUDAGeneratorImplEEEvRNS_18TensorIteratorBaseET_ENKUlvE_clEvENKUlvE3_clEvEUlP25hiprandStatePhilox4_32_10E_ZNS1_27distribution_nullary_kernelIsm15HIP_vector_typeIyLj2EES7_SF_ZZZNS5_IS7_EEvS9_SA_ENKSB_clEvENKSC_clEvEUlmE_EEvS9_T2_RKT3_T4_EUlimE_EEvlNS_15PhiloxCudaStateET1_SK_,comdat
	.globl	_ZN2at6native12_GLOBAL__N_143distribution_elementwise_grid_stride_kernelImLi2EZZZNS0_9templates4cuda13random_kernelIPNS_17CUDAGeneratorImplEEEvRNS_18TensorIteratorBaseET_ENKUlvE_clEvENKUlvE3_clEvEUlP25hiprandStatePhilox4_32_10E_ZNS1_27distribution_nullary_kernelIsm15HIP_vector_typeIyLj2EES7_SF_ZZZNS5_IS7_EEvS9_SA_ENKSB_clEvENKSC_clEvEUlmE_EEvS9_T2_RKT3_T4_EUlimE_EEvlNS_15PhiloxCudaStateET1_SK_ ; -- Begin function _ZN2at6native12_GLOBAL__N_143distribution_elementwise_grid_stride_kernelImLi2EZZZNS0_9templates4cuda13random_kernelIPNS_17CUDAGeneratorImplEEEvRNS_18TensorIteratorBaseET_ENKUlvE_clEvENKUlvE3_clEvEUlP25hiprandStatePhilox4_32_10E_ZNS1_27distribution_nullary_kernelIsm15HIP_vector_typeIyLj2EES7_SF_ZZZNS5_IS7_EEvS9_SA_ENKSB_clEvENKSC_clEvEUlmE_EEvS9_T2_RKT3_T4_EUlimE_EEvlNS_15PhiloxCudaStateET1_SK_
	.p2align	8
	.type	_ZN2at6native12_GLOBAL__N_143distribution_elementwise_grid_stride_kernelImLi2EZZZNS0_9templates4cuda13random_kernelIPNS_17CUDAGeneratorImplEEEvRNS_18TensorIteratorBaseET_ENKUlvE_clEvENKUlvE3_clEvEUlP25hiprandStatePhilox4_32_10E_ZNS1_27distribution_nullary_kernelIsm15HIP_vector_typeIyLj2EES7_SF_ZZZNS5_IS7_EEvS9_SA_ENKSB_clEvENKSC_clEvEUlmE_EEvS9_T2_RKT3_T4_EUlimE_EEvlNS_15PhiloxCudaStateET1_SK_,@function
_ZN2at6native12_GLOBAL__N_143distribution_elementwise_grid_stride_kernelImLi2EZZZNS0_9templates4cuda13random_kernelIPNS_17CUDAGeneratorImplEEEvRNS_18TensorIteratorBaseET_ENKUlvE_clEvENKUlvE3_clEvEUlP25hiprandStatePhilox4_32_10E_ZNS1_27distribution_nullary_kernelIsm15HIP_vector_typeIyLj2EES7_SF_ZZZNS5_IS7_EEvS9_SA_ENKSB_clEvENKSC_clEvEUlmE_EEvS9_T2_RKT3_T4_EUlimE_EEvlNS_15PhiloxCudaStateET1_SK_: ; @_ZN2at6native12_GLOBAL__N_143distribution_elementwise_grid_stride_kernelImLi2EZZZNS0_9templates4cuda13random_kernelIPNS_17CUDAGeneratorImplEEEvRNS_18TensorIteratorBaseET_ENKUlvE_clEvENKUlvE3_clEvEUlP25hiprandStatePhilox4_32_10E_ZNS1_27distribution_nullary_kernelIsm15HIP_vector_typeIyLj2EES7_SF_ZZZNS5_IS7_EEvS9_SA_ENKSB_clEvENKSC_clEvEUlmE_EEvS9_T2_RKT3_T4_EUlimE_EEvlNS_15PhiloxCudaStateET1_SK_
; %bb.0:
	s_clause 0x2
	s_load_b64 s[8:9], s[0:1], 0x10
	s_load_b128 s[4:7], s[0:1], 0x0
	s_load_b32 s2, s[0:1], 0x20
	s_waitcnt lgkmcnt(0)
	v_dual_mov_b32 v2, s8 :: v_dual_mov_b32 v3, s9
	v_dual_mov_b32 v11, s7 :: v_dual_mov_b32 v10, s6
	s_bitcmp0_b32 s2, 0
	s_mov_b32 s2, 0
	s_cbranch_scc1 .LBB84_2
; %bb.1:
	v_dual_mov_b32 v1, s8 :: v_dual_mov_b32 v2, s9
	v_dual_mov_b32 v4, s6 :: v_dual_mov_b32 v5, s7
	s_load_b64 s[6:7], s[0:1], 0x18
	flat_load_b64 v[2:3], v[1:2]
	flat_load_b64 v[10:11], v[4:5]
	s_waitcnt vmcnt(1) lgkmcnt(0)
	v_add_co_u32 v2, vcc_lo, v2, s6
	v_add_co_ci_u32_e32 v3, vcc_lo, s7, v3, vcc_lo
.LBB84_2:
	s_clause 0x1
	s_load_b32 s3, s[0:1], 0x4c
	s_load_b32 s11, s[0:1], 0x40
	s_waitcnt lgkmcnt(0)
	s_and_b32 s10, s3, 0xffff
	s_add_u32 s6, s4, -1
	s_mul_i32 s8, s11, s10
	s_addc_u32 s3, s5, -1
	s_lshl_b32 s9, s8, 1
	s_cmp_lg_u64 s[2:3], 0
	s_cbranch_scc0 .LBB84_23
; %bb.3:
	v_cvt_f32_ubyte0_e32 v1, 0
	v_cvt_f32_u32_e32 v4, s9
	s_sub_u32 s12, 0, s9
	s_subb_u32 s13, 0, 0
	s_delay_alu instid0(VALU_DEP_1) | instskip(NEXT) | instid1(VALU_DEP_1)
	v_fmamk_f32 v1, v1, 0x4f800000, v4
	v_rcp_f32_e32 v1, v1
	s_waitcnt_depctr 0xfff
	v_mul_f32_e32 v1, 0x5f7ffffc, v1
	s_delay_alu instid0(VALU_DEP_1) | instskip(NEXT) | instid1(VALU_DEP_1)
	v_mul_f32_e32 v4, 0x2f800000, v1
	v_trunc_f32_e32 v4, v4
	s_delay_alu instid0(VALU_DEP_1) | instskip(SKIP_1) | instid1(VALU_DEP_2)
	v_fmamk_f32 v1, v4, 0xcf800000, v1
	v_cvt_u32_f32_e32 v4, v4
	v_cvt_u32_f32_e32 v1, v1
	s_delay_alu instid0(VALU_DEP_2) | instskip(NEXT) | instid1(VALU_DEP_2)
	v_readfirstlane_b32 s2, v4
	v_readfirstlane_b32 s7, v1
	s_delay_alu instid0(VALU_DEP_2) | instskip(NEXT) | instid1(VALU_DEP_1)
	s_mul_i32 s14, s12, s2
	s_mul_hi_u32 s17, s12, s7
	s_mul_i32 s16, s13, s7
	s_add_i32 s14, s17, s14
	s_mul_i32 s18, s12, s7
	s_add_i32 s14, s14, s16
	s_mul_hi_u32 s17, s7, s18
	s_mul_hi_u32 s19, s2, s18
	s_mul_i32 s16, s2, s18
	s_mul_hi_u32 s18, s7, s14
	s_mul_i32 s7, s7, s14
	s_mul_hi_u32 s20, s2, s14
	s_add_u32 s7, s17, s7
	s_addc_u32 s17, 0, s18
	s_add_u32 s7, s7, s16
	s_mul_i32 s14, s2, s14
	s_addc_u32 s7, s17, s19
	s_addc_u32 s16, s20, 0
	s_add_u32 s7, s7, s14
	s_addc_u32 s14, 0, s16
	v_add_co_u32 v1, s7, v1, s7
	s_delay_alu instid0(VALU_DEP_1) | instskip(SKIP_1) | instid1(VALU_DEP_1)
	s_cmp_lg_u32 s7, 0
	s_addc_u32 s2, s2, s14
	v_readfirstlane_b32 s7, v1
	s_mul_i32 s14, s12, s2
	s_delay_alu instid0(VALU_DEP_1)
	s_mul_hi_u32 s16, s12, s7
	s_mul_i32 s13, s13, s7
	s_add_i32 s14, s16, s14
	s_mul_i32 s12, s12, s7
	s_add_i32 s14, s14, s13
	s_mul_hi_u32 s16, s2, s12
	s_mul_i32 s17, s2, s12
	s_mul_hi_u32 s12, s7, s12
	s_mul_hi_u32 s18, s7, s14
	s_mul_i32 s7, s7, s14
	s_mul_hi_u32 s13, s2, s14
	s_add_u32 s7, s12, s7
	s_addc_u32 s12, 0, s18
	s_add_u32 s7, s7, s17
	s_mul_i32 s14, s2, s14
	s_addc_u32 s7, s12, s16
	s_addc_u32 s12, s13, 0
	s_add_u32 s7, s7, s14
	s_addc_u32 s12, 0, s12
	v_add_co_u32 v1, s7, v1, s7
	s_delay_alu instid0(VALU_DEP_1) | instskip(SKIP_2) | instid1(VALU_DEP_1)
	s_cmp_lg_u32 s7, 0
	s_addc_u32 s7, s2, s12
	s_ashr_i32 s12, s3, 31
	v_readfirstlane_b32 s14, v1
	s_add_u32 s2, s6, s12
	s_mov_b32 s13, s12
	s_addc_u32 s3, s3, s12
	s_delay_alu instid0(SALU_CYCLE_1) | instskip(NEXT) | instid1(SALU_CYCLE_1)
	s_xor_b64 s[2:3], s[2:3], s[12:13]
	s_mul_i32 s17, s2, s7
	s_mul_hi_u32 s18, s2, s14
	s_mul_hi_u32 s16, s2, s7
	;; [unrolled: 1-line block ×3, first 2 shown]
	s_mul_i32 s14, s3, s14
	s_add_u32 s17, s18, s17
	s_addc_u32 s16, 0, s16
	s_mul_hi_u32 s19, s3, s7
	s_add_u32 s14, s17, s14
	s_mul_i32 s7, s3, s7
	s_addc_u32 s14, s16, s20
	s_addc_u32 s16, s19, 0
	s_add_u32 s7, s14, s7
	s_addc_u32 s14, 0, s16
	s_mul_i32 s17, s9, s7
	s_add_u32 s16, s7, 1
	v_sub_co_u32 v1, s2, s2, s17
	s_mul_hi_u32 s17, s9, s7
	s_addc_u32 s18, s14, 0
	s_mul_i32 s19, s9, s14
	s_delay_alu instid0(VALU_DEP_1)
	v_sub_co_u32 v4, s20, v1, s9
	s_add_u32 s21, s7, 2
	s_addc_u32 s22, s14, 0
	s_add_i32 s17, s17, s19
	s_cmp_lg_u32 s2, 0
	v_readfirstlane_b32 s2, v4
	s_subb_u32 s3, s3, s17
	s_cmp_lg_u32 s20, 0
	s_subb_u32 s17, s3, 0
	s_delay_alu instid0(VALU_DEP_1) | instskip(SKIP_4) | instid1(SALU_CYCLE_1)
	s_cmp_ge_u32 s2, s9
	s_cselect_b32 s2, -1, 0
	s_cmp_eq_u32 s17, 0
	v_readfirstlane_b32 s17, v1
	s_cselect_b32 s2, s2, -1
	s_cmp_lg_u32 s2, 0
	s_cselect_b32 s2, s21, s16
	s_cselect_b32 s16, s22, s18
	s_cmp_ge_u32 s17, s9
	s_cselect_b32 s17, -1, 0
	s_cmp_eq_u32 s3, 0
	s_cselect_b32 s3, s17, -1
	s_delay_alu instid0(SALU_CYCLE_1) | instskip(SKIP_2) | instid1(SALU_CYCLE_1)
	s_cmp_lg_u32 s3, 0
	s_cselect_b32 s3, s16, s14
	s_cselect_b32 s2, s2, s7
	s_xor_b64 s[2:3], s[2:3], s[12:13]
	s_delay_alu instid0(SALU_CYCLE_1)
	s_sub_u32 s2, s2, s12
	s_subb_u32 s3, s3, s12
	s_cbranch_execnz .LBB84_5
.LBB84_4:
	v_cvt_f32_u32_e32 v1, s9
	s_sub_i32 s3, 0, s9
	s_delay_alu instid0(VALU_DEP_1) | instskip(SKIP_2) | instid1(VALU_DEP_1)
	v_rcp_iflag_f32_e32 v1, v1
	s_waitcnt_depctr 0xfff
	v_mul_f32_e32 v1, 0x4f7ffffe, v1
	v_cvt_u32_f32_e32 v1, v1
	s_delay_alu instid0(VALU_DEP_1) | instskip(NEXT) | instid1(VALU_DEP_1)
	v_readfirstlane_b32 s2, v1
	s_mul_i32 s3, s3, s2
	s_delay_alu instid0(SALU_CYCLE_1) | instskip(NEXT) | instid1(SALU_CYCLE_1)
	s_mul_hi_u32 s3, s2, s3
	s_add_i32 s2, s2, s3
	s_delay_alu instid0(SALU_CYCLE_1) | instskip(NEXT) | instid1(SALU_CYCLE_1)
	s_mul_hi_u32 s2, s6, s2
	s_mul_i32 s3, s2, s9
	s_delay_alu instid0(SALU_CYCLE_1)
	s_sub_i32 s3, s6, s3
	s_add_i32 s6, s2, 1
	s_sub_i32 s7, s3, s9
	s_cmp_ge_u32 s3, s9
	s_cselect_b32 s2, s6, s2
	s_cselect_b32 s3, s7, s3
	s_add_i32 s6, s2, 1
	s_cmp_ge_u32 s3, s9
	s_mov_b32 s3, 0
	s_cselect_b32 s2, s6, s2
.LBB84_5:
	v_mov_b32_e32 v1, 0
	s_add_u32 s2, s2, 1
	s_addc_u32 s3, s3, 0
	s_mul_hi_u32 s6, s8, s2
	s_mul_i32 s3, s8, s3
	v_mad_u64_u32 v[12:13], null, s10, s15, v[0:1]
	s_mul_hi_u32 s7, s11, s10
	s_add_i32 s3, s6, s3
	s_mul_i32 s7, s7, s2
	s_mul_i32 s2, s8, s2
	s_add_i32 s3, s3, s7
	s_mov_b32 s6, exec_lo
	s_lshl_b64 s[2:3], s[2:3], 1
	s_delay_alu instid0(SALU_CYCLE_1)
	v_cmpx_gt_i64_e64 s[2:3], v[12:13]
	s_cbranch_execz .LBB84_22
; %bb.6:
	v_mad_u64_u32 v[4:5], null, 0xcd9e8d57, v12, 0
	v_alignbit_b32 v16, v3, v2, 2
	v_lshrrev_b32_e32 v17, 2, v3
	s_waitcnt vmcnt(0)
	v_dual_mov_b32 v33, v11 :: v_dual_and_b32 v34, 3, v2
	v_add_co_u32 v19, null, 0x9e3779b9, v10
	v_mad_u64_u32 v[6:7], null, 0xd2511f53, v16, 0
	v_xor3_b32 v1, v10, v5, v17
	s_delay_alu instid0(VALU_DEP_4) | instskip(SKIP_1) | instid1(VALU_DEP_3)
	v_add_co_u32 v18, null, 0xbb67ae85, v33
	v_add_co_u32 v20, null, 0x3c6ef372, v10
	v_mad_u64_u32 v[8:9], null, 0xd2511f53, v1, 0
	v_xor_b32_e32 v1, v7, v11
	v_add_co_u32 v21, null, 0x76cf5d0a, v33
	v_add_co_u32 v22, null, 0x32370b8f, v33
	s_delay_alu instid0(VALU_DEP_3) | instskip(SKIP_3) | instid1(VALU_DEP_4)
	v_xor_b32_e32 v1, v1, v13
	v_xor3_b32 v3, v18, v9, v6
	v_add_co_u32 v23, null, 0xdaa66d2b, v10
	v_add_co_u32 v24, null, 0x78dde6e4, v10
	v_mad_u64_u32 v[5:6], null, 0xcd9e8d57, v1, 0
	s_delay_alu instid0(VALU_DEP_4) | instskip(SKIP_2) | instid1(VALU_DEP_4)
	v_mad_u64_u32 v[14:15], null, 0xcd9e8d57, v3, 0
	v_add_co_u32 v25, null, 0xed9eba14, v33
	v_add_co_u32 v26, null, 0xa9066899, v33
	v_xor3_b32 v1, v19, v6, v4
	v_add_co_u32 v27, null, 0x1715609d, v10
	v_xor3_b32 v7, v20, v15, v5
	v_add_co_u32 v28, null, 0xb54cda56, v10
	s_delay_alu instid0(VALU_DEP_4) | instskip(NEXT) | instid1(VALU_DEP_3)
	v_mad_u64_u32 v[3:4], null, 0xd2511f53, v1, 0
	v_mad_u64_u32 v[5:6], null, 0xd2511f53, v7, 0
	v_add_co_u32 v29, null, 0x646e171e, v33
	v_add_co_u32 v30, null, 0x1fd5c5a3, v33
	s_delay_alu instid0(VALU_DEP_4)
	v_xor3_b32 v1, v21, v4, v8
	v_add_co_u32 v31, null, 0x5384540f, v10
	v_xor3_b32 v8, v22, v6, v3
	s_clause 0x1
	s_load_b64 s[6:7], s[0:1], 0x30
	s_load_b32 s0, s[0:1], 0x38
	v_mad_u64_u32 v[3:4], null, 0xcd9e8d57, v1, 0
	v_add_co_u32 v32, null, 0xf1bbcdc8, v10
	v_mad_u64_u32 v[6:7], null, 0xcd9e8d57, v8, 0
	v_add_co_u32 v33, null, 0xdb3d7428, v33
	s_delay_alu instid0(VALU_DEP_4) | instskip(SKIP_3) | instid1(VALU_DEP_4)
	v_xor3_b32 v1, v23, v4, v14
	v_dual_mov_b32 v39, v12 :: v_dual_add_nc_u32 v36, 0x96a522ad, v11
	v_dual_mov_b32 v40, v13 :: v_dual_add_nc_u32 v35, 0x8ff34781, v10
	v_xor3_b32 v9, v24, v7, v3
	v_mad_u64_u32 v[3:4], null, 0xd2511f53, v1, 0
	s_delay_alu instid0(VALU_DEP_2) | instskip(SKIP_2) | instid1(VALU_DEP_2)
	v_mad_u64_u32 v[7:8], null, 0xd2511f53, v9, 0
	s_waitcnt lgkmcnt(0)
	s_mul_i32 s1, s11, s0
	v_xor3_b32 v1, v25, v4, v5
	s_mul_i32 s1, s1, s10
	s_delay_alu instid0(SALU_CYCLE_1) | instskip(NEXT) | instid1(VALU_DEP_2)
	s_lshl_b32 s1, s1, 1
	v_xor3_b32 v5, v26, v8, v3
	s_delay_alu instid0(VALU_DEP_2) | instskip(NEXT) | instid1(VALU_DEP_2)
	v_mad_u64_u32 v[3:4], null, 0xcd9e8d57, v1, 0
	v_mad_u64_u32 v[8:9], null, 0xcd9e8d57, v5, 0
	s_delay_alu instid0(VALU_DEP_2) | instskip(NEXT) | instid1(VALU_DEP_2)
	v_xor3_b32 v1, v27, v4, v6
	v_xor3_b32 v9, v28, v9, v3
	s_delay_alu instid0(VALU_DEP_2) | instskip(NEXT) | instid1(VALU_DEP_2)
	v_mad_u64_u32 v[3:4], null, 0xd2511f53, v1, 0
	v_mad_u64_u32 v[5:6], null, 0xd2511f53, v9, 0
	s_delay_alu instid0(VALU_DEP_2) | instskip(NEXT) | instid1(VALU_DEP_2)
	v_xor3_b32 v1, v29, v4, v7
	v_xor3_b32 v9, v30, v6, v3
	s_delay_alu instid0(VALU_DEP_2) | instskip(SKIP_1) | instid1(VALU_DEP_3)
	v_mad_u64_u32 v[3:4], null, 0xcd9e8d57, v1, 0
	v_mad_u64_u32 v[14:15], null, s15, s10, v[0:1]
	;; [unrolled: 1-line block ×3, first 2 shown]
	s_add_i32 s15, s15, s11
	s_delay_alu instid0(VALU_DEP_3) | instskip(SKIP_1) | instid1(VALU_DEP_4)
	v_xor3_b32 v4, v31, v4, v8
	v_mad_u64_u32 v[8:9], null, s15, s10, v[0:1]
	v_mul_lo_u32 v37, s0, v14
	s_delay_alu instid0(VALU_DEP_4) | instskip(NEXT) | instid1(VALU_DEP_4)
	v_xor3_b32 v6, v32, v7, v3
	v_mad_u64_u32 v[0:1], null, 0xd2511f53, v4, 0
	s_mov_b32 s10, 0
	s_delay_alu instid0(VALU_DEP_2) | instskip(SKIP_2) | instid1(VALU_DEP_3)
	v_mad_u64_u32 v[3:4], null, 0xd2511f53, v6, 0
	v_mul_lo_u32 v38, s0, v8
	s_mov_b32 s0, 0
	v_xor3_b32 v5, v33, v1, v5
	s_delay_alu instid0(VALU_DEP_1) | instskip(NEXT) | instid1(VALU_DEP_4)
	v_mad_u64_u32 v[1:2], null, 0xcd9e8d57, v5, 0
	v_xor3_b32 v2, v4, v0, v36
	s_branch .LBB84_8
.LBB84_7:                               ;   in Loop: Header=BB84_8 Depth=1
	s_or_b32 exec_lo, exec_lo, s11
	v_add_co_u32 v12, vcc_lo, v12, s9
	v_add_co_ci_u32_e32 v13, vcc_lo, 0, v13, vcc_lo
	v_mov_b32_e32 v6, v14
	v_mov_b32_e32 v0, v3
	v_dual_mov_b32 v1, v4 :: v_dual_mov_b32 v2, v5
	s_delay_alu instid0(VALU_DEP_4) | instskip(NEXT) | instid1(VALU_DEP_4)
	v_cmp_le_i64_e32 vcc_lo, s[2:3], v[12:13]
	v_mov_b32_e32 v3, v6
	s_add_i32 s10, s10, s1
	s_waitcnt_vscnt null, 0x0
	s_barrier
	buffer_gl0_inv
	s_or_b32 s0, vcc_lo, s0
	s_delay_alu instid0(SALU_CYCLE_1)
	s_and_not1_b32 exec_lo, exec_lo, s0
	s_cbranch_execz .LBB84_22
.LBB84_8:                               ; =>This Inner Loop Header: Depth=1
	v_add_co_u32 v16, vcc_lo, v16, 1
	s_delay_alu instid0(VALU_DEP_1) | instskip(SKIP_1) | instid1(VALU_DEP_3)
	v_cndmask_b32_e64 v0, 0, 1, vcc_lo
	v_add_co_ci_u32_e32 v17, vcc_lo, 0, v17, vcc_lo
	v_mad_u64_u32 v[4:5], null, 0xd2511f53, v16, 0
	s_mov_b32 s11, exec_lo
	s_delay_alu instid0(VALU_DEP_2) | instskip(SKIP_1) | instid1(VALU_DEP_1)
	v_cmp_eq_u32_e32 vcc_lo, 0, v17
	v_cndmask_b32_e32 v0, 0, v0, vcc_lo
	v_add_nc_u32_e32 v39, v0, v39
	s_delay_alu instid0(VALU_DEP_1) | instskip(SKIP_2) | instid1(VALU_DEP_2)
	v_cmp_eq_u32_e32 vcc_lo, 0, v39
	v_cndmask_b32_e32 v0, 0, v0, vcc_lo
	v_mad_u64_u32 v[6:7], null, 0xcd9e8d57, v39, 0
	v_add_nc_u32_e32 v40, v0, v40
	v_xor_b32_e32 v0, v5, v11
	s_delay_alu instid0(VALU_DEP_3) | instskip(NEXT) | instid1(VALU_DEP_2)
	v_xor3_b32 v5, v7, v10, v17
	v_xor_b32_e32 v0, v40, v0
	s_delay_alu instid0(VALU_DEP_2) | instskip(NEXT) | instid1(VALU_DEP_2)
	v_mad_u64_u32 v[7:8], null, 0xd2511f53, v5, 0
	v_mad_u64_u32 v[14:15], null, 0xcd9e8d57, v0, 0
	s_delay_alu instid0(VALU_DEP_2) | instskip(NEXT) | instid1(VALU_DEP_2)
	v_xor3_b32 v0, v18, v8, v4
	v_xor3_b32 v6, v19, v15, v6
	s_delay_alu instid0(VALU_DEP_2) | instskip(NEXT) | instid1(VALU_DEP_2)
	v_mad_u64_u32 v[4:5], null, 0xcd9e8d57, v0, 0
	v_mad_u64_u32 v[8:9], null, 0xd2511f53, v6, 0
	s_delay_alu instid0(VALU_DEP_2) | instskip(NEXT) | instid1(VALU_DEP_2)
	v_xor3_b32 v0, v20, v5, v14
	v_xor3_b32 v7, v21, v9, v7
	;; [unrolled: 6-line block ×9, first 2 shown]
	s_delay_alu instid0(VALU_DEP_2)
	v_mov_b32_e32 v5, v8
	v_cmpx_lt_i32_e32 1, v34
	s_xor_b32 s11, exec_lo, s11
	s_cbranch_execnz .LBB84_14
; %bb.9:                                ;   in Loop: Header=BB84_8 Depth=1
	s_and_not1_saveexec_b32 s11, s11
	s_cbranch_execnz .LBB84_19
.LBB84_10:                              ;   in Loop: Header=BB84_8 Depth=1
	s_or_b32 exec_lo, exec_lo, s11
	s_delay_alu instid0(SALU_CYCLE_1)
	s_mov_b32 s11, exec_lo
	v_cmpx_gt_i64_e64 s[4:5], v[12:13]
	s_cbranch_execz .LBB84_12
.LBB84_11:                              ;   in Loop: Header=BB84_8 Depth=1
	v_add_nc_u32_e32 v0, s10, v37
	s_delay_alu instid0(VALU_DEP_1) | instskip(SKIP_2) | instid1(VALU_DEP_3)
	v_ashrrev_i32_e32 v2, 31, v0
	v_add_co_u32 v6, vcc_lo, s6, v0
	v_and_b32_e32 v0, 0x7fff, v1
	v_add_co_ci_u32_e32 v7, vcc_lo, s7, v2, vcc_lo
	global_store_b16 v[6:7], v0, off
.LBB84_12:                              ;   in Loop: Header=BB84_8 Depth=1
	s_or_b32 exec_lo, exec_lo, s11
	v_add_co_u32 v0, vcc_lo, s8, v12
	v_add_co_ci_u32_e32 v1, vcc_lo, 0, v13, vcc_lo
	s_mov_b32 s11, exec_lo
	s_delay_alu instid0(VALU_DEP_1)
	v_cmpx_gt_i64_e64 s[4:5], v[0:1]
	s_cbranch_execz .LBB84_7
; %bb.13:                               ;   in Loop: Header=BB84_8 Depth=1
	v_add_nc_u32_e32 v0, s10, v38
	v_and_b32_e32 v2, 0x7fff, v3
	s_delay_alu instid0(VALU_DEP_2) | instskip(SKIP_1) | instid1(VALU_DEP_2)
	v_ashrrev_i32_e32 v1, 31, v0
	v_add_co_u32 v0, vcc_lo, s6, v0
	v_add_co_ci_u32_e32 v1, vcc_lo, s7, v1, vcc_lo
	global_store_b16 v[0:1], v2, off
	s_branch .LBB84_7
.LBB84_14:                              ;   in Loop: Header=BB84_8 Depth=1
	s_mov_b32 s12, exec_lo
	v_cmpx_lt_i32_e32 2, v34
	s_xor_b32 s12, exec_lo, s12
; %bb.15:                               ;   in Loop: Header=BB84_8 Depth=1
	v_dual_mov_b32 v0, v5 :: v_dual_mov_b32 v1, v6
	v_dual_mov_b32 v2, v7 :: v_dual_mov_b32 v3, v8
; %bb.16:                               ;   in Loop: Header=BB84_8 Depth=1
	s_and_not1_saveexec_b32 s12, s12
; %bb.17:                               ;   in Loop: Header=BB84_8 Depth=1
	s_delay_alu instid0(VALU_DEP_1)
	v_mov_b32_e32 v1, v3
	v_mov_b32_e32 v3, v4
; %bb.18:                               ;   in Loop: Header=BB84_8 Depth=1
	s_or_b32 exec_lo, exec_lo, s12
                                        ; implicit-def: $vgpr6_vgpr7_vgpr8_vgpr9
	s_and_not1_saveexec_b32 s11, s11
	s_cbranch_execz .LBB84_10
.LBB84_19:                              ;   in Loop: Header=BB84_8 Depth=1
	s_mov_b32 s12, exec_lo
	v_cmpx_eq_u32_e32 1, v34
; %bb.20:                               ;   in Loop: Header=BB84_8 Depth=1
	v_mov_b32_e32 v1, v2
	v_mov_b32_e32 v3, v6
; %bb.21:                               ;   in Loop: Header=BB84_8 Depth=1
	s_or_b32 exec_lo, exec_lo, s12
	s_delay_alu instid0(SALU_CYCLE_1) | instskip(NEXT) | instid1(SALU_CYCLE_1)
	s_or_b32 exec_lo, exec_lo, s11
	s_mov_b32 s11, exec_lo
	v_cmpx_gt_i64_e64 s[4:5], v[12:13]
	s_cbranch_execnz .LBB84_11
	s_branch .LBB84_12
.LBB84_22:
	s_endpgm
.LBB84_23:
                                        ; implicit-def: $sgpr2_sgpr3
	s_branch .LBB84_4
	.section	.rodata,"a",@progbits
	.p2align	6, 0x0
	.amdhsa_kernel _ZN2at6native12_GLOBAL__N_143distribution_elementwise_grid_stride_kernelImLi2EZZZNS0_9templates4cuda13random_kernelIPNS_17CUDAGeneratorImplEEEvRNS_18TensorIteratorBaseET_ENKUlvE_clEvENKUlvE3_clEvEUlP25hiprandStatePhilox4_32_10E_ZNS1_27distribution_nullary_kernelIsm15HIP_vector_typeIyLj2EES7_SF_ZZZNS5_IS7_EEvS9_SA_ENKSB_clEvENKSC_clEvEUlmE_EEvS9_T2_RKT3_T4_EUlimE_EEvlNS_15PhiloxCudaStateET1_SK_
		.amdhsa_group_segment_fixed_size 0
		.amdhsa_private_segment_fixed_size 0
		.amdhsa_kernarg_size 320
		.amdhsa_user_sgpr_count 15
		.amdhsa_user_sgpr_dispatch_ptr 0
		.amdhsa_user_sgpr_queue_ptr 0
		.amdhsa_user_sgpr_kernarg_segment_ptr 1
		.amdhsa_user_sgpr_dispatch_id 0
		.amdhsa_user_sgpr_private_segment_size 0
		.amdhsa_wavefront_size32 1
		.amdhsa_uses_dynamic_stack 0
		.amdhsa_enable_private_segment 0
		.amdhsa_system_sgpr_workgroup_id_x 1
		.amdhsa_system_sgpr_workgroup_id_y 0
		.amdhsa_system_sgpr_workgroup_id_z 0
		.amdhsa_system_sgpr_workgroup_info 0
		.amdhsa_system_vgpr_workitem_id 0
		.amdhsa_next_free_vgpr 43
		.amdhsa_next_free_sgpr 23
		.amdhsa_reserve_vcc 1
		.amdhsa_float_round_mode_32 0
		.amdhsa_float_round_mode_16_64 0
		.amdhsa_float_denorm_mode_32 3
		.amdhsa_float_denorm_mode_16_64 3
		.amdhsa_dx10_clamp 1
		.amdhsa_ieee_mode 1
		.amdhsa_fp16_overflow 0
		.amdhsa_workgroup_processor_mode 1
		.amdhsa_memory_ordered 1
		.amdhsa_forward_progress 0
		.amdhsa_shared_vgpr_count 0
		.amdhsa_exception_fp_ieee_invalid_op 0
		.amdhsa_exception_fp_denorm_src 0
		.amdhsa_exception_fp_ieee_div_zero 0
		.amdhsa_exception_fp_ieee_overflow 0
		.amdhsa_exception_fp_ieee_underflow 0
		.amdhsa_exception_fp_ieee_inexact 0
		.amdhsa_exception_int_div_zero 0
	.end_amdhsa_kernel
	.section	.text._ZN2at6native12_GLOBAL__N_143distribution_elementwise_grid_stride_kernelImLi2EZZZNS0_9templates4cuda13random_kernelIPNS_17CUDAGeneratorImplEEEvRNS_18TensorIteratorBaseET_ENKUlvE_clEvENKUlvE3_clEvEUlP25hiprandStatePhilox4_32_10E_ZNS1_27distribution_nullary_kernelIsm15HIP_vector_typeIyLj2EES7_SF_ZZZNS5_IS7_EEvS9_SA_ENKSB_clEvENKSC_clEvEUlmE_EEvS9_T2_RKT3_T4_EUlimE_EEvlNS_15PhiloxCudaStateET1_SK_,"axG",@progbits,_ZN2at6native12_GLOBAL__N_143distribution_elementwise_grid_stride_kernelImLi2EZZZNS0_9templates4cuda13random_kernelIPNS_17CUDAGeneratorImplEEEvRNS_18TensorIteratorBaseET_ENKUlvE_clEvENKUlvE3_clEvEUlP25hiprandStatePhilox4_32_10E_ZNS1_27distribution_nullary_kernelIsm15HIP_vector_typeIyLj2EES7_SF_ZZZNS5_IS7_EEvS9_SA_ENKSB_clEvENKSC_clEvEUlmE_EEvS9_T2_RKT3_T4_EUlimE_EEvlNS_15PhiloxCudaStateET1_SK_,comdat
.Lfunc_end84:
	.size	_ZN2at6native12_GLOBAL__N_143distribution_elementwise_grid_stride_kernelImLi2EZZZNS0_9templates4cuda13random_kernelIPNS_17CUDAGeneratorImplEEEvRNS_18TensorIteratorBaseET_ENKUlvE_clEvENKUlvE3_clEvEUlP25hiprandStatePhilox4_32_10E_ZNS1_27distribution_nullary_kernelIsm15HIP_vector_typeIyLj2EES7_SF_ZZZNS5_IS7_EEvS9_SA_ENKSB_clEvENKSC_clEvEUlmE_EEvS9_T2_RKT3_T4_EUlimE_EEvlNS_15PhiloxCudaStateET1_SK_, .Lfunc_end84-_ZN2at6native12_GLOBAL__N_143distribution_elementwise_grid_stride_kernelImLi2EZZZNS0_9templates4cuda13random_kernelIPNS_17CUDAGeneratorImplEEEvRNS_18TensorIteratorBaseET_ENKUlvE_clEvENKUlvE3_clEvEUlP25hiprandStatePhilox4_32_10E_ZNS1_27distribution_nullary_kernelIsm15HIP_vector_typeIyLj2EES7_SF_ZZZNS5_IS7_EEvS9_SA_ENKSB_clEvENKSC_clEvEUlmE_EEvS9_T2_RKT3_T4_EUlimE_EEvlNS_15PhiloxCudaStateET1_SK_
                                        ; -- End function
	.section	.AMDGPU.csdata,"",@progbits
; Kernel info:
; codeLenInByte = 2588
; NumSgprs: 25
; NumVgprs: 43
; ScratchSize: 0
; MemoryBound: 0
; FloatMode: 240
; IeeeMode: 1
; LDSByteSize: 0 bytes/workgroup (compile time only)
; SGPRBlocks: 3
; VGPRBlocks: 5
; NumSGPRsForWavesPerEU: 25
; NumVGPRsForWavesPerEU: 43
; Occupancy: 16
; WaveLimiterHint : 0
; COMPUTE_PGM_RSRC2:SCRATCH_EN: 0
; COMPUTE_PGM_RSRC2:USER_SGPR: 15
; COMPUTE_PGM_RSRC2:TRAP_HANDLER: 0
; COMPUTE_PGM_RSRC2:TGID_X_EN: 1
; COMPUTE_PGM_RSRC2:TGID_Y_EN: 0
; COMPUTE_PGM_RSRC2:TGID_Z_EN: 0
; COMPUTE_PGM_RSRC2:TIDIG_COMP_CNT: 0
	.section	.text._ZN2at6native12_GLOBAL__N_143distribution_elementwise_grid_stride_kernelImLi2EZZZNS0_9templates4cuda13random_kernelIPNS_17CUDAGeneratorImplEEEvRNS_18TensorIteratorBaseET_ENKUlvE_clEvENKUlvE3_clEvEUlP25hiprandStatePhilox4_32_10E_ZNS1_27distribution_nullary_kernelIsm15HIP_vector_typeIyLj2EES7_SF_ZZZNS5_IS7_EEvS9_SA_ENKSB_clEvENKSC_clEvEUlmE_EEvS9_T2_RKT3_T4_EUlimE0_EEvlNS_15PhiloxCudaStateET1_SK_,"axG",@progbits,_ZN2at6native12_GLOBAL__N_143distribution_elementwise_grid_stride_kernelImLi2EZZZNS0_9templates4cuda13random_kernelIPNS_17CUDAGeneratorImplEEEvRNS_18TensorIteratorBaseET_ENKUlvE_clEvENKUlvE3_clEvEUlP25hiprandStatePhilox4_32_10E_ZNS1_27distribution_nullary_kernelIsm15HIP_vector_typeIyLj2EES7_SF_ZZZNS5_IS7_EEvS9_SA_ENKSB_clEvENKSC_clEvEUlmE_EEvS9_T2_RKT3_T4_EUlimE0_EEvlNS_15PhiloxCudaStateET1_SK_,comdat
	.globl	_ZN2at6native12_GLOBAL__N_143distribution_elementwise_grid_stride_kernelImLi2EZZZNS0_9templates4cuda13random_kernelIPNS_17CUDAGeneratorImplEEEvRNS_18TensorIteratorBaseET_ENKUlvE_clEvENKUlvE3_clEvEUlP25hiprandStatePhilox4_32_10E_ZNS1_27distribution_nullary_kernelIsm15HIP_vector_typeIyLj2EES7_SF_ZZZNS5_IS7_EEvS9_SA_ENKSB_clEvENKSC_clEvEUlmE_EEvS9_T2_RKT3_T4_EUlimE0_EEvlNS_15PhiloxCudaStateET1_SK_ ; -- Begin function _ZN2at6native12_GLOBAL__N_143distribution_elementwise_grid_stride_kernelImLi2EZZZNS0_9templates4cuda13random_kernelIPNS_17CUDAGeneratorImplEEEvRNS_18TensorIteratorBaseET_ENKUlvE_clEvENKUlvE3_clEvEUlP25hiprandStatePhilox4_32_10E_ZNS1_27distribution_nullary_kernelIsm15HIP_vector_typeIyLj2EES7_SF_ZZZNS5_IS7_EEvS9_SA_ENKSB_clEvENKSC_clEvEUlmE_EEvS9_T2_RKT3_T4_EUlimE0_EEvlNS_15PhiloxCudaStateET1_SK_
	.p2align	8
	.type	_ZN2at6native12_GLOBAL__N_143distribution_elementwise_grid_stride_kernelImLi2EZZZNS0_9templates4cuda13random_kernelIPNS_17CUDAGeneratorImplEEEvRNS_18TensorIteratorBaseET_ENKUlvE_clEvENKUlvE3_clEvEUlP25hiprandStatePhilox4_32_10E_ZNS1_27distribution_nullary_kernelIsm15HIP_vector_typeIyLj2EES7_SF_ZZZNS5_IS7_EEvS9_SA_ENKSB_clEvENKSC_clEvEUlmE_EEvS9_T2_RKT3_T4_EUlimE0_EEvlNS_15PhiloxCudaStateET1_SK_,@function
_ZN2at6native12_GLOBAL__N_143distribution_elementwise_grid_stride_kernelImLi2EZZZNS0_9templates4cuda13random_kernelIPNS_17CUDAGeneratorImplEEEvRNS_18TensorIteratorBaseET_ENKUlvE_clEvENKUlvE3_clEvEUlP25hiprandStatePhilox4_32_10E_ZNS1_27distribution_nullary_kernelIsm15HIP_vector_typeIyLj2EES7_SF_ZZZNS5_IS7_EEvS9_SA_ENKSB_clEvENKSC_clEvEUlmE_EEvS9_T2_RKT3_T4_EUlimE0_EEvlNS_15PhiloxCudaStateET1_SK_: ; @_ZN2at6native12_GLOBAL__N_143distribution_elementwise_grid_stride_kernelImLi2EZZZNS0_9templates4cuda13random_kernelIPNS_17CUDAGeneratorImplEEEvRNS_18TensorIteratorBaseET_ENKUlvE_clEvENKUlvE3_clEvEUlP25hiprandStatePhilox4_32_10E_ZNS1_27distribution_nullary_kernelIsm15HIP_vector_typeIyLj2EES7_SF_ZZZNS5_IS7_EEvS9_SA_ENKSB_clEvENKSC_clEvEUlmE_EEvS9_T2_RKT3_T4_EUlimE0_EEvlNS_15PhiloxCudaStateET1_SK_
; %bb.0:
	s_clause 0x2
	s_load_b64 s[4:5], s[0:1], 0x10
	s_load_b128 s[16:19], s[0:1], 0x0
	s_load_b32 s2, s[0:1], 0x20
	s_waitcnt lgkmcnt(0)
	v_dual_mov_b32 v2, s4 :: v_dual_mov_b32 v3, s5
	v_dual_mov_b32 v10, s18 :: v_dual_mov_b32 v11, s19
	s_bitcmp0_b32 s2, 0
	s_mov_b32 s2, 0
	s_cbranch_scc1 .LBB85_2
; %bb.1:
	v_dual_mov_b32 v1, s4 :: v_dual_mov_b32 v2, s5
	v_dual_mov_b32 v4, s18 :: v_dual_mov_b32 v5, s19
	s_load_b64 s[4:5], s[0:1], 0x18
	flat_load_b64 v[2:3], v[1:2]
	flat_load_b64 v[10:11], v[4:5]
	s_waitcnt vmcnt(1) lgkmcnt(0)
	v_add_co_u32 v2, vcc_lo, v2, s4
	v_add_co_ci_u32_e32 v3, vcc_lo, s5, v3, vcc_lo
.LBB85_2:
	s_clause 0x1
	s_load_b32 s3, s[0:1], 0x154
	s_load_b32 s4, s[0:1], 0x148
	s_waitcnt lgkmcnt(0)
	s_and_b32 s5, s3, 0xffff
	s_add_u32 s6, s16, -1
	s_mul_i32 s24, s4, s5
	s_addc_u32 s3, s17, -1
	s_lshl_b32 s25, s24, 1
	s_cmp_lg_u64 s[2:3], 0
	s_cbranch_scc0 .LBB85_49
; %bb.3:
	v_cvt_f32_ubyte0_e32 v1, 0
	v_cvt_f32_u32_e32 v4, s25
	s_sub_u32 s8, 0, s25
	s_subb_u32 s9, 0, 0
	s_delay_alu instid0(VALU_DEP_1) | instskip(NEXT) | instid1(VALU_DEP_1)
	v_fmamk_f32 v1, v1, 0x4f800000, v4
	v_rcp_f32_e32 v1, v1
	s_waitcnt_depctr 0xfff
	v_mul_f32_e32 v1, 0x5f7ffffc, v1
	s_delay_alu instid0(VALU_DEP_1) | instskip(NEXT) | instid1(VALU_DEP_1)
	v_mul_f32_e32 v4, 0x2f800000, v1
	v_trunc_f32_e32 v4, v4
	s_delay_alu instid0(VALU_DEP_1) | instskip(SKIP_1) | instid1(VALU_DEP_2)
	v_fmamk_f32 v1, v4, 0xcf800000, v1
	v_cvt_u32_f32_e32 v4, v4
	v_cvt_u32_f32_e32 v1, v1
	s_delay_alu instid0(VALU_DEP_2) | instskip(NEXT) | instid1(VALU_DEP_2)
	v_readfirstlane_b32 s2, v4
	v_readfirstlane_b32 s7, v1
	s_delay_alu instid0(VALU_DEP_2) | instskip(NEXT) | instid1(VALU_DEP_1)
	s_mul_i32 s10, s8, s2
	s_mul_hi_u32 s12, s8, s7
	s_mul_i32 s11, s9, s7
	s_add_i32 s10, s12, s10
	s_mul_i32 s13, s8, s7
	s_add_i32 s10, s10, s11
	s_mul_hi_u32 s12, s7, s13
	s_mul_hi_u32 s14, s2, s13
	s_mul_i32 s11, s2, s13
	s_mul_hi_u32 s13, s7, s10
	s_mul_i32 s7, s7, s10
	s_mul_hi_u32 s18, s2, s10
	s_add_u32 s7, s12, s7
	s_addc_u32 s12, 0, s13
	s_add_u32 s7, s7, s11
	s_mul_i32 s10, s2, s10
	s_addc_u32 s7, s12, s14
	s_addc_u32 s11, s18, 0
	s_add_u32 s7, s7, s10
	s_addc_u32 s10, 0, s11
	v_add_co_u32 v1, s7, v1, s7
	s_delay_alu instid0(VALU_DEP_1) | instskip(SKIP_1) | instid1(VALU_DEP_1)
	s_cmp_lg_u32 s7, 0
	s_addc_u32 s2, s2, s10
	v_readfirstlane_b32 s7, v1
	s_mul_i32 s10, s8, s2
	s_delay_alu instid0(VALU_DEP_1)
	s_mul_hi_u32 s11, s8, s7
	s_mul_i32 s9, s9, s7
	s_add_i32 s10, s11, s10
	s_mul_i32 s8, s8, s7
	s_add_i32 s10, s10, s9
	s_mul_hi_u32 s11, s2, s8
	s_mul_i32 s12, s2, s8
	s_mul_hi_u32 s8, s7, s8
	s_mul_hi_u32 s13, s7, s10
	s_mul_i32 s7, s7, s10
	s_mul_hi_u32 s9, s2, s10
	s_add_u32 s7, s8, s7
	s_addc_u32 s8, 0, s13
	s_add_u32 s7, s7, s12
	s_mul_i32 s10, s2, s10
	s_addc_u32 s7, s8, s11
	s_addc_u32 s8, s9, 0
	s_add_u32 s7, s7, s10
	s_addc_u32 s8, 0, s8
	v_add_co_u32 v1, s7, v1, s7
	s_delay_alu instid0(VALU_DEP_1) | instskip(SKIP_2) | instid1(VALU_DEP_1)
	s_cmp_lg_u32 s7, 0
	s_addc_u32 s7, s2, s8
	s_ashr_i32 s8, s3, 31
	v_readfirstlane_b32 s10, v1
	s_add_u32 s2, s6, s8
	s_mov_b32 s9, s8
	s_addc_u32 s3, s3, s8
	s_delay_alu instid0(SALU_CYCLE_1) | instskip(NEXT) | instid1(SALU_CYCLE_1)
	s_xor_b64 s[2:3], s[2:3], s[8:9]
	s_mul_i32 s12, s2, s7
	s_mul_hi_u32 s13, s2, s10
	s_mul_hi_u32 s11, s2, s7
	;; [unrolled: 1-line block ×3, first 2 shown]
	s_mul_i32 s10, s3, s10
	s_add_u32 s12, s13, s12
	s_addc_u32 s11, 0, s11
	s_mul_hi_u32 s14, s3, s7
	s_add_u32 s10, s12, s10
	s_mul_i32 s7, s3, s7
	s_addc_u32 s10, s11, s18
	s_addc_u32 s11, s14, 0
	s_add_u32 s7, s10, s7
	s_addc_u32 s10, 0, s11
	s_mul_i32 s12, s25, s7
	s_add_u32 s11, s7, 1
	v_sub_co_u32 v1, s2, s2, s12
	s_mul_hi_u32 s12, s25, s7
	s_addc_u32 s13, s10, 0
	s_mul_i32 s14, s25, s10
	s_delay_alu instid0(VALU_DEP_1)
	v_sub_co_u32 v4, s18, v1, s25
	s_add_u32 s19, s7, 2
	s_addc_u32 s20, s10, 0
	s_add_i32 s12, s12, s14
	s_cmp_lg_u32 s2, 0
	v_readfirstlane_b32 s2, v4
	s_subb_u32 s3, s3, s12
	s_cmp_lg_u32 s18, 0
	s_subb_u32 s12, s3, 0
	s_delay_alu instid0(VALU_DEP_1) | instskip(SKIP_4) | instid1(SALU_CYCLE_1)
	s_cmp_ge_u32 s2, s25
	s_cselect_b32 s2, -1, 0
	s_cmp_eq_u32 s12, 0
	v_readfirstlane_b32 s12, v1
	s_cselect_b32 s2, s2, -1
	s_cmp_lg_u32 s2, 0
	s_cselect_b32 s2, s19, s11
	s_cselect_b32 s11, s20, s13
	s_cmp_ge_u32 s12, s25
	s_cselect_b32 s12, -1, 0
	s_cmp_eq_u32 s3, 0
	s_cselect_b32 s3, s12, -1
	s_delay_alu instid0(SALU_CYCLE_1) | instskip(SKIP_2) | instid1(SALU_CYCLE_1)
	s_cmp_lg_u32 s3, 0
	s_cselect_b32 s3, s11, s10
	s_cselect_b32 s2, s2, s7
	s_xor_b64 s[2:3], s[2:3], s[8:9]
	s_delay_alu instid0(SALU_CYCLE_1)
	s_sub_u32 s2, s2, s8
	s_subb_u32 s3, s3, s8
	s_cbranch_execnz .LBB85_5
.LBB85_4:
	v_cvt_f32_u32_e32 v1, s25
	s_sub_i32 s3, 0, s25
	s_delay_alu instid0(VALU_DEP_1) | instskip(SKIP_2) | instid1(VALU_DEP_1)
	v_rcp_iflag_f32_e32 v1, v1
	s_waitcnt_depctr 0xfff
	v_mul_f32_e32 v1, 0x4f7ffffe, v1
	v_cvt_u32_f32_e32 v1, v1
	s_delay_alu instid0(VALU_DEP_1) | instskip(NEXT) | instid1(VALU_DEP_1)
	v_readfirstlane_b32 s2, v1
	s_mul_i32 s3, s3, s2
	s_delay_alu instid0(SALU_CYCLE_1) | instskip(NEXT) | instid1(SALU_CYCLE_1)
	s_mul_hi_u32 s3, s2, s3
	s_add_i32 s2, s2, s3
	s_delay_alu instid0(SALU_CYCLE_1) | instskip(NEXT) | instid1(SALU_CYCLE_1)
	s_mul_hi_u32 s2, s6, s2
	s_mul_i32 s3, s2, s25
	s_delay_alu instid0(SALU_CYCLE_1)
	s_sub_i32 s3, s6, s3
	s_add_i32 s6, s2, 1
	s_sub_i32 s7, s3, s25
	s_cmp_ge_u32 s3, s25
	s_cselect_b32 s2, s6, s2
	s_cselect_b32 s3, s7, s3
	s_add_i32 s6, s2, 1
	s_cmp_ge_u32 s3, s25
	s_mov_b32 s3, 0
	s_cselect_b32 s2, s6, s2
.LBB85_5:
	v_mov_b32_e32 v1, 0
	s_add_u32 s2, s2, 1
	s_addc_u32 s3, s3, 0
	s_mul_hi_u32 s6, s24, s2
	s_mul_i32 s3, s24, s3
	v_mad_u64_u32 v[12:13], null, s5, s15, v[0:1]
	s_mul_hi_u32 s4, s4, s5
	s_add_i32 s3, s6, s3
	s_mul_i32 s4, s4, s2
	s_mul_i32 s2, s24, s2
	s_add_i32 s3, s3, s4
	s_mov_b32 s4, exec_lo
	s_lshl_b64 s[2:3], s[2:3], 1
	s_delay_alu instid0(SALU_CYCLE_1)
	v_cmpx_gt_i64_e64 s[2:3], v[12:13]
	s_cbranch_execz .LBB85_48
; %bb.6:
	v_alignbit_b32 v16, v3, v2, 2
	v_mad_u64_u32 v[0:1], null, 0xcd9e8d57, v12, 0
	v_lshrrev_b32_e32 v17, 2, v3
	s_waitcnt vmcnt(0)
	v_dual_mov_b32 v9, v11 :: v_dual_and_b32 v26, 3, v2
	v_mad_u64_u32 v[3:4], null, 0xd2511f53, v16, 0
	v_add_co_u32 v19, null, 0x9e3779b9, v10
	v_xor3_b32 v1, v10, v1, v17
	s_delay_alu instid0(VALU_DEP_4) | instskip(SKIP_2) | instid1(VALU_DEP_4)
	v_add_co_u32 v18, null, 0xbb67ae85, v9
	v_add_co_u32 v20, null, 0x3c6ef372, v10
	v_xor_b32_e32 v6, v4, v11
	v_mad_u64_u32 v[4:5], null, 0xd2511f53, v1, 0
	v_add_co_u32 v21, null, 0x76cf5d0a, v9
	s_delay_alu instid0(VALU_DEP_3) | instskip(SKIP_3) | instid1(VALU_DEP_4)
	v_xor_b32_e32 v1, v6, v13
	v_add_co_u32 v22, null, 0x32370b8f, v9
	v_add_co_u32 v23, null, 0xdaa66d2b, v10
	v_xor3_b32 v3, v18, v5, v3
	v_mad_u64_u32 v[5:6], null, 0xcd9e8d57, v1, 0
	v_add_co_u32 v24, null, 0x78dde6e4, v10
	s_delay_alu instid0(VALU_DEP_3) | instskip(SKIP_1) | instid1(VALU_DEP_4)
	v_mad_u64_u32 v[7:8], null, 0xcd9e8d57, v3, 0
	v_add_co_u32 v25, null, 0xed9eba14, v9
	v_xor3_b32 v3, v19, v6, v0
	v_add_co_u32 v27, null, 0xa9066899, v9
	v_add_co_u32 v29, null, 0x1715609d, v10
	v_xor3_b32 v8, v20, v8, v5
	s_delay_alu instid0(VALU_DEP_4) | instskip(SKIP_1) | instid1(VALU_DEP_3)
	v_mad_u64_u32 v[0:1], null, 0xd2511f53, v3, 0
	v_add_co_u32 v30, null, 0xb54cda56, v10
	v_mad_u64_u32 v[5:6], null, 0xd2511f53, v8, 0
	v_add_co_u32 v32, null, 0x646e171e, v9
	s_delay_alu instid0(VALU_DEP_4) | instskip(SKIP_2) | instid1(VALU_DEP_4)
	v_xor3_b32 v3, v21, v1, v4
	s_load_b256 s[4:11], s[0:1], 0x30
	v_add_co_u32 v33, null, 0x1fd5c5a3, v9
	v_xor3_b32 v6, v22, v6, v0
	s_delay_alu instid0(VALU_DEP_3) | instskip(SKIP_1) | instid1(VALU_DEP_3)
	v_mad_u64_u32 v[0:1], null, 0xcd9e8d57, v3, 0
	v_add_co_u32 v28, null, 0x5384540f, v10
	v_mad_u64_u32 v[3:4], null, 0xcd9e8d57, v6, 0
	v_add_co_u32 v31, null, 0xf1bbcdc8, v10
	s_delay_alu instid0(VALU_DEP_4)
	v_xor3_b32 v6, v23, v1, v7
	s_add_u32 s12, s0, 48
	s_addc_u32 s13, s1, 0
	s_clause 0x1
	s_load_b64 s[14:15], s[0:1], 0xf4
	s_load_b64 s[18:19], s[0:1], 0x138
	v_xor3_b32 v4, v24, v4, v0
	v_mad_u64_u32 v[0:1], null, 0xd2511f53, v6, 0
	v_add_co_u32 v34, null, 0xdb3d7428, v9
	s_delay_alu instid0(VALU_DEP_3) | instskip(SKIP_3) | instid1(VALU_DEP_4)
	v_mad_u64_u32 v[6:7], null, 0xd2511f53, v4, 0
	s_waitcnt lgkmcnt(0)
	s_add_i32 s20, s4, -1
	v_dual_mov_b32 v37, v12 :: v_dual_add_nc_u32 v36, 0x96a522ad, v11
	v_xor3_b32 v2, v25, v1, v5
	s_cmp_gt_u32 s20, 1
	v_dual_mov_b32 v38, v13 :: v_dual_add_nc_u32 v35, 0x8ff34781, v10
	s_delay_alu instid0(VALU_DEP_4) | instskip(NEXT) | instid1(VALU_DEP_3)
	v_xor3_b32 v7, v27, v7, v0
	v_mad_u64_u32 v[0:1], null, 0xcd9e8d57, v2, 0
	s_cselect_b32 s11, -1, 0
	s_cmp_lg_u32 s4, 0
	s_delay_alu instid0(VALU_DEP_2) | instskip(SKIP_2) | instid1(VALU_DEP_2)
	v_mad_u64_u32 v[4:5], null, 0xcd9e8d57, v7, 0
	s_cselect_b32 s27, -1, 0
	s_add_u32 s0, s0, 0xf4
	v_xor3_b32 v2, v29, v1, v3
	s_addc_u32 s1, s1, 0
	s_min_u32 s21, s20, 15
	s_cmp_gt_u32 s4, 1
	s_delay_alu instid0(VALU_DEP_2) | instskip(SKIP_3) | instid1(VALU_DEP_2)
	v_xor3_b32 v5, v30, v5, v0
	v_mad_u64_u32 v[0:1], null, 0xd2511f53, v2, 0
	s_cselect_b32 s4, -1, 0
	s_add_i32 s21, s21, 1
	v_mad_u64_u32 v[2:3], null, 0xd2511f53, v5, 0
	s_and_b32 s28, s21, 3
	s_cmp_lg_u32 s20, 2
	s_delay_alu instid0(VALU_DEP_2) | instskip(SKIP_3) | instid1(VALU_DEP_2)
	v_xor3_b32 v5, v32, v1, v6
	s_cselect_b32 s29, -1, 0
	s_and_b32 s30, s21, 28
	s_cmp_lg_u32 s28, 0
	v_xor3_b32 v3, v33, v3, v0
	v_mad_u64_u32 v[0:1], null, 0xcd9e8d57, v5, 0
	s_mov_b32 s26, 0
	s_cselect_b32 s31, -1, 0
	s_delay_alu instid0(VALU_DEP_2) | instskip(NEXT) | instid1(VALU_DEP_2)
	v_mad_u64_u32 v[5:6], null, 0xcd9e8d57, v3, 0
	v_xor3_b32 v3, v28, v1, v4
	s_delay_alu instid0(VALU_DEP_2) | instskip(NEXT) | instid1(VALU_DEP_2)
	v_xor3_b32 v5, v31, v6, v0
	v_mad_u64_u32 v[0:1], null, 0xd2511f53, v3, 0
	s_delay_alu instid0(VALU_DEP_2) | instskip(NEXT) | instid1(VALU_DEP_2)
	v_mad_u64_u32 v[3:4], null, 0xd2511f53, v5, 0
	v_xor3_b32 v5, v34, v1, v2
	s_delay_alu instid0(VALU_DEP_1) | instskip(NEXT) | instid1(VALU_DEP_3)
	v_mad_u64_u32 v[1:2], null, 0xcd9e8d57, v5, 0
	v_xor3_b32 v2, v4, v0, v36
	s_branch .LBB85_9
.LBB85_7:                               ;   in Loop: Header=BB85_9 Depth=1
	v_and_b32_e32 v0, 0x7fff, v3
	global_store_b16 v1, v0, s[18:19]
.LBB85_8:                               ;   in Loop: Header=BB85_9 Depth=1
	s_or_b32 exec_lo, exec_lo, s33
	v_add_co_u32 v12, vcc_lo, v12, s25
	v_add_co_ci_u32_e32 v13, vcc_lo, 0, v13, vcc_lo
	v_mov_b32_e32 v6, v14
	v_mov_b32_e32 v0, v3
	v_dual_mov_b32 v1, v4 :: v_dual_mov_b32 v2, v5
	s_delay_alu instid0(VALU_DEP_4) | instskip(NEXT) | instid1(VALU_DEP_4)
	v_cmp_le_i64_e32 vcc_lo, s[2:3], v[12:13]
	v_mov_b32_e32 v3, v6
	s_waitcnt_vscnt null, 0x0
	s_barrier
	buffer_gl0_inv
	s_or_b32 s26, vcc_lo, s26
	s_delay_alu instid0(SALU_CYCLE_1)
	s_and_not1_b32 exec_lo, exec_lo, s26
	s_cbranch_execz .LBB85_48
.LBB85_9:                               ; =>This Loop Header: Depth=1
                                        ;     Child Loop BB85_24 Depth 2
                                        ;     Child Loop BB85_29 Depth 2
	;; [unrolled: 1-line block ×4, first 2 shown]
	v_add_co_u32 v16, vcc_lo, v16, 1
	s_delay_alu instid0(VALU_DEP_1) | instskip(SKIP_1) | instid1(VALU_DEP_3)
	v_cndmask_b32_e64 v0, 0, 1, vcc_lo
	v_add_co_ci_u32_e32 v17, vcc_lo, 0, v17, vcc_lo
	v_mad_u64_u32 v[4:5], null, 0xd2511f53, v16, 0
	s_mov_b32 s20, exec_lo
	s_delay_alu instid0(VALU_DEP_2) | instskip(SKIP_1) | instid1(VALU_DEP_1)
	v_cmp_eq_u32_e32 vcc_lo, 0, v17
	v_cndmask_b32_e32 v0, 0, v0, vcc_lo
	v_add_nc_u32_e32 v37, v0, v37
	s_delay_alu instid0(VALU_DEP_1) | instskip(SKIP_2) | instid1(VALU_DEP_2)
	v_cmp_eq_u32_e32 vcc_lo, 0, v37
	v_cndmask_b32_e32 v0, 0, v0, vcc_lo
	v_mad_u64_u32 v[6:7], null, 0xcd9e8d57, v37, 0
	v_add_nc_u32_e32 v38, v0, v38
	v_xor_b32_e32 v0, v5, v11
	s_delay_alu instid0(VALU_DEP_3) | instskip(NEXT) | instid1(VALU_DEP_2)
	v_xor3_b32 v5, v7, v10, v17
	v_xor_b32_e32 v0, v38, v0
	s_delay_alu instid0(VALU_DEP_2) | instskip(NEXT) | instid1(VALU_DEP_2)
	v_mad_u64_u32 v[7:8], null, 0xd2511f53, v5, 0
	v_mad_u64_u32 v[14:15], null, 0xcd9e8d57, v0, 0
	s_delay_alu instid0(VALU_DEP_2) | instskip(NEXT) | instid1(VALU_DEP_2)
	v_xor3_b32 v0, v18, v8, v4
	v_xor3_b32 v6, v19, v15, v6
	s_delay_alu instid0(VALU_DEP_2) | instskip(NEXT) | instid1(VALU_DEP_2)
	v_mad_u64_u32 v[4:5], null, 0xcd9e8d57, v0, 0
	v_mad_u64_u32 v[8:9], null, 0xd2511f53, v6, 0
	s_delay_alu instid0(VALU_DEP_2) | instskip(NEXT) | instid1(VALU_DEP_2)
	v_xor3_b32 v0, v20, v5, v14
	v_xor3_b32 v7, v21, v9, v7
	;; [unrolled: 6-line block ×9, first 2 shown]
	s_delay_alu instid0(VALU_DEP_2)
	v_mov_b32_e32 v5, v8
	v_cmpx_lt_i32_e32 1, v26
	s_xor_b32 s20, exec_lo, s20
	s_cbranch_execnz .LBB85_12
; %bb.10:                               ;   in Loop: Header=BB85_9 Depth=1
	s_and_not1_saveexec_b32 s20, s20
	s_cbranch_execnz .LBB85_17
.LBB85_11:                              ;   in Loop: Header=BB85_9 Depth=1
	s_or_b32 exec_lo, exec_lo, s20
	s_delay_alu instid0(SALU_CYCLE_1)
	s_mov_b32 s33, exec_lo
	v_cmpx_gt_i64_e64 s[16:17], v[12:13]
	s_cbranch_execnz .LBB85_20
	s_branch .LBB85_34
.LBB85_12:                              ;   in Loop: Header=BB85_9 Depth=1
	s_mov_b32 s21, exec_lo
	v_cmpx_lt_i32_e32 2, v26
	s_xor_b32 s21, exec_lo, s21
; %bb.13:                               ;   in Loop: Header=BB85_9 Depth=1
	v_dual_mov_b32 v0, v5 :: v_dual_mov_b32 v1, v6
	v_dual_mov_b32 v2, v7 :: v_dual_mov_b32 v3, v8
; %bb.14:                               ;   in Loop: Header=BB85_9 Depth=1
	s_and_not1_saveexec_b32 s21, s21
; %bb.15:                               ;   in Loop: Header=BB85_9 Depth=1
	s_delay_alu instid0(VALU_DEP_1)
	v_mov_b32_e32 v1, v3
	v_mov_b32_e32 v3, v4
; %bb.16:                               ;   in Loop: Header=BB85_9 Depth=1
	s_or_b32 exec_lo, exec_lo, s21
                                        ; implicit-def: $vgpr6_vgpr7_vgpr8_vgpr9
	s_and_not1_saveexec_b32 s20, s20
	s_cbranch_execz .LBB85_11
.LBB85_17:                              ;   in Loop: Header=BB85_9 Depth=1
	s_mov_b32 s21, exec_lo
	v_cmpx_eq_u32_e32 1, v26
; %bb.18:                               ;   in Loop: Header=BB85_9 Depth=1
	v_mov_b32_e32 v1, v2
	v_mov_b32_e32 v3, v6
; %bb.19:                               ;   in Loop: Header=BB85_9 Depth=1
	s_or_b32 exec_lo, exec_lo, s21
	s_delay_alu instid0(SALU_CYCLE_1) | instskip(NEXT) | instid1(SALU_CYCLE_1)
	s_or_b32 exec_lo, exec_lo, s20
	s_mov_b32 s33, exec_lo
	v_cmpx_gt_i64_e64 s[16:17], v[12:13]
	s_cbranch_execz .LBB85_34
.LBB85_20:                              ;   in Loop: Header=BB85_9 Depth=1
	s_and_not1_b32 vcc_lo, exec_lo, s11
	s_cbranch_vccnz .LBB85_26
; %bb.21:                               ;   in Loop: Header=BB85_9 Depth=1
	v_mov_b32_e32 v0, 0
	s_and_not1_b32 vcc_lo, exec_lo, s27
	s_cbranch_vccnz .LBB85_30
; %bb.22:                               ;   in Loop: Header=BB85_9 Depth=1
	s_and_not1_b32 vcc_lo, exec_lo, s29
	s_mov_b32 s20, 0
	s_cbranch_vccnz .LBB85_27
; %bb.23:                               ;   in Loop: Header=BB85_9 Depth=1
	v_mov_b32_e32 v0, 0
	v_mov_b32_e32 v2, v12
	s_mov_b32 s34, 0
	s_mov_b64 s[20:21], s[12:13]
	s_mov_b64 s[22:23], s[0:1]
.LBB85_24:                              ;   Parent Loop BB85_9 Depth=1
                                        ; =>  This Inner Loop Header: Depth=2
	s_clause 0x1
	s_load_b256 s[36:43], s[20:21], 0x4
	s_load_b128 s[44:47], s[20:21], 0x24
	s_load_b128 s[48:51], s[22:23], 0x0
	s_add_u32 s20, s20, 48
	s_addc_u32 s21, s21, 0
	s_add_i32 s34, s34, 4
	s_add_u32 s22, s22, 16
	s_addc_u32 s23, s23, 0
	s_cmp_lg_u32 s30, s34
	s_waitcnt lgkmcnt(0)
	v_mul_hi_u32 v6, s37, v2
	s_delay_alu instid0(VALU_DEP_1) | instskip(NEXT) | instid1(VALU_DEP_1)
	v_add_nc_u32_e32 v6, v2, v6
	v_lshrrev_b32_e32 v6, s38, v6
	s_delay_alu instid0(VALU_DEP_1) | instskip(SKIP_1) | instid1(VALU_DEP_2)
	v_mul_hi_u32 v7, s40, v6
	v_mul_lo_u32 v15, v6, s36
	v_add_nc_u32_e32 v7, v6, v7
	s_delay_alu instid0(VALU_DEP_2) | instskip(NEXT) | instid1(VALU_DEP_2)
	v_sub_nc_u32_e32 v15, v2, v15
	v_lshrrev_b32_e32 v7, s41, v7
	s_delay_alu instid0(VALU_DEP_2) | instskip(NEXT) | instid1(VALU_DEP_2)
	v_mul_lo_u32 v15, v15, s48
	v_mul_hi_u32 v8, s43, v7
	v_mul_lo_u32 v39, v7, s39
	s_delay_alu instid0(VALU_DEP_2) | instskip(NEXT) | instid1(VALU_DEP_2)
	v_add_nc_u32_e32 v8, v7, v8
	v_sub_nc_u32_e32 v6, v6, v39
	s_delay_alu instid0(VALU_DEP_2) | instskip(NEXT) | instid1(VALU_DEP_2)
	v_lshrrev_b32_e32 v8, s44, v8
	v_mul_lo_u32 v6, v6, s49
	s_delay_alu instid0(VALU_DEP_2) | instskip(NEXT) | instid1(VALU_DEP_2)
	v_mul_hi_u32 v9, s46, v8
	v_add3_u32 v0, v15, v0, v6
	s_delay_alu instid0(VALU_DEP_2) | instskip(NEXT) | instid1(VALU_DEP_1)
	v_add_nc_u32_e32 v9, v8, v9
	v_lshrrev_b32_e32 v2, s47, v9
	v_mul_lo_u32 v9, v8, s42
	s_delay_alu instid0(VALU_DEP_2) | instskip(NEXT) | instid1(VALU_DEP_2)
	v_mul_lo_u32 v40, v2, s45
	v_sub_nc_u32_e32 v7, v7, v9
	s_delay_alu instid0(VALU_DEP_2) | instskip(NEXT) | instid1(VALU_DEP_2)
	v_sub_nc_u32_e32 v8, v8, v40
	v_mul_lo_u32 v7, v7, s50
	s_delay_alu instid0(VALU_DEP_2) | instskip(NEXT) | instid1(VALU_DEP_1)
	v_mul_lo_u32 v8, v8, s51
	v_add3_u32 v0, v7, v0, v8
	s_cbranch_scc1 .LBB85_24
; %bb.25:                               ;   in Loop: Header=BB85_9 Depth=1
	s_mov_b32 s20, s30
	s_and_not1_b32 vcc_lo, exec_lo, s31
	s_cbranch_vccz .LBB85_28
	s_branch .LBB85_30
.LBB85_26:                              ;   in Loop: Header=BB85_9 Depth=1
                                        ; implicit-def: $vgpr0
	s_branch .LBB85_31
.LBB85_27:                              ;   in Loop: Header=BB85_9 Depth=1
	v_mov_b32_e32 v2, v12
	s_and_not1_b32 vcc_lo, exec_lo, s31
	s_cbranch_vccnz .LBB85_30
.LBB85_28:                              ;   in Loop: Header=BB85_9 Depth=1
	s_lshl_b32 s21, s20, 2
	s_mul_i32 s22, s20, 12
	s_add_u32 s20, s0, s21
	s_addc_u32 s21, s1, 0
	s_add_u32 s22, s12, s22
	s_addc_u32 s23, s13, 0
	s_mov_b32 s34, s28
	.p2align	6
.LBB85_29:                              ;   Parent Loop BB85_9 Depth=1
                                        ; =>  This Inner Loop Header: Depth=2
	s_clause 0x1
	s_load_b64 s[36:37], s[22:23], 0x4
	s_load_b32 s35, s[22:23], 0xc
	s_add_u32 s22, s22, 12
	s_addc_u32 s23, s23, 0
	s_waitcnt lgkmcnt(0)
	v_mul_hi_u32 v6, s37, v2
	s_load_b32 s37, s[20:21], 0x0
	s_add_u32 s20, s20, 4
	s_addc_u32 s21, s21, 0
	s_add_i32 s34, s34, -1
	s_delay_alu instid0(SALU_CYCLE_1) | instskip(NEXT) | instid1(VALU_DEP_1)
	s_cmp_lg_u32 s34, 0
	v_add_nc_u32_e32 v6, v2, v6
	s_delay_alu instid0(VALU_DEP_1) | instskip(NEXT) | instid1(VALU_DEP_1)
	v_lshrrev_b32_e32 v8, s35, v6
	v_mul_lo_u32 v6, v8, s36
	s_delay_alu instid0(VALU_DEP_1) | instskip(SKIP_1) | instid1(VALU_DEP_1)
	v_sub_nc_u32_e32 v2, v2, v6
	s_waitcnt lgkmcnt(0)
	v_mad_u64_u32 v[6:7], null, v2, s37, v[0:1]
	v_mov_b32_e32 v2, v8
	s_delay_alu instid0(VALU_DEP_2)
	v_mov_b32_e32 v0, v6
	s_cbranch_scc1 .LBB85_29
.LBB85_30:                              ;   in Loop: Header=BB85_9 Depth=1
	s_cbranch_execnz .LBB85_33
.LBB85_31:                              ;   in Loop: Header=BB85_9 Depth=1
	v_mul_hi_u32 v0, v12, s6
	s_and_not1_b32 vcc_lo, exec_lo, s4
	s_delay_alu instid0(VALU_DEP_1) | instskip(NEXT) | instid1(VALU_DEP_1)
	v_add_nc_u32_e32 v0, v0, v12
	v_lshrrev_b32_e32 v2, s7, v0
	s_delay_alu instid0(VALU_DEP_1) | instskip(NEXT) | instid1(VALU_DEP_1)
	v_mul_lo_u32 v0, v2, s5
	v_sub_nc_u32_e32 v0, v12, v0
	s_delay_alu instid0(VALU_DEP_1)
	v_mul_lo_u32 v0, v0, s14
	s_cbranch_vccnz .LBB85_33
; %bb.32:                               ;   in Loop: Header=BB85_9 Depth=1
	v_mul_hi_u32 v6, s9, v2
	s_delay_alu instid0(VALU_DEP_1) | instskip(NEXT) | instid1(VALU_DEP_1)
	v_add_nc_u32_e32 v6, v2, v6
	v_lshrrev_b32_e32 v6, s10, v6
	s_delay_alu instid0(VALU_DEP_1) | instskip(NEXT) | instid1(VALU_DEP_1)
	v_mul_lo_u32 v6, v6, s8
	v_sub_nc_u32_e32 v2, v2, v6
	s_delay_alu instid0(VALU_DEP_1) | instskip(NEXT) | instid1(VALU_DEP_1)
	v_mad_u64_u32 v[6:7], null, v2, s15, v[0:1]
	v_mov_b32_e32 v0, v6
.LBB85_33:                              ;   in Loop: Header=BB85_9 Depth=1
	v_and_b32_e32 v1, 0x7fff, v1
	global_store_b16 v0, v1, s[18:19]
.LBB85_34:                              ;   in Loop: Header=BB85_9 Depth=1
	s_or_b32 exec_lo, exec_lo, s33
	v_add_co_u32 v0, vcc_lo, v12, s24
	v_add_co_ci_u32_e32 v1, vcc_lo, 0, v13, vcc_lo
	s_mov_b32 s33, exec_lo
	s_delay_alu instid0(VALU_DEP_1)
	v_cmpx_gt_i64_e64 s[16:17], v[0:1]
	s_cbranch_execz .LBB85_8
; %bb.35:                               ;   in Loop: Header=BB85_9 Depth=1
	s_and_not1_b32 vcc_lo, exec_lo, s11
	s_cbranch_vccnz .LBB85_41
; %bb.36:                               ;   in Loop: Header=BB85_9 Depth=1
	v_mov_b32_e32 v1, 0
	s_and_not1_b32 vcc_lo, exec_lo, s27
	s_cbranch_vccnz .LBB85_45
; %bb.37:                               ;   in Loop: Header=BB85_9 Depth=1
	s_and_not1_b32 vcc_lo, exec_lo, s29
	s_mov_b32 s20, 0
	s_cbranch_vccnz .LBB85_42
; %bb.38:                               ;   in Loop: Header=BB85_9 Depth=1
	v_dual_mov_b32 v1, 0 :: v_dual_mov_b32 v2, v0
	s_mov_b32 s34, 0
	s_mov_b64 s[20:21], s[12:13]
	s_mov_b64 s[22:23], s[0:1]
.LBB85_39:                              ;   Parent Loop BB85_9 Depth=1
                                        ; =>  This Inner Loop Header: Depth=2
	s_clause 0x1
	s_load_b256 s[36:43], s[20:21], 0x4
	s_load_b128 s[44:47], s[20:21], 0x24
	s_load_b128 s[48:51], s[22:23], 0x0
	s_add_u32 s20, s20, 48
	s_addc_u32 s21, s21, 0
	s_add_i32 s34, s34, 4
	s_add_u32 s22, s22, 16
	s_addc_u32 s23, s23, 0
	s_cmp_eq_u32 s30, s34
	s_waitcnt lgkmcnt(0)
	v_mul_hi_u32 v6, s37, v2
	s_delay_alu instid0(VALU_DEP_1) | instskip(NEXT) | instid1(VALU_DEP_1)
	v_add_nc_u32_e32 v6, v2, v6
	v_lshrrev_b32_e32 v6, s38, v6
	s_delay_alu instid0(VALU_DEP_1) | instskip(SKIP_1) | instid1(VALU_DEP_2)
	v_mul_hi_u32 v7, s40, v6
	v_mul_lo_u32 v15, v6, s36
	v_add_nc_u32_e32 v7, v6, v7
	s_delay_alu instid0(VALU_DEP_2) | instskip(NEXT) | instid1(VALU_DEP_2)
	v_sub_nc_u32_e32 v15, v2, v15
	v_lshrrev_b32_e32 v7, s41, v7
	s_delay_alu instid0(VALU_DEP_2) | instskip(NEXT) | instid1(VALU_DEP_2)
	v_mul_lo_u32 v15, v15, s48
	v_mul_hi_u32 v8, s43, v7
	v_mul_lo_u32 v39, v7, s39
	s_delay_alu instid0(VALU_DEP_2) | instskip(NEXT) | instid1(VALU_DEP_2)
	v_add_nc_u32_e32 v8, v7, v8
	v_sub_nc_u32_e32 v6, v6, v39
	s_delay_alu instid0(VALU_DEP_2) | instskip(NEXT) | instid1(VALU_DEP_2)
	v_lshrrev_b32_e32 v8, s44, v8
	v_mul_lo_u32 v6, v6, s49
	s_delay_alu instid0(VALU_DEP_2) | instskip(NEXT) | instid1(VALU_DEP_2)
	v_mul_hi_u32 v9, s46, v8
	v_add3_u32 v1, v15, v1, v6
	s_delay_alu instid0(VALU_DEP_2) | instskip(NEXT) | instid1(VALU_DEP_1)
	v_add_nc_u32_e32 v9, v8, v9
	v_lshrrev_b32_e32 v2, s47, v9
	v_mul_lo_u32 v9, v8, s42
	s_delay_alu instid0(VALU_DEP_2) | instskip(NEXT) | instid1(VALU_DEP_2)
	v_mul_lo_u32 v40, v2, s45
	v_sub_nc_u32_e32 v7, v7, v9
	s_delay_alu instid0(VALU_DEP_2) | instskip(NEXT) | instid1(VALU_DEP_2)
	v_sub_nc_u32_e32 v8, v8, v40
	v_mul_lo_u32 v7, v7, s50
	s_delay_alu instid0(VALU_DEP_2) | instskip(NEXT) | instid1(VALU_DEP_1)
	v_mul_lo_u32 v8, v8, s51
	v_add3_u32 v1, v7, v1, v8
	s_cbranch_scc0 .LBB85_39
; %bb.40:                               ;   in Loop: Header=BB85_9 Depth=1
	s_mov_b32 s20, s30
	s_and_not1_b32 vcc_lo, exec_lo, s31
	s_cbranch_vccz .LBB85_43
	s_branch .LBB85_45
.LBB85_41:                              ;   in Loop: Header=BB85_9 Depth=1
                                        ; implicit-def: $vgpr1
	s_branch .LBB85_46
.LBB85_42:                              ;   in Loop: Header=BB85_9 Depth=1
	v_mov_b32_e32 v2, v0
	s_and_not1_b32 vcc_lo, exec_lo, s31
	s_cbranch_vccnz .LBB85_45
.LBB85_43:                              ;   in Loop: Header=BB85_9 Depth=1
	s_lshl_b32 s21, s20, 2
	s_mul_i32 s22, s20, 12
	s_add_u32 s20, s0, s21
	s_addc_u32 s21, s1, 0
	s_add_u32 s22, s12, s22
	s_addc_u32 s23, s13, 0
	s_mov_b32 s34, s28
	.p2align	6
.LBB85_44:                              ;   Parent Loop BB85_9 Depth=1
                                        ; =>  This Inner Loop Header: Depth=2
	s_clause 0x1
	s_load_b64 s[36:37], s[22:23], 0x4
	s_load_b32 s35, s[22:23], 0xc
	s_add_u32 s22, s22, 12
	s_addc_u32 s23, s23, 0
	s_waitcnt lgkmcnt(0)
	v_mul_hi_u32 v6, s37, v2
	s_load_b32 s37, s[20:21], 0x0
	s_add_u32 s20, s20, 4
	s_addc_u32 s21, s21, 0
	s_add_i32 s34, s34, -1
	s_delay_alu instid0(SALU_CYCLE_1) | instskip(NEXT) | instid1(VALU_DEP_1)
	s_cmp_lg_u32 s34, 0
	v_add_nc_u32_e32 v6, v2, v6
	s_delay_alu instid0(VALU_DEP_1) | instskip(NEXT) | instid1(VALU_DEP_1)
	v_lshrrev_b32_e32 v8, s35, v6
	v_mul_lo_u32 v6, v8, s36
	s_delay_alu instid0(VALU_DEP_1) | instskip(SKIP_1) | instid1(VALU_DEP_1)
	v_sub_nc_u32_e32 v2, v2, v6
	s_waitcnt lgkmcnt(0)
	v_mad_u64_u32 v[6:7], null, v2, s37, v[1:2]
	s_delay_alu instid0(VALU_DEP_1)
	v_dual_mov_b32 v2, v8 :: v_dual_mov_b32 v1, v6
	s_cbranch_scc1 .LBB85_44
.LBB85_45:                              ;   in Loop: Header=BB85_9 Depth=1
	s_cbranch_execnz .LBB85_7
.LBB85_46:                              ;   in Loop: Header=BB85_9 Depth=1
	v_mul_hi_u32 v1, v0, s6
	s_and_not1_b32 vcc_lo, exec_lo, s4
	s_delay_alu instid0(VALU_DEP_1) | instskip(NEXT) | instid1(VALU_DEP_1)
	v_add_nc_u32_e32 v1, v1, v0
	v_lshrrev_b32_e32 v2, s7, v1
	s_delay_alu instid0(VALU_DEP_1) | instskip(NEXT) | instid1(VALU_DEP_1)
	v_mul_lo_u32 v1, v2, s5
	v_sub_nc_u32_e32 v0, v0, v1
	s_delay_alu instid0(VALU_DEP_1)
	v_mul_lo_u32 v1, v0, s14
	s_cbranch_vccnz .LBB85_7
; %bb.47:                               ;   in Loop: Header=BB85_9 Depth=1
	v_mul_hi_u32 v0, s9, v2
	s_delay_alu instid0(VALU_DEP_1) | instskip(NEXT) | instid1(VALU_DEP_1)
	v_add_nc_u32_e32 v0, v2, v0
	v_lshrrev_b32_e32 v0, s10, v0
	s_delay_alu instid0(VALU_DEP_1) | instskip(NEXT) | instid1(VALU_DEP_1)
	v_mul_lo_u32 v0, v0, s8
	v_sub_nc_u32_e32 v0, v2, v0
	s_delay_alu instid0(VALU_DEP_1) | instskip(NEXT) | instid1(VALU_DEP_1)
	v_mad_u64_u32 v[6:7], null, v0, s15, v[1:2]
	v_mov_b32_e32 v1, v6
	s_branch .LBB85_7
.LBB85_48:
	s_endpgm
.LBB85_49:
                                        ; implicit-def: $sgpr2_sgpr3
	s_branch .LBB85_4
	.section	.rodata,"a",@progbits
	.p2align	6, 0x0
	.amdhsa_kernel _ZN2at6native12_GLOBAL__N_143distribution_elementwise_grid_stride_kernelImLi2EZZZNS0_9templates4cuda13random_kernelIPNS_17CUDAGeneratorImplEEEvRNS_18TensorIteratorBaseET_ENKUlvE_clEvENKUlvE3_clEvEUlP25hiprandStatePhilox4_32_10E_ZNS1_27distribution_nullary_kernelIsm15HIP_vector_typeIyLj2EES7_SF_ZZZNS5_IS7_EEvS9_SA_ENKSB_clEvENKSC_clEvEUlmE_EEvS9_T2_RKT3_T4_EUlimE0_EEvlNS_15PhiloxCudaStateET1_SK_
		.amdhsa_group_segment_fixed_size 0
		.amdhsa_private_segment_fixed_size 0
		.amdhsa_kernarg_size 584
		.amdhsa_user_sgpr_count 15
		.amdhsa_user_sgpr_dispatch_ptr 0
		.amdhsa_user_sgpr_queue_ptr 0
		.amdhsa_user_sgpr_kernarg_segment_ptr 1
		.amdhsa_user_sgpr_dispatch_id 0
		.amdhsa_user_sgpr_private_segment_size 0
		.amdhsa_wavefront_size32 1
		.amdhsa_uses_dynamic_stack 0
		.amdhsa_enable_private_segment 0
		.amdhsa_system_sgpr_workgroup_id_x 1
		.amdhsa_system_sgpr_workgroup_id_y 0
		.amdhsa_system_sgpr_workgroup_id_z 0
		.amdhsa_system_sgpr_workgroup_info 0
		.amdhsa_system_vgpr_workitem_id 0
		.amdhsa_next_free_vgpr 41
		.amdhsa_next_free_sgpr 52
		.amdhsa_reserve_vcc 1
		.amdhsa_float_round_mode_32 0
		.amdhsa_float_round_mode_16_64 0
		.amdhsa_float_denorm_mode_32 3
		.amdhsa_float_denorm_mode_16_64 3
		.amdhsa_dx10_clamp 1
		.amdhsa_ieee_mode 1
		.amdhsa_fp16_overflow 0
		.amdhsa_workgroup_processor_mode 1
		.amdhsa_memory_ordered 1
		.amdhsa_forward_progress 0
		.amdhsa_shared_vgpr_count 0
		.amdhsa_exception_fp_ieee_invalid_op 0
		.amdhsa_exception_fp_denorm_src 0
		.amdhsa_exception_fp_ieee_div_zero 0
		.amdhsa_exception_fp_ieee_overflow 0
		.amdhsa_exception_fp_ieee_underflow 0
		.amdhsa_exception_fp_ieee_inexact 0
		.amdhsa_exception_int_div_zero 0
	.end_amdhsa_kernel
	.section	.text._ZN2at6native12_GLOBAL__N_143distribution_elementwise_grid_stride_kernelImLi2EZZZNS0_9templates4cuda13random_kernelIPNS_17CUDAGeneratorImplEEEvRNS_18TensorIteratorBaseET_ENKUlvE_clEvENKUlvE3_clEvEUlP25hiprandStatePhilox4_32_10E_ZNS1_27distribution_nullary_kernelIsm15HIP_vector_typeIyLj2EES7_SF_ZZZNS5_IS7_EEvS9_SA_ENKSB_clEvENKSC_clEvEUlmE_EEvS9_T2_RKT3_T4_EUlimE0_EEvlNS_15PhiloxCudaStateET1_SK_,"axG",@progbits,_ZN2at6native12_GLOBAL__N_143distribution_elementwise_grid_stride_kernelImLi2EZZZNS0_9templates4cuda13random_kernelIPNS_17CUDAGeneratorImplEEEvRNS_18TensorIteratorBaseET_ENKUlvE_clEvENKUlvE3_clEvEUlP25hiprandStatePhilox4_32_10E_ZNS1_27distribution_nullary_kernelIsm15HIP_vector_typeIyLj2EES7_SF_ZZZNS5_IS7_EEvS9_SA_ENKSB_clEvENKSC_clEvEUlmE_EEvS9_T2_RKT3_T4_EUlimE0_EEvlNS_15PhiloxCudaStateET1_SK_,comdat
.Lfunc_end85:
	.size	_ZN2at6native12_GLOBAL__N_143distribution_elementwise_grid_stride_kernelImLi2EZZZNS0_9templates4cuda13random_kernelIPNS_17CUDAGeneratorImplEEEvRNS_18TensorIteratorBaseET_ENKUlvE_clEvENKUlvE3_clEvEUlP25hiprandStatePhilox4_32_10E_ZNS1_27distribution_nullary_kernelIsm15HIP_vector_typeIyLj2EES7_SF_ZZZNS5_IS7_EEvS9_SA_ENKSB_clEvENKSC_clEvEUlmE_EEvS9_T2_RKT3_T4_EUlimE0_EEvlNS_15PhiloxCudaStateET1_SK_, .Lfunc_end85-_ZN2at6native12_GLOBAL__N_143distribution_elementwise_grid_stride_kernelImLi2EZZZNS0_9templates4cuda13random_kernelIPNS_17CUDAGeneratorImplEEEvRNS_18TensorIteratorBaseET_ENKUlvE_clEvENKUlvE3_clEvEUlP25hiprandStatePhilox4_32_10E_ZNS1_27distribution_nullary_kernelIsm15HIP_vector_typeIyLj2EES7_SF_ZZZNS5_IS7_EEvS9_SA_ENKSB_clEvENKSC_clEvEUlmE_EEvS9_T2_RKT3_T4_EUlimE0_EEvlNS_15PhiloxCudaStateET1_SK_
                                        ; -- End function
	.section	.AMDGPU.csdata,"",@progbits
; Kernel info:
; codeLenInByte = 3792
; NumSgprs: 54
; NumVgprs: 41
; ScratchSize: 0
; MemoryBound: 0
; FloatMode: 240
; IeeeMode: 1
; LDSByteSize: 0 bytes/workgroup (compile time only)
; SGPRBlocks: 6
; VGPRBlocks: 5
; NumSGPRsForWavesPerEU: 54
; NumVGPRsForWavesPerEU: 41
; Occupancy: 16
; WaveLimiterHint : 1
; COMPUTE_PGM_RSRC2:SCRATCH_EN: 0
; COMPUTE_PGM_RSRC2:USER_SGPR: 15
; COMPUTE_PGM_RSRC2:TRAP_HANDLER: 0
; COMPUTE_PGM_RSRC2:TGID_X_EN: 1
; COMPUTE_PGM_RSRC2:TGID_Y_EN: 0
; COMPUTE_PGM_RSRC2:TGID_Z_EN: 0
; COMPUTE_PGM_RSRC2:TIDIG_COMP_CNT: 0
	.section	.text._ZN2at6native12_GLOBAL__N_143distribution_elementwise_grid_stride_kernelIjLi4EZZZNS0_9templates4cuda13random_kernelIPNS_17CUDAGeneratorImplEEEvRNS_18TensorIteratorBaseET_ENKUlvE_clEvENKUlvE3_clEvEUlP25hiprandStatePhilox4_32_10E0_ZNS1_27distribution_nullary_kernelIsj15HIP_vector_typeIjLj4EES7_SF_ZZZNS5_IS7_EEvS9_SA_ENKSB_clEvENKSC_clEvEUljE_EEvS9_T2_RKT3_T4_EUlijE_EEvlNS_15PhiloxCudaStateET1_SK_,"axG",@progbits,_ZN2at6native12_GLOBAL__N_143distribution_elementwise_grid_stride_kernelIjLi4EZZZNS0_9templates4cuda13random_kernelIPNS_17CUDAGeneratorImplEEEvRNS_18TensorIteratorBaseET_ENKUlvE_clEvENKUlvE3_clEvEUlP25hiprandStatePhilox4_32_10E0_ZNS1_27distribution_nullary_kernelIsj15HIP_vector_typeIjLj4EES7_SF_ZZZNS5_IS7_EEvS9_SA_ENKSB_clEvENKSC_clEvEUljE_EEvS9_T2_RKT3_T4_EUlijE_EEvlNS_15PhiloxCudaStateET1_SK_,comdat
	.globl	_ZN2at6native12_GLOBAL__N_143distribution_elementwise_grid_stride_kernelIjLi4EZZZNS0_9templates4cuda13random_kernelIPNS_17CUDAGeneratorImplEEEvRNS_18TensorIteratorBaseET_ENKUlvE_clEvENKUlvE3_clEvEUlP25hiprandStatePhilox4_32_10E0_ZNS1_27distribution_nullary_kernelIsj15HIP_vector_typeIjLj4EES7_SF_ZZZNS5_IS7_EEvS9_SA_ENKSB_clEvENKSC_clEvEUljE_EEvS9_T2_RKT3_T4_EUlijE_EEvlNS_15PhiloxCudaStateET1_SK_ ; -- Begin function _ZN2at6native12_GLOBAL__N_143distribution_elementwise_grid_stride_kernelIjLi4EZZZNS0_9templates4cuda13random_kernelIPNS_17CUDAGeneratorImplEEEvRNS_18TensorIteratorBaseET_ENKUlvE_clEvENKUlvE3_clEvEUlP25hiprandStatePhilox4_32_10E0_ZNS1_27distribution_nullary_kernelIsj15HIP_vector_typeIjLj4EES7_SF_ZZZNS5_IS7_EEvS9_SA_ENKSB_clEvENKSC_clEvEUljE_EEvS9_T2_RKT3_T4_EUlijE_EEvlNS_15PhiloxCudaStateET1_SK_
	.p2align	8
	.type	_ZN2at6native12_GLOBAL__N_143distribution_elementwise_grid_stride_kernelIjLi4EZZZNS0_9templates4cuda13random_kernelIPNS_17CUDAGeneratorImplEEEvRNS_18TensorIteratorBaseET_ENKUlvE_clEvENKUlvE3_clEvEUlP25hiprandStatePhilox4_32_10E0_ZNS1_27distribution_nullary_kernelIsj15HIP_vector_typeIjLj4EES7_SF_ZZZNS5_IS7_EEvS9_SA_ENKSB_clEvENKSC_clEvEUljE_EEvS9_T2_RKT3_T4_EUlijE_EEvlNS_15PhiloxCudaStateET1_SK_,@function
_ZN2at6native12_GLOBAL__N_143distribution_elementwise_grid_stride_kernelIjLi4EZZZNS0_9templates4cuda13random_kernelIPNS_17CUDAGeneratorImplEEEvRNS_18TensorIteratorBaseET_ENKUlvE_clEvENKUlvE3_clEvEUlP25hiprandStatePhilox4_32_10E0_ZNS1_27distribution_nullary_kernelIsj15HIP_vector_typeIjLj4EES7_SF_ZZZNS5_IS7_EEvS9_SA_ENKSB_clEvENKSC_clEvEUljE_EEvS9_T2_RKT3_T4_EUlijE_EEvlNS_15PhiloxCudaStateET1_SK_: ; @_ZN2at6native12_GLOBAL__N_143distribution_elementwise_grid_stride_kernelIjLi4EZZZNS0_9templates4cuda13random_kernelIPNS_17CUDAGeneratorImplEEEvRNS_18TensorIteratorBaseET_ENKUlvE_clEvENKUlvE3_clEvEUlP25hiprandStatePhilox4_32_10E0_ZNS1_27distribution_nullary_kernelIsj15HIP_vector_typeIjLj4EES7_SF_ZZZNS5_IS7_EEvS9_SA_ENKSB_clEvENKSC_clEvEUljE_EEvS9_T2_RKT3_T4_EUlijE_EEvlNS_15PhiloxCudaStateET1_SK_
; %bb.0:
	s_clause 0x2
	s_load_b64 s[8:9], s[0:1], 0x10
	s_load_b128 s[4:7], s[0:1], 0x0
	s_load_b32 s2, s[0:1], 0x20
	s_waitcnt lgkmcnt(0)
	v_dual_mov_b32 v2, s8 :: v_dual_mov_b32 v3, s9
	v_dual_mov_b32 v12, s7 :: v_dual_mov_b32 v11, s6
	s_bitcmp0_b32 s2, 0
	s_mov_b32 s2, 0
	s_cbranch_scc1 .LBB86_2
; %bb.1:
	v_dual_mov_b32 v1, s8 :: v_dual_mov_b32 v2, s9
	v_dual_mov_b32 v4, s6 :: v_dual_mov_b32 v5, s7
	s_load_b64 s[6:7], s[0:1], 0x18
	flat_load_b64 v[2:3], v[1:2]
	flat_load_b64 v[11:12], v[4:5]
	s_waitcnt vmcnt(1) lgkmcnt(0)
	v_add_co_u32 v2, vcc_lo, v2, s6
	v_add_co_ci_u32_e32 v3, vcc_lo, s7, v3, vcc_lo
.LBB86_2:
	s_clause 0x1
	s_load_b32 s3, s[0:1], 0x4c
	s_load_b32 s11, s[0:1], 0x40
	s_waitcnt lgkmcnt(0)
	s_and_b32 s10, s3, 0xffff
	s_add_u32 s6, s4, -1
	s_mul_i32 s8, s11, s10
	s_addc_u32 s3, s5, -1
	s_lshl_b32 s9, s8, 2
	s_cmp_lg_u64 s[2:3], 0
	s_cbranch_scc0 .LBB86_27
; %bb.3:
	v_cvt_f32_ubyte0_e32 v1, 0
	v_cvt_f32_u32_e32 v4, s9
	s_sub_u32 s12, 0, s9
	s_subb_u32 s13, 0, 0
	s_delay_alu instid0(VALU_DEP_1) | instskip(NEXT) | instid1(VALU_DEP_1)
	v_fmamk_f32 v1, v1, 0x4f800000, v4
	v_rcp_f32_e32 v1, v1
	s_waitcnt_depctr 0xfff
	v_mul_f32_e32 v1, 0x5f7ffffc, v1
	s_delay_alu instid0(VALU_DEP_1) | instskip(NEXT) | instid1(VALU_DEP_1)
	v_mul_f32_e32 v4, 0x2f800000, v1
	v_trunc_f32_e32 v4, v4
	s_delay_alu instid0(VALU_DEP_1) | instskip(SKIP_1) | instid1(VALU_DEP_2)
	v_fmamk_f32 v1, v4, 0xcf800000, v1
	v_cvt_u32_f32_e32 v4, v4
	v_cvt_u32_f32_e32 v1, v1
	s_delay_alu instid0(VALU_DEP_2) | instskip(NEXT) | instid1(VALU_DEP_2)
	v_readfirstlane_b32 s2, v4
	v_readfirstlane_b32 s7, v1
	s_delay_alu instid0(VALU_DEP_2) | instskip(NEXT) | instid1(VALU_DEP_1)
	s_mul_i32 s14, s12, s2
	s_mul_hi_u32 s17, s12, s7
	s_mul_i32 s16, s13, s7
	s_add_i32 s14, s17, s14
	s_mul_i32 s18, s12, s7
	s_add_i32 s14, s14, s16
	s_mul_hi_u32 s17, s7, s18
	s_mul_hi_u32 s19, s2, s18
	s_mul_i32 s16, s2, s18
	s_mul_hi_u32 s18, s7, s14
	s_mul_i32 s7, s7, s14
	s_mul_hi_u32 s20, s2, s14
	s_add_u32 s7, s17, s7
	s_addc_u32 s17, 0, s18
	s_add_u32 s7, s7, s16
	s_mul_i32 s14, s2, s14
	s_addc_u32 s7, s17, s19
	s_addc_u32 s16, s20, 0
	s_add_u32 s7, s7, s14
	s_addc_u32 s14, 0, s16
	v_add_co_u32 v1, s7, v1, s7
	s_delay_alu instid0(VALU_DEP_1) | instskip(SKIP_1) | instid1(VALU_DEP_1)
	s_cmp_lg_u32 s7, 0
	s_addc_u32 s2, s2, s14
	v_readfirstlane_b32 s7, v1
	s_mul_i32 s14, s12, s2
	s_delay_alu instid0(VALU_DEP_1)
	s_mul_hi_u32 s16, s12, s7
	s_mul_i32 s13, s13, s7
	s_add_i32 s14, s16, s14
	s_mul_i32 s12, s12, s7
	s_add_i32 s14, s14, s13
	s_mul_hi_u32 s16, s2, s12
	s_mul_i32 s17, s2, s12
	s_mul_hi_u32 s12, s7, s12
	s_mul_hi_u32 s18, s7, s14
	s_mul_i32 s7, s7, s14
	s_mul_hi_u32 s13, s2, s14
	s_add_u32 s7, s12, s7
	s_addc_u32 s12, 0, s18
	s_add_u32 s7, s7, s17
	s_mul_i32 s14, s2, s14
	s_addc_u32 s7, s12, s16
	s_addc_u32 s12, s13, 0
	s_add_u32 s7, s7, s14
	s_addc_u32 s12, 0, s12
	v_add_co_u32 v1, s7, v1, s7
	s_delay_alu instid0(VALU_DEP_1) | instskip(SKIP_2) | instid1(VALU_DEP_1)
	s_cmp_lg_u32 s7, 0
	s_addc_u32 s7, s2, s12
	s_ashr_i32 s12, s3, 31
	v_readfirstlane_b32 s14, v1
	s_add_u32 s2, s6, s12
	s_mov_b32 s13, s12
	s_addc_u32 s3, s3, s12
	s_delay_alu instid0(SALU_CYCLE_1) | instskip(NEXT) | instid1(SALU_CYCLE_1)
	s_xor_b64 s[2:3], s[2:3], s[12:13]
	s_mul_i32 s17, s2, s7
	s_mul_hi_u32 s18, s2, s14
	s_mul_hi_u32 s16, s2, s7
	;; [unrolled: 1-line block ×3, first 2 shown]
	s_mul_i32 s14, s3, s14
	s_add_u32 s17, s18, s17
	s_addc_u32 s16, 0, s16
	s_mul_hi_u32 s19, s3, s7
	s_add_u32 s14, s17, s14
	s_mul_i32 s7, s3, s7
	s_addc_u32 s14, s16, s20
	s_addc_u32 s16, s19, 0
	s_add_u32 s7, s14, s7
	s_addc_u32 s14, 0, s16
	s_mul_i32 s17, s9, s7
	s_add_u32 s16, s7, 1
	v_sub_co_u32 v1, s2, s2, s17
	s_mul_hi_u32 s17, s9, s7
	s_addc_u32 s18, s14, 0
	s_mul_i32 s19, s9, s14
	s_delay_alu instid0(VALU_DEP_1)
	v_sub_co_u32 v4, s20, v1, s9
	s_add_u32 s21, s7, 2
	s_addc_u32 s22, s14, 0
	s_add_i32 s17, s17, s19
	s_cmp_lg_u32 s2, 0
	v_readfirstlane_b32 s2, v4
	s_subb_u32 s3, s3, s17
	s_cmp_lg_u32 s20, 0
	s_subb_u32 s17, s3, 0
	s_delay_alu instid0(VALU_DEP_1) | instskip(SKIP_4) | instid1(SALU_CYCLE_1)
	s_cmp_ge_u32 s2, s9
	s_cselect_b32 s2, -1, 0
	s_cmp_eq_u32 s17, 0
	v_readfirstlane_b32 s17, v1
	s_cselect_b32 s2, s2, -1
	s_cmp_lg_u32 s2, 0
	s_cselect_b32 s2, s21, s16
	s_cselect_b32 s16, s22, s18
	s_cmp_ge_u32 s17, s9
	s_cselect_b32 s17, -1, 0
	s_cmp_eq_u32 s3, 0
	s_cselect_b32 s3, s17, -1
	s_delay_alu instid0(SALU_CYCLE_1) | instskip(SKIP_2) | instid1(SALU_CYCLE_1)
	s_cmp_lg_u32 s3, 0
	s_cselect_b32 s3, s16, s14
	s_cselect_b32 s2, s2, s7
	s_xor_b64 s[2:3], s[2:3], s[12:13]
	s_delay_alu instid0(SALU_CYCLE_1)
	s_sub_u32 s2, s2, s12
	s_subb_u32 s3, s3, s12
	s_cbranch_execnz .LBB86_5
.LBB86_4:
	v_cvt_f32_u32_e32 v1, s9
	s_sub_i32 s3, 0, s9
	s_delay_alu instid0(VALU_DEP_1) | instskip(SKIP_2) | instid1(VALU_DEP_1)
	v_rcp_iflag_f32_e32 v1, v1
	s_waitcnt_depctr 0xfff
	v_mul_f32_e32 v1, 0x4f7ffffe, v1
	v_cvt_u32_f32_e32 v1, v1
	s_delay_alu instid0(VALU_DEP_1) | instskip(NEXT) | instid1(VALU_DEP_1)
	v_readfirstlane_b32 s2, v1
	s_mul_i32 s3, s3, s2
	s_delay_alu instid0(SALU_CYCLE_1) | instskip(NEXT) | instid1(SALU_CYCLE_1)
	s_mul_hi_u32 s3, s2, s3
	s_add_i32 s2, s2, s3
	s_delay_alu instid0(SALU_CYCLE_1) | instskip(NEXT) | instid1(SALU_CYCLE_1)
	s_mul_hi_u32 s2, s6, s2
	s_mul_i32 s3, s2, s9
	s_delay_alu instid0(SALU_CYCLE_1)
	s_sub_i32 s3, s6, s3
	s_add_i32 s6, s2, 1
	s_sub_i32 s7, s3, s9
	s_cmp_ge_u32 s3, s9
	s_cselect_b32 s2, s6, s2
	s_cselect_b32 s3, s7, s3
	s_add_i32 s6, s2, 1
	s_cmp_ge_u32 s3, s9
	s_mov_b32 s3, 0
	s_cselect_b32 s2, s6, s2
.LBB86_5:
	v_mov_b32_e32 v1, 0
	s_add_u32 s2, s2, 1
	s_addc_u32 s3, s3, 0
	s_mul_hi_u32 s6, s8, s2
	s_mul_i32 s3, s8, s3
	v_mad_u64_u32 v[13:14], null, s10, s15, v[0:1]
	s_mul_hi_u32 s7, s11, s10
	s_add_i32 s3, s6, s3
	s_mul_i32 s7, s7, s2
	s_mul_i32 s2, s8, s2
	s_add_i32 s3, s3, s7
	s_mov_b32 s6, exec_lo
	s_lshl_b64 s[2:3], s[2:3], 2
	s_delay_alu instid0(SALU_CYCLE_1)
	v_cmpx_gt_i64_e64 s[2:3], v[13:14]
	s_cbranch_execz .LBB86_26
; %bb.6:
	v_alignbit_b32 v17, v3, v2, 2
	v_mad_u64_u32 v[6:7], null, 0xcd9e8d57, v13, 0
	v_lshrrev_b32_e32 v18, 2, v3
	s_waitcnt vmcnt(0)
	v_dual_mov_b32 v15, v12 :: v_dual_add_nc_u32 v30, 0x8ff34781, v11
	v_mad_u64_u32 v[4:5], null, 0xd2511f53, v17, 0
	v_add_co_u32 v20, null, 0x9e3779b9, v11
	v_xor3_b32 v3, v11, v7, v18
	s_delay_alu instid0(VALU_DEP_4) | instskip(SKIP_2) | instid1(VALU_DEP_4)
	v_add_co_u32 v19, null, 0xbb67ae85, v15
	v_add_co_u32 v21, null, 0x3c6ef372, v11
	v_xor_b32_e32 v1, v5, v12
	v_mad_u64_u32 v[7:8], null, 0xd2511f53, v3, 0
	v_add_co_u32 v22, null, 0x76cf5d0a, v15
	s_delay_alu instid0(VALU_DEP_3) | instskip(SKIP_2) | instid1(VALU_DEP_3)
	v_xor_b32_e32 v1, v1, v14
	v_add_co_u32 v23, null, 0x32370b8f, v15
	v_add_co_u32 v24, null, 0xdaa66d2b, v11
	v_mad_u64_u32 v[9:10], null, 0xcd9e8d57, v1, 0
	v_xor3_b32 v1, v19, v8, v4
	v_add_co_u32 v25, null, 0x78dde6e4, v11
	v_add_co_u32 v26, null, 0xed9eba14, v15
	s_delay_alu instid0(VALU_DEP_3) | instskip(SKIP_3) | instid1(VALU_DEP_3)
	v_mad_u64_u32 v[3:4], null, 0xcd9e8d57, v1, 0
	v_xor3_b32 v8, v20, v10, v6
	v_add_co_u32 v27, null, 0xa9066899, v15
	v_add_co_u32 v28, null, 0x1715609d, v11
	v_mad_u64_u32 v[5:6], null, 0xd2511f53, v8, 0
	v_xor3_b32 v1, v21, v4, v9
	v_and_b32_e32 v29, 3, v2
	v_add_co_u32 v33, null, 0xb54cda56, v11
	v_add_co_u32 v34, null, 0x646e171e, v15
	v_xor3_b32 v4, v22, v6, v7
	v_mad_u64_u32 v[6:7], null, 0xd2511f53, v1, 0
	v_add_co_u32 v36, null, 0x1fd5c5a3, v15
	s_delay_alu instid0(VALU_DEP_3) | instskip(SKIP_1) | instid1(VALU_DEP_4)
	v_mad_u64_u32 v[8:9], null, 0xcd9e8d57, v4, 0
	v_add_co_u32 v32, null, 0x5384540f, v11
	v_xor3_b32 v1, v23, v7, v5
	s_clause 0x1
	s_load_b64 s[6:7], s[0:1], 0x30
	s_load_b32 s12, s[0:1], 0x38
	v_add_co_u32 v35, null, 0xf1bbcdc8, v11
	s_delay_alu instid0(VALU_DEP_4) | instskip(SKIP_3) | instid1(VALU_DEP_2)
	v_xor3_b32 v5, v24, v9, v3
	v_mad_u64_u32 v[3:4], null, 0xcd9e8d57, v1, 0
	s_mul_i32 s13, s11, 3
	s_add_i32 s16, s15, s11
	v_mad_u64_u32 v[9:10], null, 0xd2511f53, v5, 0
	s_add_i32 s13, s15, s13
	v_add_co_u32 v38, null, 0xdb3d7428, v15
	s_delay_alu instid0(VALU_DEP_3) | instskip(SKIP_2) | instid1(VALU_DEP_4)
	v_xor3_b32 v1, v25, v4, v8
	s_lshl_b32 s14, s11, 1
	v_add_nc_u32_e32 v31, 0x96a522ad, v12
	v_xor3_b32 v8, v26, v10, v6
	v_mov_b32_e32 v37, v13
	v_mad_u64_u32 v[4:5], null, 0xd2511f53, v1, 0
	s_waitcnt lgkmcnt(0)
	s_mul_i32 s11, s11, s12
	v_mad_u64_u32 v[6:7], null, 0xcd9e8d57, v8, 0
	v_mov_b32_e32 v43, v14
	s_mul_i32 s11, s11, s10
	s_mov_b32 s0, 0
	s_delay_alu instid0(VALU_DEP_3) | instskip(SKIP_2) | instid1(VALU_DEP_3)
	v_xor3_b32 v5, v27, v5, v9
	s_lshl_b32 s1, s8, 1
	s_lshl_b32 s11, s11, 2
	v_xor3_b32 v3, v28, v7, v3
	s_delay_alu instid0(VALU_DEP_2) | instskip(NEXT) | instid1(VALU_DEP_2)
	v_mad_u64_u32 v[1:2], null, 0xcd9e8d57, v5, 0
	v_mad_u64_u32 v[7:8], null, 0xd2511f53, v3, 0
	s_delay_alu instid0(VALU_DEP_2) | instskip(NEXT) | instid1(VALU_DEP_2)
	v_xor3_b32 v2, v33, v2, v6
	v_xor3_b32 v6, v34, v8, v4
	s_delay_alu instid0(VALU_DEP_4) | instskip(NEXT) | instid1(VALU_DEP_3)
	v_mad_u64_u32 v[3:4], null, s15, s10, v[0:1]
	v_mad_u64_u32 v[4:5], null, 0xd2511f53, v2, 0
	s_delay_alu instid0(VALU_DEP_3) | instskip(SKIP_1) | instid1(VALU_DEP_3)
	v_mad_u64_u32 v[8:9], null, 0xcd9e8d57, v6, 0
	s_add_i32 s15, s15, s14
	v_mul_lo_u32 v39, s12, v3
	s_delay_alu instid0(VALU_DEP_3) | instskip(NEXT) | instid1(VALU_DEP_3)
	v_xor3_b32 v2, v36, v5, v7
	v_xor3_b32 v1, v32, v9, v1
	s_delay_alu instid0(VALU_DEP_2) | instskip(NEXT) | instid1(VALU_DEP_2)
	v_mad_u64_u32 v[5:6], null, 0xcd9e8d57, v2, 0
	v_mad_u64_u32 v[9:10], null, 0xd2511f53, v1, 0
	;; [unrolled: 1-line block ×4, first 2 shown]
	s_delay_alu instid0(VALU_DEP_4) | instskip(NEXT) | instid1(VALU_DEP_4)
	v_xor3_b32 v1, v35, v6, v8
	v_xor3_b32 v4, v38, v10, v4
	s_delay_alu instid0(VALU_DEP_4) | instskip(NEXT) | instid1(VALU_DEP_3)
	v_mul_lo_u32 v42, s12, v15
	v_mad_u64_u32 v[6:7], null, s15, s10, v[0:1]
	v_mad_u64_u32 v[7:8], null, 0xd2511f53, v1, 0
	s_delay_alu instid0(VALU_DEP_4) | instskip(SKIP_2) | instid1(VALU_DEP_4)
	v_mad_u64_u32 v[1:2], null, 0xcd9e8d57, v4, 0
	v_mul_lo_u32 v40, s12, v40
	s_mul_i32 s10, s8, 3
	v_mul_lo_u32 v41, s12, v6
	s_mov_b32 s12, 0
	s_delay_alu instid0(VALU_DEP_4) | instskip(NEXT) | instid1(VALU_DEP_4)
	v_mov_b32_e32 v3, v7
	v_xor3_b32 v0, v2, v5, v30
	v_xor3_b32 v2, v8, v9, v31
	s_branch .LBB86_8
.LBB86_7:                               ;   in Loop: Header=BB86_8 Depth=1
	s_or_b32 exec_lo, exec_lo, s13
	v_add_co_u32 v13, vcc_lo, v13, s9
	v_add_co_ci_u32_e32 v14, vcc_lo, 0, v14, vcc_lo
	v_mov_b32_e32 v7, v15
	v_dual_mov_b32 v0, v4 :: v_dual_mov_b32 v1, v5
	s_delay_alu instid0(VALU_DEP_3) | instskip(NEXT) | instid1(VALU_DEP_3)
	v_cmp_le_i64_e32 vcc_lo, s[2:3], v[13:14]
	v_dual_mov_b32 v2, v6 :: v_dual_mov_b32 v3, v7
	s_add_i32 s12, s12, s11
	s_waitcnt_vscnt null, 0x0
	s_barrier
	s_or_b32 s0, vcc_lo, s0
	buffer_gl0_inv
	s_and_not1_b32 exec_lo, exec_lo, s0
	s_cbranch_execz .LBB86_26
.LBB86_8:                               ; =>This Inner Loop Header: Depth=1
	v_add_co_u32 v17, vcc_lo, v17, 1
	s_delay_alu instid0(VALU_DEP_1) | instskip(SKIP_2) | instid1(VALU_DEP_1)
	v_cndmask_b32_e64 v4, 0, 1, vcc_lo
	v_add_co_ci_u32_e32 v18, vcc_lo, 0, v18, vcc_lo
	s_mov_b32 s13, exec_lo
	v_cmp_eq_u32_e32 vcc_lo, 0, v18
	s_delay_alu instid0(VALU_DEP_3) | instskip(NEXT) | instid1(VALU_DEP_1)
	v_cndmask_b32_e32 v4, 0, v4, vcc_lo
	v_add_nc_u32_e32 v37, v4, v37
	s_delay_alu instid0(VALU_DEP_1) | instskip(SKIP_2) | instid1(VALU_DEP_2)
	v_cmp_eq_u32_e32 vcc_lo, 0, v37
	v_cndmask_b32_e32 v4, 0, v4, vcc_lo
	v_mad_u64_u32 v[6:7], null, 0xcd9e8d57, v37, 0
	v_add_nc_u32_e32 v43, v4, v43
	v_mad_u64_u32 v[4:5], null, 0xd2511f53, v17, 0
	s_delay_alu instid0(VALU_DEP_3) | instskip(NEXT) | instid1(VALU_DEP_2)
	v_xor3_b32 v9, v7, v11, v18
	v_xor_b32_e32 v5, v5, v12
	s_delay_alu instid0(VALU_DEP_2) | instskip(NEXT) | instid1(VALU_DEP_2)
	v_mad_u64_u32 v[7:8], null, 0xd2511f53, v9, 0
	v_xor_b32_e32 v5, v43, v5
	s_delay_alu instid0(VALU_DEP_2) | instskip(NEXT) | instid1(VALU_DEP_2)
	v_xor3_b32 v8, v19, v8, v4
	v_mad_u64_u32 v[9:10], null, 0xcd9e8d57, v5, 0
	s_delay_alu instid0(VALU_DEP_2) | instskip(NEXT) | instid1(VALU_DEP_2)
	v_mad_u64_u32 v[4:5], null, 0xcd9e8d57, v8, 0
	v_xor3_b32 v6, v20, v10, v6
	s_delay_alu instid0(VALU_DEP_2) | instskip(NEXT) | instid1(VALU_DEP_2)
	v_xor3_b32 v8, v21, v5, v9
	v_mad_u64_u32 v[15:16], null, 0xd2511f53, v6, 0
	s_delay_alu instid0(VALU_DEP_2) | instskip(NEXT) | instid1(VALU_DEP_2)
	v_mad_u64_u32 v[5:6], null, 0xd2511f53, v8, 0
	v_xor3_b32 v9, v22, v16, v7
	s_delay_alu instid0(VALU_DEP_2) | instskip(NEXT) | instid1(VALU_DEP_2)
	v_xor3_b32 v6, v23, v6, v15
	v_mad_u64_u32 v[7:8], null, 0xcd9e8d57, v9, 0
	s_delay_alu instid0(VALU_DEP_1) | instskip(NEXT) | instid1(VALU_DEP_3)
	v_xor3_b32 v4, v24, v8, v4
	v_mad_u64_u32 v[8:9], null, 0xcd9e8d57, v6, 0
	s_delay_alu instid0(VALU_DEP_2) | instskip(NEXT) | instid1(VALU_DEP_2)
	v_mad_u64_u32 v[15:16], null, 0xd2511f53, v4, 0
	v_xor3_b32 v6, v25, v9, v7
	s_delay_alu instid0(VALU_DEP_2) | instskip(NEXT) | instid1(VALU_DEP_2)
	v_xor3_b32 v9, v26, v16, v5
	v_mad_u64_u32 v[4:5], null, 0xd2511f53, v6, 0
	s_delay_alu instid0(VALU_DEP_2) | instskip(NEXT) | instid1(VALU_DEP_2)
	v_mad_u64_u32 v[6:7], null, 0xcd9e8d57, v9, 0
	v_xor3_b32 v5, v27, v5, v15
	s_delay_alu instid0(VALU_DEP_2) | instskip(NEXT) | instid1(VALU_DEP_2)
	;; [unrolled: 6-line block ×6, first 2 shown]
	v_xor3_b32 v4, v6, v7, v30
	v_mov_b32_e32 v6, v10
	v_cmpx_lt_i32_e32 1, v29
	s_xor_b32 s13, exec_lo, s13
	s_cbranch_execnz .LBB86_18
; %bb.9:                                ;   in Loop: Header=BB86_8 Depth=1
	s_and_not1_saveexec_b32 s13, s13
	s_cbranch_execnz .LBB86_23
.LBB86_10:                              ;   in Loop: Header=BB86_8 Depth=1
	s_or_b32 exec_lo, exec_lo, s13
	s_delay_alu instid0(SALU_CYCLE_1)
	s_mov_b32 s13, exec_lo
	v_cmpx_gt_i64_e64 s[4:5], v[13:14]
	s_cbranch_execz .LBB86_12
.LBB86_11:                              ;   in Loop: Header=BB86_8 Depth=1
	v_add_nc_u32_e32 v7, s12, v39
	v_and_b32_e32 v0, 0x7fff, v0
	s_delay_alu instid0(VALU_DEP_2) | instskip(SKIP_1) | instid1(VALU_DEP_2)
	v_ashrrev_i32_e32 v8, 31, v7
	v_add_co_u32 v7, vcc_lo, s6, v7
	v_add_co_ci_u32_e32 v8, vcc_lo, s7, v8, vcc_lo
	global_store_b16 v[7:8], v0, off
.LBB86_12:                              ;   in Loop: Header=BB86_8 Depth=1
	s_or_b32 exec_lo, exec_lo, s13
	v_add_co_u32 v7, vcc_lo, s8, v13
	v_add_co_ci_u32_e32 v8, vcc_lo, 0, v14, vcc_lo
	s_mov_b32 s13, exec_lo
	s_delay_alu instid0(VALU_DEP_1)
	v_cmpx_gt_i64_e64 s[4:5], v[7:8]
	s_cbranch_execz .LBB86_14
; %bb.13:                               ;   in Loop: Header=BB86_8 Depth=1
	v_add_nc_u32_e32 v0, s12, v42
	s_delay_alu instid0(VALU_DEP_1) | instskip(SKIP_2) | instid1(VALU_DEP_3)
	v_ashrrev_i32_e32 v8, 31, v0
	v_add_co_u32 v7, vcc_lo, s6, v0
	v_and_b32_e32 v0, 0x7fff, v1
	v_add_co_ci_u32_e32 v8, vcc_lo, s7, v8, vcc_lo
	global_store_b16 v[7:8], v0, off
.LBB86_14:                              ;   in Loop: Header=BB86_8 Depth=1
	s_or_b32 exec_lo, exec_lo, s13
	v_add_co_u32 v0, vcc_lo, s1, v13
	v_add_co_ci_u32_e32 v1, vcc_lo, 0, v14, vcc_lo
	s_mov_b32 s13, exec_lo
	s_delay_alu instid0(VALU_DEP_1)
	v_cmpx_gt_i64_e64 s[4:5], v[0:1]
	s_cbranch_execz .LBB86_16
; %bb.15:                               ;   in Loop: Header=BB86_8 Depth=1
	v_add_nc_u32_e32 v0, s12, v41
	v_and_b32_e32 v2, 0x7fff, v2
	s_delay_alu instid0(VALU_DEP_2) | instskip(SKIP_1) | instid1(VALU_DEP_2)
	v_ashrrev_i32_e32 v1, 31, v0
	v_add_co_u32 v0, vcc_lo, s6, v0
	v_add_co_ci_u32_e32 v1, vcc_lo, s7, v1, vcc_lo
	global_store_b16 v[0:1], v2, off
.LBB86_16:                              ;   in Loop: Header=BB86_8 Depth=1
	s_or_b32 exec_lo, exec_lo, s13
	v_add_co_u32 v0, vcc_lo, s10, v13
	v_add_co_ci_u32_e32 v1, vcc_lo, 0, v14, vcc_lo
	s_mov_b32 s13, exec_lo
	s_delay_alu instid0(VALU_DEP_1)
	v_cmpx_gt_i64_e64 s[4:5], v[0:1]
	s_cbranch_execz .LBB86_7
; %bb.17:                               ;   in Loop: Header=BB86_8 Depth=1
	v_add_nc_u32_e32 v0, s12, v40
	v_and_b32_e32 v2, 0x7fff, v3
	s_delay_alu instid0(VALU_DEP_2) | instskip(SKIP_1) | instid1(VALU_DEP_2)
	v_ashrrev_i32_e32 v1, 31, v0
	v_add_co_u32 v0, vcc_lo, s6, v0
	v_add_co_ci_u32_e32 v1, vcc_lo, s7, v1, vcc_lo
	global_store_b16 v[0:1], v2, off
	s_branch .LBB86_7
.LBB86_18:                              ;   in Loop: Header=BB86_8 Depth=1
	s_mov_b32 s14, exec_lo
	v_cmpx_lt_i32_e32 2, v29
	s_xor_b32 s14, exec_lo, s14
; %bb.19:                               ;   in Loop: Header=BB86_8 Depth=1
	v_dual_mov_b32 v7, v3 :: v_dual_mov_b32 v8, v4
	v_mov_b32_e32 v9, v5
	s_delay_alu instid0(VALU_DEP_2) | instskip(NEXT) | instid1(VALU_DEP_2)
	v_dual_mov_b32 v0, v7 :: v_dual_mov_b32 v1, v8
	v_dual_mov_b32 v2, v9 :: v_dual_mov_b32 v3, v10
; %bb.20:                               ;   in Loop: Header=BB86_8 Depth=1
	s_and_not1_saveexec_b32 s14, s14
; %bb.21:                               ;   in Loop: Header=BB86_8 Depth=1
	s_delay_alu instid0(VALU_DEP_1)
	v_dual_mov_b32 v0, v2 :: v_dual_mov_b32 v1, v3
	v_dual_mov_b32 v2, v4 :: v_dual_mov_b32 v3, v5
; %bb.22:                               ;   in Loop: Header=BB86_8 Depth=1
	s_or_b32 exec_lo, exec_lo, s14
	s_and_not1_saveexec_b32 s13, s13
	s_cbranch_execz .LBB86_10
.LBB86_23:                              ;   in Loop: Header=BB86_8 Depth=1
	s_mov_b32 s14, exec_lo
	v_cmpx_eq_u32_e32 1, v29
; %bb.24:                               ;   in Loop: Header=BB86_8 Depth=1
	v_dual_mov_b32 v0, v1 :: v_dual_mov_b32 v1, v2
	v_dual_mov_b32 v2, v3 :: v_dual_mov_b32 v3, v4
; %bb.25:                               ;   in Loop: Header=BB86_8 Depth=1
	s_or_b32 exec_lo, exec_lo, s14
	s_delay_alu instid0(SALU_CYCLE_1) | instskip(NEXT) | instid1(SALU_CYCLE_1)
	s_or_b32 exec_lo, exec_lo, s13
	s_mov_b32 s13, exec_lo
	v_cmpx_gt_i64_e64 s[4:5], v[13:14]
	s_cbranch_execnz .LBB86_11
	s_branch .LBB86_12
.LBB86_26:
	s_endpgm
.LBB86_27:
                                        ; implicit-def: $sgpr2_sgpr3
	s_branch .LBB86_4
	.section	.rodata,"a",@progbits
	.p2align	6, 0x0
	.amdhsa_kernel _ZN2at6native12_GLOBAL__N_143distribution_elementwise_grid_stride_kernelIjLi4EZZZNS0_9templates4cuda13random_kernelIPNS_17CUDAGeneratorImplEEEvRNS_18TensorIteratorBaseET_ENKUlvE_clEvENKUlvE3_clEvEUlP25hiprandStatePhilox4_32_10E0_ZNS1_27distribution_nullary_kernelIsj15HIP_vector_typeIjLj4EES7_SF_ZZZNS5_IS7_EEvS9_SA_ENKSB_clEvENKSC_clEvEUljE_EEvS9_T2_RKT3_T4_EUlijE_EEvlNS_15PhiloxCudaStateET1_SK_
		.amdhsa_group_segment_fixed_size 0
		.amdhsa_private_segment_fixed_size 0
		.amdhsa_kernarg_size 320
		.amdhsa_user_sgpr_count 15
		.amdhsa_user_sgpr_dispatch_ptr 0
		.amdhsa_user_sgpr_queue_ptr 0
		.amdhsa_user_sgpr_kernarg_segment_ptr 1
		.amdhsa_user_sgpr_dispatch_id 0
		.amdhsa_user_sgpr_private_segment_size 0
		.amdhsa_wavefront_size32 1
		.amdhsa_uses_dynamic_stack 0
		.amdhsa_enable_private_segment 0
		.amdhsa_system_sgpr_workgroup_id_x 1
		.amdhsa_system_sgpr_workgroup_id_y 0
		.amdhsa_system_sgpr_workgroup_id_z 0
		.amdhsa_system_sgpr_workgroup_info 0
		.amdhsa_system_vgpr_workitem_id 0
		.amdhsa_next_free_vgpr 44
		.amdhsa_next_free_sgpr 23
		.amdhsa_reserve_vcc 1
		.amdhsa_float_round_mode_32 0
		.amdhsa_float_round_mode_16_64 0
		.amdhsa_float_denorm_mode_32 3
		.amdhsa_float_denorm_mode_16_64 3
		.amdhsa_dx10_clamp 1
		.amdhsa_ieee_mode 1
		.amdhsa_fp16_overflow 0
		.amdhsa_workgroup_processor_mode 1
		.amdhsa_memory_ordered 1
		.amdhsa_forward_progress 0
		.amdhsa_shared_vgpr_count 0
		.amdhsa_exception_fp_ieee_invalid_op 0
		.amdhsa_exception_fp_denorm_src 0
		.amdhsa_exception_fp_ieee_div_zero 0
		.amdhsa_exception_fp_ieee_overflow 0
		.amdhsa_exception_fp_ieee_underflow 0
		.amdhsa_exception_fp_ieee_inexact 0
		.amdhsa_exception_int_div_zero 0
	.end_amdhsa_kernel
	.section	.text._ZN2at6native12_GLOBAL__N_143distribution_elementwise_grid_stride_kernelIjLi4EZZZNS0_9templates4cuda13random_kernelIPNS_17CUDAGeneratorImplEEEvRNS_18TensorIteratorBaseET_ENKUlvE_clEvENKUlvE3_clEvEUlP25hiprandStatePhilox4_32_10E0_ZNS1_27distribution_nullary_kernelIsj15HIP_vector_typeIjLj4EES7_SF_ZZZNS5_IS7_EEvS9_SA_ENKSB_clEvENKSC_clEvEUljE_EEvS9_T2_RKT3_T4_EUlijE_EEvlNS_15PhiloxCudaStateET1_SK_,"axG",@progbits,_ZN2at6native12_GLOBAL__N_143distribution_elementwise_grid_stride_kernelIjLi4EZZZNS0_9templates4cuda13random_kernelIPNS_17CUDAGeneratorImplEEEvRNS_18TensorIteratorBaseET_ENKUlvE_clEvENKUlvE3_clEvEUlP25hiprandStatePhilox4_32_10E0_ZNS1_27distribution_nullary_kernelIsj15HIP_vector_typeIjLj4EES7_SF_ZZZNS5_IS7_EEvS9_SA_ENKSB_clEvENKSC_clEvEUljE_EEvS9_T2_RKT3_T4_EUlijE_EEvlNS_15PhiloxCudaStateET1_SK_,comdat
.Lfunc_end86:
	.size	_ZN2at6native12_GLOBAL__N_143distribution_elementwise_grid_stride_kernelIjLi4EZZZNS0_9templates4cuda13random_kernelIPNS_17CUDAGeneratorImplEEEvRNS_18TensorIteratorBaseET_ENKUlvE_clEvENKUlvE3_clEvEUlP25hiprandStatePhilox4_32_10E0_ZNS1_27distribution_nullary_kernelIsj15HIP_vector_typeIjLj4EES7_SF_ZZZNS5_IS7_EEvS9_SA_ENKSB_clEvENKSC_clEvEUljE_EEvS9_T2_RKT3_T4_EUlijE_EEvlNS_15PhiloxCudaStateET1_SK_, .Lfunc_end86-_ZN2at6native12_GLOBAL__N_143distribution_elementwise_grid_stride_kernelIjLi4EZZZNS0_9templates4cuda13random_kernelIPNS_17CUDAGeneratorImplEEEvRNS_18TensorIteratorBaseET_ENKUlvE_clEvENKUlvE3_clEvEUlP25hiprandStatePhilox4_32_10E0_ZNS1_27distribution_nullary_kernelIsj15HIP_vector_typeIjLj4EES7_SF_ZZZNS5_IS7_EEvS9_SA_ENKSB_clEvENKSC_clEvEUljE_EEvS9_T2_RKT3_T4_EUlijE_EEvlNS_15PhiloxCudaStateET1_SK_
                                        ; -- End function
	.section	.AMDGPU.csdata,"",@progbits
; Kernel info:
; codeLenInByte = 2836
; NumSgprs: 25
; NumVgprs: 44
; ScratchSize: 0
; MemoryBound: 0
; FloatMode: 240
; IeeeMode: 1
; LDSByteSize: 0 bytes/workgroup (compile time only)
; SGPRBlocks: 3
; VGPRBlocks: 5
; NumSGPRsForWavesPerEU: 25
; NumVGPRsForWavesPerEU: 44
; Occupancy: 16
; WaveLimiterHint : 0
; COMPUTE_PGM_RSRC2:SCRATCH_EN: 0
; COMPUTE_PGM_RSRC2:USER_SGPR: 15
; COMPUTE_PGM_RSRC2:TRAP_HANDLER: 0
; COMPUTE_PGM_RSRC2:TGID_X_EN: 1
; COMPUTE_PGM_RSRC2:TGID_Y_EN: 0
; COMPUTE_PGM_RSRC2:TGID_Z_EN: 0
; COMPUTE_PGM_RSRC2:TIDIG_COMP_CNT: 0
	.section	.text._ZN2at6native12_GLOBAL__N_143distribution_elementwise_grid_stride_kernelIjLi4EZZZNS0_9templates4cuda13random_kernelIPNS_17CUDAGeneratorImplEEEvRNS_18TensorIteratorBaseET_ENKUlvE_clEvENKUlvE3_clEvEUlP25hiprandStatePhilox4_32_10E0_ZNS1_27distribution_nullary_kernelIsj15HIP_vector_typeIjLj4EES7_SF_ZZZNS5_IS7_EEvS9_SA_ENKSB_clEvENKSC_clEvEUljE_EEvS9_T2_RKT3_T4_EUlijE0_EEvlNS_15PhiloxCudaStateET1_SK_,"axG",@progbits,_ZN2at6native12_GLOBAL__N_143distribution_elementwise_grid_stride_kernelIjLi4EZZZNS0_9templates4cuda13random_kernelIPNS_17CUDAGeneratorImplEEEvRNS_18TensorIteratorBaseET_ENKUlvE_clEvENKUlvE3_clEvEUlP25hiprandStatePhilox4_32_10E0_ZNS1_27distribution_nullary_kernelIsj15HIP_vector_typeIjLj4EES7_SF_ZZZNS5_IS7_EEvS9_SA_ENKSB_clEvENKSC_clEvEUljE_EEvS9_T2_RKT3_T4_EUlijE0_EEvlNS_15PhiloxCudaStateET1_SK_,comdat
	.globl	_ZN2at6native12_GLOBAL__N_143distribution_elementwise_grid_stride_kernelIjLi4EZZZNS0_9templates4cuda13random_kernelIPNS_17CUDAGeneratorImplEEEvRNS_18TensorIteratorBaseET_ENKUlvE_clEvENKUlvE3_clEvEUlP25hiprandStatePhilox4_32_10E0_ZNS1_27distribution_nullary_kernelIsj15HIP_vector_typeIjLj4EES7_SF_ZZZNS5_IS7_EEvS9_SA_ENKSB_clEvENKSC_clEvEUljE_EEvS9_T2_RKT3_T4_EUlijE0_EEvlNS_15PhiloxCudaStateET1_SK_ ; -- Begin function _ZN2at6native12_GLOBAL__N_143distribution_elementwise_grid_stride_kernelIjLi4EZZZNS0_9templates4cuda13random_kernelIPNS_17CUDAGeneratorImplEEEvRNS_18TensorIteratorBaseET_ENKUlvE_clEvENKUlvE3_clEvEUlP25hiprandStatePhilox4_32_10E0_ZNS1_27distribution_nullary_kernelIsj15HIP_vector_typeIjLj4EES7_SF_ZZZNS5_IS7_EEvS9_SA_ENKSB_clEvENKSC_clEvEUljE_EEvS9_T2_RKT3_T4_EUlijE0_EEvlNS_15PhiloxCudaStateET1_SK_
	.p2align	8
	.type	_ZN2at6native12_GLOBAL__N_143distribution_elementwise_grid_stride_kernelIjLi4EZZZNS0_9templates4cuda13random_kernelIPNS_17CUDAGeneratorImplEEEvRNS_18TensorIteratorBaseET_ENKUlvE_clEvENKUlvE3_clEvEUlP25hiprandStatePhilox4_32_10E0_ZNS1_27distribution_nullary_kernelIsj15HIP_vector_typeIjLj4EES7_SF_ZZZNS5_IS7_EEvS9_SA_ENKSB_clEvENKSC_clEvEUljE_EEvS9_T2_RKT3_T4_EUlijE0_EEvlNS_15PhiloxCudaStateET1_SK_,@function
_ZN2at6native12_GLOBAL__N_143distribution_elementwise_grid_stride_kernelIjLi4EZZZNS0_9templates4cuda13random_kernelIPNS_17CUDAGeneratorImplEEEvRNS_18TensorIteratorBaseET_ENKUlvE_clEvENKUlvE3_clEvEUlP25hiprandStatePhilox4_32_10E0_ZNS1_27distribution_nullary_kernelIsj15HIP_vector_typeIjLj4EES7_SF_ZZZNS5_IS7_EEvS9_SA_ENKSB_clEvENKSC_clEvEUljE_EEvS9_T2_RKT3_T4_EUlijE0_EEvlNS_15PhiloxCudaStateET1_SK_: ; @_ZN2at6native12_GLOBAL__N_143distribution_elementwise_grid_stride_kernelIjLi4EZZZNS0_9templates4cuda13random_kernelIPNS_17CUDAGeneratorImplEEEvRNS_18TensorIteratorBaseET_ENKUlvE_clEvENKUlvE3_clEvEUlP25hiprandStatePhilox4_32_10E0_ZNS1_27distribution_nullary_kernelIsj15HIP_vector_typeIjLj4EES7_SF_ZZZNS5_IS7_EEvS9_SA_ENKSB_clEvENKSC_clEvEUljE_EEvS9_T2_RKT3_T4_EUlijE0_EEvlNS_15PhiloxCudaStateET1_SK_
; %bb.0:
	s_clause 0x2
	s_load_b64 s[4:5], s[0:1], 0x10
	s_load_b128 s[16:19], s[0:1], 0x0
	s_load_b32 s2, s[0:1], 0x20
	s_waitcnt lgkmcnt(0)
	v_dual_mov_b32 v2, s4 :: v_dual_mov_b32 v3, s5
	v_dual_mov_b32 v11, s18 :: v_dual_mov_b32 v12, s19
	s_bitcmp0_b32 s2, 0
	s_mov_b32 s2, 0
	s_cbranch_scc1 .LBB87_2
; %bb.1:
	v_dual_mov_b32 v1, s4 :: v_dual_mov_b32 v2, s5
	v_dual_mov_b32 v4, s18 :: v_dual_mov_b32 v5, s19
	s_load_b64 s[4:5], s[0:1], 0x18
	flat_load_b64 v[2:3], v[1:2]
	flat_load_b64 v[11:12], v[4:5]
	s_waitcnt vmcnt(1) lgkmcnt(0)
	v_add_co_u32 v2, vcc_lo, v2, s4
	v_add_co_ci_u32_e32 v3, vcc_lo, s5, v3, vcc_lo
.LBB87_2:
	s_clause 0x1
	s_load_b32 s3, s[0:1], 0x154
	s_load_b32 s4, s[0:1], 0x148
	s_waitcnt lgkmcnt(0)
	s_and_b32 s5, s3, 0xffff
	s_add_u32 s6, s16, -1
	s_mul_i32 s24, s4, s5
	s_addc_u32 s3, s17, -1
	s_lshl_b32 s25, s24, 2
	s_cmp_lg_u64 s[2:3], 0
	s_cbranch_scc0 .LBB87_79
; %bb.3:
	v_cvt_f32_ubyte0_e32 v1, 0
	v_cvt_f32_u32_e32 v4, s25
	s_sub_u32 s8, 0, s25
	s_subb_u32 s9, 0, 0
	s_delay_alu instid0(VALU_DEP_1) | instskip(NEXT) | instid1(VALU_DEP_1)
	v_fmamk_f32 v1, v1, 0x4f800000, v4
	v_rcp_f32_e32 v1, v1
	s_waitcnt_depctr 0xfff
	v_mul_f32_e32 v1, 0x5f7ffffc, v1
	s_delay_alu instid0(VALU_DEP_1) | instskip(NEXT) | instid1(VALU_DEP_1)
	v_mul_f32_e32 v4, 0x2f800000, v1
	v_trunc_f32_e32 v4, v4
	s_delay_alu instid0(VALU_DEP_1) | instskip(SKIP_1) | instid1(VALU_DEP_2)
	v_fmamk_f32 v1, v4, 0xcf800000, v1
	v_cvt_u32_f32_e32 v4, v4
	v_cvt_u32_f32_e32 v1, v1
	s_delay_alu instid0(VALU_DEP_2) | instskip(NEXT) | instid1(VALU_DEP_2)
	v_readfirstlane_b32 s2, v4
	v_readfirstlane_b32 s7, v1
	s_delay_alu instid0(VALU_DEP_2) | instskip(NEXT) | instid1(VALU_DEP_1)
	s_mul_i32 s10, s8, s2
	s_mul_hi_u32 s12, s8, s7
	s_mul_i32 s11, s9, s7
	s_add_i32 s10, s12, s10
	s_mul_i32 s13, s8, s7
	s_add_i32 s10, s10, s11
	s_mul_hi_u32 s12, s7, s13
	s_mul_hi_u32 s14, s2, s13
	s_mul_i32 s11, s2, s13
	s_mul_hi_u32 s13, s7, s10
	s_mul_i32 s7, s7, s10
	s_mul_hi_u32 s18, s2, s10
	s_add_u32 s7, s12, s7
	s_addc_u32 s12, 0, s13
	s_add_u32 s7, s7, s11
	s_mul_i32 s10, s2, s10
	s_addc_u32 s7, s12, s14
	s_addc_u32 s11, s18, 0
	s_add_u32 s7, s7, s10
	s_addc_u32 s10, 0, s11
	v_add_co_u32 v1, s7, v1, s7
	s_delay_alu instid0(VALU_DEP_1) | instskip(SKIP_1) | instid1(VALU_DEP_1)
	s_cmp_lg_u32 s7, 0
	s_addc_u32 s2, s2, s10
	v_readfirstlane_b32 s7, v1
	s_mul_i32 s10, s8, s2
	s_delay_alu instid0(VALU_DEP_1)
	s_mul_hi_u32 s11, s8, s7
	s_mul_i32 s9, s9, s7
	s_add_i32 s10, s11, s10
	s_mul_i32 s8, s8, s7
	s_add_i32 s10, s10, s9
	s_mul_hi_u32 s11, s2, s8
	s_mul_i32 s12, s2, s8
	s_mul_hi_u32 s8, s7, s8
	s_mul_hi_u32 s13, s7, s10
	s_mul_i32 s7, s7, s10
	s_mul_hi_u32 s9, s2, s10
	s_add_u32 s7, s8, s7
	s_addc_u32 s8, 0, s13
	s_add_u32 s7, s7, s12
	s_mul_i32 s10, s2, s10
	s_addc_u32 s7, s8, s11
	s_addc_u32 s8, s9, 0
	s_add_u32 s7, s7, s10
	s_addc_u32 s8, 0, s8
	v_add_co_u32 v1, s7, v1, s7
	s_delay_alu instid0(VALU_DEP_1) | instskip(SKIP_2) | instid1(VALU_DEP_1)
	s_cmp_lg_u32 s7, 0
	s_addc_u32 s7, s2, s8
	s_ashr_i32 s8, s3, 31
	v_readfirstlane_b32 s10, v1
	s_add_u32 s2, s6, s8
	s_mov_b32 s9, s8
	s_addc_u32 s3, s3, s8
	s_delay_alu instid0(SALU_CYCLE_1) | instskip(NEXT) | instid1(SALU_CYCLE_1)
	s_xor_b64 s[2:3], s[2:3], s[8:9]
	s_mul_i32 s12, s2, s7
	s_mul_hi_u32 s13, s2, s10
	s_mul_hi_u32 s11, s2, s7
	;; [unrolled: 1-line block ×3, first 2 shown]
	s_mul_i32 s10, s3, s10
	s_add_u32 s12, s13, s12
	s_addc_u32 s11, 0, s11
	s_mul_hi_u32 s14, s3, s7
	s_add_u32 s10, s12, s10
	s_mul_i32 s7, s3, s7
	s_addc_u32 s10, s11, s18
	s_addc_u32 s11, s14, 0
	s_add_u32 s7, s10, s7
	s_addc_u32 s10, 0, s11
	s_mul_i32 s12, s25, s7
	s_add_u32 s11, s7, 1
	v_sub_co_u32 v1, s2, s2, s12
	s_mul_hi_u32 s12, s25, s7
	s_addc_u32 s13, s10, 0
	s_mul_i32 s14, s25, s10
	s_delay_alu instid0(VALU_DEP_1)
	v_sub_co_u32 v4, s18, v1, s25
	s_add_u32 s19, s7, 2
	s_addc_u32 s20, s10, 0
	s_add_i32 s12, s12, s14
	s_cmp_lg_u32 s2, 0
	v_readfirstlane_b32 s2, v4
	s_subb_u32 s3, s3, s12
	s_cmp_lg_u32 s18, 0
	s_subb_u32 s12, s3, 0
	s_delay_alu instid0(VALU_DEP_1) | instskip(SKIP_4) | instid1(SALU_CYCLE_1)
	s_cmp_ge_u32 s2, s25
	s_cselect_b32 s2, -1, 0
	s_cmp_eq_u32 s12, 0
	v_readfirstlane_b32 s12, v1
	s_cselect_b32 s2, s2, -1
	s_cmp_lg_u32 s2, 0
	s_cselect_b32 s2, s19, s11
	s_cselect_b32 s11, s20, s13
	s_cmp_ge_u32 s12, s25
	s_cselect_b32 s12, -1, 0
	s_cmp_eq_u32 s3, 0
	s_cselect_b32 s3, s12, -1
	s_delay_alu instid0(SALU_CYCLE_1) | instskip(SKIP_2) | instid1(SALU_CYCLE_1)
	s_cmp_lg_u32 s3, 0
	s_cselect_b32 s3, s11, s10
	s_cselect_b32 s2, s2, s7
	s_xor_b64 s[2:3], s[2:3], s[8:9]
	s_delay_alu instid0(SALU_CYCLE_1)
	s_sub_u32 s2, s2, s8
	s_subb_u32 s3, s3, s8
	s_cbranch_execnz .LBB87_5
.LBB87_4:
	v_cvt_f32_u32_e32 v1, s25
	s_sub_i32 s3, 0, s25
	s_delay_alu instid0(VALU_DEP_1) | instskip(SKIP_2) | instid1(VALU_DEP_1)
	v_rcp_iflag_f32_e32 v1, v1
	s_waitcnt_depctr 0xfff
	v_mul_f32_e32 v1, 0x4f7ffffe, v1
	v_cvt_u32_f32_e32 v1, v1
	s_delay_alu instid0(VALU_DEP_1) | instskip(NEXT) | instid1(VALU_DEP_1)
	v_readfirstlane_b32 s2, v1
	s_mul_i32 s3, s3, s2
	s_delay_alu instid0(SALU_CYCLE_1) | instskip(NEXT) | instid1(SALU_CYCLE_1)
	s_mul_hi_u32 s3, s2, s3
	s_add_i32 s2, s2, s3
	s_delay_alu instid0(SALU_CYCLE_1) | instskip(NEXT) | instid1(SALU_CYCLE_1)
	s_mul_hi_u32 s2, s6, s2
	s_mul_i32 s3, s2, s25
	s_delay_alu instid0(SALU_CYCLE_1)
	s_sub_i32 s3, s6, s3
	s_add_i32 s6, s2, 1
	s_sub_i32 s7, s3, s25
	s_cmp_ge_u32 s3, s25
	s_cselect_b32 s2, s6, s2
	s_cselect_b32 s3, s7, s3
	s_add_i32 s6, s2, 1
	s_cmp_ge_u32 s3, s25
	s_mov_b32 s3, 0
	s_cselect_b32 s2, s6, s2
.LBB87_5:
	v_mov_b32_e32 v1, 0
	s_add_u32 s2, s2, 1
	s_addc_u32 s3, s3, 0
	s_mul_hi_u32 s6, s24, s2
	s_mul_i32 s3, s24, s3
	v_mad_u64_u32 v[13:14], null, s5, s15, v[0:1]
	s_mul_hi_u32 s4, s4, s5
	s_add_i32 s3, s6, s3
	s_mul_i32 s4, s4, s2
	s_mul_i32 s2, s24, s2
	s_add_i32 s3, s3, s4
	s_mov_b32 s4, exec_lo
	s_lshl_b64 s[2:3], s[2:3], 2
	s_delay_alu instid0(SALU_CYCLE_1)
	v_cmpx_gt_i64_e64 s[2:3], v[13:14]
	s_cbranch_execz .LBB87_78
; %bb.6:
	v_alignbit_b32 v17, v3, v2, 2
	v_mad_u64_u32 v[4:5], null, 0xcd9e8d57, v13, 0
	v_lshrrev_b32_e32 v18, 2, v3
	s_waitcnt vmcnt(0)
	v_dual_mov_b32 v9, v12 :: v_dual_and_b32 v26, 3, v2
	v_mad_u64_u32 v[0:1], null, 0xd2511f53, v17, 0
	v_add_co_u32 v20, null, 0x9e3779b9, v11
	v_xor3_b32 v3, v11, v5, v18
	s_delay_alu instid0(VALU_DEP_4) | instskip(SKIP_2) | instid1(VALU_DEP_4)
	v_add_co_u32 v19, null, 0xbb67ae85, v9
	v_add_co_u32 v21, null, 0x3c6ef372, v11
	v_xor_b32_e32 v1, v1, v12
	v_mad_u64_u32 v[5:6], null, 0xd2511f53, v3, 0
	v_add_co_u32 v22, null, 0x76cf5d0a, v9
	s_delay_alu instid0(VALU_DEP_3) | instskip(SKIP_2) | instid1(VALU_DEP_3)
	v_xor_b32_e32 v1, v1, v14
	v_add_co_u32 v23, null, 0x32370b8f, v9
	v_add_co_u32 v24, null, 0xdaa66d2b, v11
	v_mad_u64_u32 v[7:8], null, 0xcd9e8d57, v1, 0
	v_xor3_b32 v3, v19, v6, v0
	v_add_co_u32 v25, null, 0x78dde6e4, v11
	v_add_co_u32 v27, null, 0xed9eba14, v9
	s_delay_alu instid0(VALU_DEP_3) | instskip(SKIP_3) | instid1(VALU_DEP_3)
	v_mad_u64_u32 v[0:1], null, 0xcd9e8d57, v3, 0
	v_xor3_b32 v6, v20, v8, v4
	v_add_co_u32 v30, null, 0xa9066899, v9
	v_add_co_u32 v31, null, 0x1715609d, v11
	v_mad_u64_u32 v[3:4], null, 0xd2511f53, v6, 0
	v_xor3_b32 v1, v21, v1, v7
	v_add_co_u32 v33, null, 0xb54cda56, v11
	v_add_co_u32 v35, null, 0x646e171e, v9
	s_load_b256 s[4:11], s[0:1], 0x30
	s_delay_alu instid0(VALU_DEP_4) | instskip(SKIP_2) | instid1(VALU_DEP_3)
	v_xor3_b32 v8, v22, v4, v5
	v_mad_u64_u32 v[4:5], null, 0xd2511f53, v1, 0
	v_add_co_u32 v32, null, 0x5384540f, v11
	v_mad_u64_u32 v[6:7], null, 0xcd9e8d57, v8, 0
	v_add_co_u32 v37, null, 0x1fd5c5a3, v9
	s_delay_alu instid0(VALU_DEP_4) | instskip(SKIP_3) | instid1(VALU_DEP_4)
	v_xor3_b32 v3, v23, v5, v3
	v_add_co_u32 v34, null, 0xf1bbcdc8, v11
	v_add_co_u32 v38, null, 0xdb3d7428, v9
	v_xor3_b32 v5, v24, v7, v0
	v_mad_u64_u32 v[0:1], null, 0xcd9e8d57, v3, 0
	s_add_u32 s12, s0, 48
	s_clause 0x1
	s_load_b64 s[14:15], s[0:1], 0xf4
	s_load_b64 s[18:19], s[0:1], 0x138
	v_mad_u64_u32 v[7:8], null, 0xd2511f53, v5, 0
	s_addc_u32 s13, s1, 0
	s_waitcnt lgkmcnt(0)
	s_add_i32 s20, s4, -1
	v_xor3_b32 v3, v25, v1, v6
	s_cmp_gt_u32 s20, 1
	v_dual_mov_b32 v36, v13 :: v_dual_add_nc_u32 v29, 0x96a522ad, v12
	s_delay_alu instid0(VALU_DEP_3) | instskip(NEXT) | instid1(VALU_DEP_3)
	v_xor3_b32 v5, v27, v8, v4
	v_mad_u64_u32 v[1:2], null, 0xd2511f53, v3, 0
	s_cselect_b32 s11, -1, 0
	s_cmp_lg_u32 s4, 0
	s_delay_alu instid0(VALU_DEP_2) | instskip(SKIP_2) | instid1(VALU_DEP_2)
	v_mad_u64_u32 v[3:4], null, 0xcd9e8d57, v5, 0
	s_cselect_b32 s27, -1, 0
	s_add_u32 s0, s0, 0xf4
	v_xor3_b32 v2, v30, v2, v7
	s_addc_u32 s1, s1, 0
	s_min_u32 s21, s20, 15
	s_cmp_gt_u32 s4, 1
	s_delay_alu instid0(VALU_DEP_2) | instskip(SKIP_3) | instid1(VALU_DEP_2)
	v_xor3_b32 v0, v31, v4, v0
	v_mad_u64_u32 v[4:5], null, 0xcd9e8d57, v2, 0
	s_cselect_b32 s4, -1, 0
	s_add_i32 s21, s21, 1
	v_mad_u64_u32 v[6:7], null, 0xd2511f53, v0, 0
	s_lshl_b32 s28, s24, 1
	s_and_b32 s29, s21, 3
	s_delay_alu instid0(VALU_DEP_2) | instskip(SKIP_3) | instid1(VALU_DEP_3)
	v_xor3_b32 v2, v33, v5, v3
	s_cmp_lg_u32 s20, 2
	v_mov_b32_e32 v39, v14
	s_cselect_b32 s30, -1, 0
	v_xor3_b32 v5, v35, v7, v1
	v_mad_u64_u32 v[0:1], null, 0xd2511f53, v2, 0
	s_and_b32 s31, s21, 28
	s_cmp_lg_u32 s29, 0
	s_delay_alu instid0(VALU_DEP_2) | instskip(SKIP_2) | instid1(VALU_DEP_2)
	v_mad_u64_u32 v[2:3], null, 0xcd9e8d57, v5, 0
	s_mov_b32 s26, 0
	s_mul_i32 s33, s24, 3
	v_xor3_b32 v1, v37, v1, v6
	s_cselect_b32 s34, -1, 0
	s_delay_alu instid0(VALU_DEP_2) | instskip(NEXT) | instid1(VALU_DEP_2)
	v_xor3_b32 v3, v32, v3, v4
	v_mad_u64_u32 v[4:5], null, 0xcd9e8d57, v1, 0
	s_delay_alu instid0(VALU_DEP_2) | instskip(NEXT) | instid1(VALU_DEP_2)
	v_mad_u64_u32 v[6:7], null, 0xd2511f53, v3, 0
	v_xor3_b32 v1, v34, v5, v2
	s_delay_alu instid0(VALU_DEP_2) | instskip(NEXT) | instid1(VALU_DEP_2)
	v_xor3_b32 v0, v38, v7, v0
	v_mad_u64_u32 v[7:8], null, 0xd2511f53, v1, 0
	v_add_nc_u32_e32 v28, 0x8ff34781, v11
	s_delay_alu instid0(VALU_DEP_3) | instskip(NEXT) | instid1(VALU_DEP_3)
	v_mad_u64_u32 v[1:2], null, 0xcd9e8d57, v0, 0
	v_mov_b32_e32 v3, v7
	s_delay_alu instid0(VALU_DEP_2)
	v_xor3_b32 v0, v2, v4, v28
	v_xor3_b32 v2, v8, v6, v29
	s_branch .LBB87_9
.LBB87_7:                               ;   in Loop: Header=BB87_9 Depth=1
	v_and_b32_e32 v0, 0x7fff, v3
	global_store_b16 v1, v0, s[18:19]
.LBB87_8:                               ;   in Loop: Header=BB87_9 Depth=1
	s_or_b32 exec_lo, exec_lo, s35
	v_add_co_u32 v13, vcc_lo, v13, s25
	v_add_co_ci_u32_e32 v14, vcc_lo, 0, v14, vcc_lo
	v_mov_b32_e32 v7, v15
	v_dual_mov_b32 v0, v4 :: v_dual_mov_b32 v1, v5
	s_delay_alu instid0(VALU_DEP_3) | instskip(NEXT) | instid1(VALU_DEP_3)
	v_cmp_le_i64_e32 vcc_lo, s[2:3], v[13:14]
	v_dual_mov_b32 v2, v6 :: v_dual_mov_b32 v3, v7
	s_waitcnt_vscnt null, 0x0
	s_barrier
	buffer_gl0_inv
	s_or_b32 s26, vcc_lo, s26
	s_delay_alu instid0(SALU_CYCLE_1)
	s_and_not1_b32 exec_lo, exec_lo, s26
	s_cbranch_execz .LBB87_78
.LBB87_9:                               ; =>This Loop Header: Depth=1
                                        ;     Child Loop BB87_24 Depth 2
                                        ;     Child Loop BB87_29 Depth 2
                                        ;     Child Loop BB87_39 Depth 2
                                        ;     Child Loop BB87_44 Depth 2
                                        ;     Child Loop BB87_54 Depth 2
                                        ;     Child Loop BB87_59 Depth 2
                                        ;     Child Loop BB87_69 Depth 2
                                        ;     Child Loop BB87_74 Depth 2
	v_add_co_u32 v17, vcc_lo, v17, 1
	s_delay_alu instid0(VALU_DEP_1) | instskip(SKIP_2) | instid1(VALU_DEP_1)
	v_cndmask_b32_e64 v4, 0, 1, vcc_lo
	v_add_co_ci_u32_e32 v18, vcc_lo, 0, v18, vcc_lo
	s_mov_b32 s20, exec_lo
	v_cmp_eq_u32_e32 vcc_lo, 0, v18
	s_delay_alu instid0(VALU_DEP_3) | instskip(NEXT) | instid1(VALU_DEP_1)
	v_cndmask_b32_e32 v4, 0, v4, vcc_lo
	v_add_nc_u32_e32 v36, v4, v36
	s_delay_alu instid0(VALU_DEP_1) | instskip(SKIP_2) | instid1(VALU_DEP_2)
	v_cmp_eq_u32_e32 vcc_lo, 0, v36
	v_mad_u64_u32 v[6:7], null, 0xcd9e8d57, v36, 0
	v_cndmask_b32_e32 v4, 0, v4, vcc_lo
	v_xor3_b32 v9, v7, v11, v18
	s_delay_alu instid0(VALU_DEP_2) | instskip(SKIP_1) | instid1(VALU_DEP_3)
	v_add_nc_u32_e32 v39, v4, v39
	v_mad_u64_u32 v[4:5], null, 0xd2511f53, v17, 0
	v_mad_u64_u32 v[7:8], null, 0xd2511f53, v9, 0
	s_delay_alu instid0(VALU_DEP_2) | instskip(NEXT) | instid1(VALU_DEP_2)
	v_xor_b32_e32 v5, v5, v12
	v_xor3_b32 v8, v19, v8, v4
	s_delay_alu instid0(VALU_DEP_2) | instskip(NEXT) | instid1(VALU_DEP_1)
	v_xor_b32_e32 v5, v39, v5
	v_mad_u64_u32 v[9:10], null, 0xcd9e8d57, v5, 0
	s_delay_alu instid0(VALU_DEP_3) | instskip(NEXT) | instid1(VALU_DEP_2)
	v_mad_u64_u32 v[4:5], null, 0xcd9e8d57, v8, 0
	v_xor3_b32 v6, v20, v10, v6
	s_delay_alu instid0(VALU_DEP_2) | instskip(NEXT) | instid1(VALU_DEP_2)
	v_xor3_b32 v8, v21, v5, v9
	v_mad_u64_u32 v[15:16], null, 0xd2511f53, v6, 0
	s_delay_alu instid0(VALU_DEP_2) | instskip(NEXT) | instid1(VALU_DEP_2)
	v_mad_u64_u32 v[5:6], null, 0xd2511f53, v8, 0
	v_xor3_b32 v9, v22, v16, v7
	s_delay_alu instid0(VALU_DEP_2) | instskip(NEXT) | instid1(VALU_DEP_2)
	v_xor3_b32 v6, v23, v6, v15
	v_mad_u64_u32 v[7:8], null, 0xcd9e8d57, v9, 0
	s_delay_alu instid0(VALU_DEP_1) | instskip(NEXT) | instid1(VALU_DEP_3)
	v_xor3_b32 v4, v24, v8, v4
	v_mad_u64_u32 v[8:9], null, 0xcd9e8d57, v6, 0
	s_delay_alu instid0(VALU_DEP_2) | instskip(NEXT) | instid1(VALU_DEP_2)
	v_mad_u64_u32 v[15:16], null, 0xd2511f53, v4, 0
	v_xor3_b32 v6, v25, v9, v7
	s_delay_alu instid0(VALU_DEP_2) | instskip(NEXT) | instid1(VALU_DEP_2)
	v_xor3_b32 v9, v27, v16, v5
	v_mad_u64_u32 v[4:5], null, 0xd2511f53, v6, 0
	s_delay_alu instid0(VALU_DEP_2) | instskip(NEXT) | instid1(VALU_DEP_2)
	v_mad_u64_u32 v[6:7], null, 0xcd9e8d57, v9, 0
	v_xor3_b32 v5, v30, v5, v15
	s_delay_alu instid0(VALU_DEP_2) | instskip(NEXT) | instid1(VALU_DEP_2)
	;; [unrolled: 6-line block ×6, first 2 shown]
	v_xor3_b32 v4, v6, v7, v28
	v_mov_b32_e32 v6, v10
	v_cmpx_lt_i32_e32 1, v26
	s_xor_b32 s20, exec_lo, s20
	s_cbranch_execnz .LBB87_12
; %bb.10:                               ;   in Loop: Header=BB87_9 Depth=1
	s_and_not1_saveexec_b32 s20, s20
	s_cbranch_execnz .LBB87_17
.LBB87_11:                              ;   in Loop: Header=BB87_9 Depth=1
	s_or_b32 exec_lo, exec_lo, s20
	s_delay_alu instid0(SALU_CYCLE_1)
	s_mov_b32 s35, exec_lo
	v_cmpx_gt_i64_e64 s[16:17], v[13:14]
	s_cbranch_execnz .LBB87_20
	s_branch .LBB87_34
.LBB87_12:                              ;   in Loop: Header=BB87_9 Depth=1
	s_mov_b32 s21, exec_lo
	v_cmpx_lt_i32_e32 2, v26
	s_xor_b32 s21, exec_lo, s21
; %bb.13:                               ;   in Loop: Header=BB87_9 Depth=1
	v_dual_mov_b32 v7, v3 :: v_dual_mov_b32 v8, v4
	v_mov_b32_e32 v9, v5
	s_delay_alu instid0(VALU_DEP_2) | instskip(NEXT) | instid1(VALU_DEP_2)
	v_dual_mov_b32 v0, v7 :: v_dual_mov_b32 v1, v8
	v_dual_mov_b32 v2, v9 :: v_dual_mov_b32 v3, v10
; %bb.14:                               ;   in Loop: Header=BB87_9 Depth=1
	s_and_not1_saveexec_b32 s21, s21
; %bb.15:                               ;   in Loop: Header=BB87_9 Depth=1
	s_delay_alu instid0(VALU_DEP_1)
	v_dual_mov_b32 v0, v2 :: v_dual_mov_b32 v1, v3
	v_dual_mov_b32 v2, v4 :: v_dual_mov_b32 v3, v5
; %bb.16:                               ;   in Loop: Header=BB87_9 Depth=1
	s_or_b32 exec_lo, exec_lo, s21
	s_and_not1_saveexec_b32 s20, s20
	s_cbranch_execz .LBB87_11
.LBB87_17:                              ;   in Loop: Header=BB87_9 Depth=1
	s_mov_b32 s21, exec_lo
	v_cmpx_eq_u32_e32 1, v26
; %bb.18:                               ;   in Loop: Header=BB87_9 Depth=1
	v_dual_mov_b32 v0, v1 :: v_dual_mov_b32 v1, v2
	v_dual_mov_b32 v2, v3 :: v_dual_mov_b32 v3, v4
; %bb.19:                               ;   in Loop: Header=BB87_9 Depth=1
	s_or_b32 exec_lo, exec_lo, s21
	s_delay_alu instid0(SALU_CYCLE_1) | instskip(NEXT) | instid1(SALU_CYCLE_1)
	s_or_b32 exec_lo, exec_lo, s20
	s_mov_b32 s35, exec_lo
	v_cmpx_gt_i64_e64 s[16:17], v[13:14]
	s_cbranch_execz .LBB87_34
.LBB87_20:                              ;   in Loop: Header=BB87_9 Depth=1
	s_and_not1_b32 vcc_lo, exec_lo, s11
	s_cbranch_vccnz .LBB87_26
; %bb.21:                               ;   in Loop: Header=BB87_9 Depth=1
	v_mov_b32_e32 v7, 0
	s_and_not1_b32 vcc_lo, exec_lo, s27
	s_cbranch_vccnz .LBB87_30
; %bb.22:                               ;   in Loop: Header=BB87_9 Depth=1
	s_and_not1_b32 vcc_lo, exec_lo, s30
	s_mov_b32 s20, 0
	s_cbranch_vccnz .LBB87_27
; %bb.23:                               ;   in Loop: Header=BB87_9 Depth=1
	v_dual_mov_b32 v7, 0 :: v_dual_mov_b32 v8, v13
	s_mov_b32 s36, 0
	s_mov_b64 s[20:21], s[12:13]
	s_mov_b64 s[22:23], s[0:1]
.LBB87_24:                              ;   Parent Loop BB87_9 Depth=1
                                        ; =>  This Inner Loop Header: Depth=2
	s_clause 0x1
	s_load_b256 s[40:47], s[20:21], 0x4
	s_load_b128 s[48:51], s[20:21], 0x24
	s_load_b128 s[52:55], s[22:23], 0x0
	s_add_u32 s20, s20, 48
	s_addc_u32 s21, s21, 0
	s_add_i32 s36, s36, 4
	s_add_u32 s22, s22, 16
	s_addc_u32 s23, s23, 0
	s_cmp_lg_u32 s31, s36
	s_waitcnt lgkmcnt(0)
	v_mul_hi_u32 v9, s41, v8
	s_delay_alu instid0(VALU_DEP_1) | instskip(NEXT) | instid1(VALU_DEP_1)
	v_add_nc_u32_e32 v9, v8, v9
	v_lshrrev_b32_e32 v9, s42, v9
	s_delay_alu instid0(VALU_DEP_1) | instskip(SKIP_1) | instid1(VALU_DEP_2)
	v_mul_hi_u32 v10, s44, v9
	v_mul_lo_u32 v41, v9, s40
	v_add_nc_u32_e32 v10, v9, v10
	s_delay_alu instid0(VALU_DEP_2) | instskip(NEXT) | instid1(VALU_DEP_2)
	v_sub_nc_u32_e32 v41, v8, v41
	v_lshrrev_b32_e32 v10, s45, v10
	s_delay_alu instid0(VALU_DEP_2) | instskip(NEXT) | instid1(VALU_DEP_2)
	v_mul_lo_u32 v41, v41, s52
	v_mul_hi_u32 v16, s47, v10
	v_mul_lo_u32 v42, v10, s43
	s_delay_alu instid0(VALU_DEP_2) | instskip(NEXT) | instid1(VALU_DEP_2)
	v_add_nc_u32_e32 v16, v10, v16
	v_sub_nc_u32_e32 v9, v9, v42
	s_delay_alu instid0(VALU_DEP_2) | instskip(NEXT) | instid1(VALU_DEP_2)
	v_lshrrev_b32_e32 v16, s48, v16
	v_mul_lo_u32 v9, v9, s53
	s_delay_alu instid0(VALU_DEP_2) | instskip(NEXT) | instid1(VALU_DEP_2)
	v_mul_hi_u32 v40, s50, v16
	v_add3_u32 v7, v41, v7, v9
	s_delay_alu instid0(VALU_DEP_2) | instskip(NEXT) | instid1(VALU_DEP_1)
	v_add_nc_u32_e32 v40, v16, v40
	v_lshrrev_b32_e32 v8, s51, v40
	v_mul_lo_u32 v40, v16, s46
	s_delay_alu instid0(VALU_DEP_2) | instskip(NEXT) | instid1(VALU_DEP_2)
	v_mul_lo_u32 v43, v8, s49
	v_sub_nc_u32_e32 v10, v10, v40
	s_delay_alu instid0(VALU_DEP_2) | instskip(NEXT) | instid1(VALU_DEP_2)
	v_sub_nc_u32_e32 v16, v16, v43
	v_mul_lo_u32 v10, v10, s54
	s_delay_alu instid0(VALU_DEP_2) | instskip(NEXT) | instid1(VALU_DEP_1)
	v_mul_lo_u32 v16, v16, s55
	v_add3_u32 v7, v10, v7, v16
	s_cbranch_scc1 .LBB87_24
; %bb.25:                               ;   in Loop: Header=BB87_9 Depth=1
	s_mov_b32 s20, s31
	s_and_not1_b32 vcc_lo, exec_lo, s34
	s_cbranch_vccz .LBB87_28
	s_branch .LBB87_30
.LBB87_26:                              ;   in Loop: Header=BB87_9 Depth=1
                                        ; implicit-def: $vgpr7
	s_branch .LBB87_31
.LBB87_27:                              ;   in Loop: Header=BB87_9 Depth=1
	v_mov_b32_e32 v8, v13
	s_and_not1_b32 vcc_lo, exec_lo, s34
	s_cbranch_vccnz .LBB87_30
.LBB87_28:                              ;   in Loop: Header=BB87_9 Depth=1
	s_lshl_b32 s21, s20, 2
	s_mul_i32 s22, s20, 12
	s_add_u32 s20, s0, s21
	s_addc_u32 s21, s1, 0
	s_add_u32 s22, s12, s22
	s_addc_u32 s23, s13, 0
	s_mov_b32 s36, s29
	.p2align	6
.LBB87_29:                              ;   Parent Loop BB87_9 Depth=1
                                        ; =>  This Inner Loop Header: Depth=2
	s_clause 0x1
	s_load_b64 s[38:39], s[22:23], 0x4
	s_load_b32 s37, s[22:23], 0xc
	s_add_u32 s22, s22, 12
	s_addc_u32 s23, s23, 0
	s_waitcnt lgkmcnt(0)
	v_mul_hi_u32 v9, s39, v8
	s_load_b32 s39, s[20:21], 0x0
	s_add_u32 s20, s20, 4
	s_addc_u32 s21, s21, 0
	s_add_i32 s36, s36, -1
	s_delay_alu instid0(SALU_CYCLE_1) | instskip(NEXT) | instid1(VALU_DEP_1)
	s_cmp_lg_u32 s36, 0
	v_add_nc_u32_e32 v9, v8, v9
	s_delay_alu instid0(VALU_DEP_1) | instskip(NEXT) | instid1(VALU_DEP_1)
	v_lshrrev_b32_e32 v16, s37, v9
	v_mul_lo_u32 v9, v16, s38
	s_delay_alu instid0(VALU_DEP_1) | instskip(SKIP_1) | instid1(VALU_DEP_1)
	v_sub_nc_u32_e32 v8, v8, v9
	s_waitcnt lgkmcnt(0)
	v_mad_u64_u32 v[9:10], null, v8, s39, v[7:8]
	s_delay_alu instid0(VALU_DEP_1)
	v_dual_mov_b32 v8, v16 :: v_dual_mov_b32 v7, v9
	s_cbranch_scc1 .LBB87_29
.LBB87_30:                              ;   in Loop: Header=BB87_9 Depth=1
	s_cbranch_execnz .LBB87_33
.LBB87_31:                              ;   in Loop: Header=BB87_9 Depth=1
	v_mul_hi_u32 v7, v13, s6
	s_and_not1_b32 vcc_lo, exec_lo, s4
	s_delay_alu instid0(VALU_DEP_1) | instskip(NEXT) | instid1(VALU_DEP_1)
	v_add_nc_u32_e32 v7, v7, v13
	v_lshrrev_b32_e32 v8, s7, v7
	s_delay_alu instid0(VALU_DEP_1) | instskip(NEXT) | instid1(VALU_DEP_1)
	v_mul_lo_u32 v7, v8, s5
	v_sub_nc_u32_e32 v7, v13, v7
	s_delay_alu instid0(VALU_DEP_1)
	v_mul_lo_u32 v7, v7, s14
	s_cbranch_vccnz .LBB87_33
; %bb.32:                               ;   in Loop: Header=BB87_9 Depth=1
	v_mul_hi_u32 v9, s9, v8
	s_delay_alu instid0(VALU_DEP_1) | instskip(NEXT) | instid1(VALU_DEP_1)
	v_add_nc_u32_e32 v9, v8, v9
	v_lshrrev_b32_e32 v9, s10, v9
	s_delay_alu instid0(VALU_DEP_1) | instskip(NEXT) | instid1(VALU_DEP_1)
	v_mul_lo_u32 v9, v9, s8
	v_sub_nc_u32_e32 v10, v8, v9
	s_delay_alu instid0(VALU_DEP_1) | instskip(NEXT) | instid1(VALU_DEP_1)
	v_mad_u64_u32 v[8:9], null, v10, s15, v[7:8]
	v_mov_b32_e32 v7, v8
.LBB87_33:                              ;   in Loop: Header=BB87_9 Depth=1
	v_and_b32_e32 v0, 0x7fff, v0
	global_store_b16 v7, v0, s[18:19]
.LBB87_34:                              ;   in Loop: Header=BB87_9 Depth=1
	s_or_b32 exec_lo, exec_lo, s35
	v_add_co_u32 v7, vcc_lo, v13, s24
	v_add_co_ci_u32_e32 v8, vcc_lo, 0, v14, vcc_lo
	s_mov_b32 s35, exec_lo
	s_delay_alu instid0(VALU_DEP_1)
	v_cmpx_gt_i64_e64 s[16:17], v[7:8]
	s_cbranch_execz .LBB87_49
; %bb.35:                               ;   in Loop: Header=BB87_9 Depth=1
	s_and_not1_b32 vcc_lo, exec_lo, s11
	s_cbranch_vccnz .LBB87_41
; %bb.36:                               ;   in Loop: Header=BB87_9 Depth=1
	v_mov_b32_e32 v0, 0
	s_and_not1_b32 vcc_lo, exec_lo, s27
	s_cbranch_vccnz .LBB87_45
; %bb.37:                               ;   in Loop: Header=BB87_9 Depth=1
	s_and_not1_b32 vcc_lo, exec_lo, s30
	s_mov_b32 s20, 0
	s_cbranch_vccnz .LBB87_42
; %bb.38:                               ;   in Loop: Header=BB87_9 Depth=1
	v_mov_b32_e32 v0, 0
	v_mov_b32_e32 v8, v7
	s_mov_b32 s36, 0
	s_mov_b64 s[20:21], s[12:13]
	s_mov_b64 s[22:23], s[0:1]
.LBB87_39:                              ;   Parent Loop BB87_9 Depth=1
                                        ; =>  This Inner Loop Header: Depth=2
	s_clause 0x1
	s_load_b256 s[40:47], s[20:21], 0x4
	s_load_b128 s[48:51], s[20:21], 0x24
	s_load_b128 s[52:55], s[22:23], 0x0
	s_add_u32 s20, s20, 48
	s_addc_u32 s21, s21, 0
	s_add_i32 s36, s36, 4
	s_add_u32 s22, s22, 16
	s_addc_u32 s23, s23, 0
	s_cmp_eq_u32 s31, s36
	s_waitcnt lgkmcnt(0)
	v_mul_hi_u32 v9, s41, v8
	s_delay_alu instid0(VALU_DEP_1) | instskip(NEXT) | instid1(VALU_DEP_1)
	v_add_nc_u32_e32 v9, v8, v9
	v_lshrrev_b32_e32 v9, s42, v9
	s_delay_alu instid0(VALU_DEP_1) | instskip(SKIP_1) | instid1(VALU_DEP_2)
	v_mul_hi_u32 v10, s44, v9
	v_mul_lo_u32 v41, v9, s40
	v_add_nc_u32_e32 v10, v9, v10
	s_delay_alu instid0(VALU_DEP_2) | instskip(NEXT) | instid1(VALU_DEP_2)
	v_sub_nc_u32_e32 v41, v8, v41
	v_lshrrev_b32_e32 v10, s45, v10
	s_delay_alu instid0(VALU_DEP_2) | instskip(NEXT) | instid1(VALU_DEP_2)
	v_mul_lo_u32 v41, v41, s52
	v_mul_hi_u32 v16, s47, v10
	v_mul_lo_u32 v42, v10, s43
	s_delay_alu instid0(VALU_DEP_2) | instskip(NEXT) | instid1(VALU_DEP_2)
	v_add_nc_u32_e32 v16, v10, v16
	v_sub_nc_u32_e32 v9, v9, v42
	s_delay_alu instid0(VALU_DEP_2) | instskip(NEXT) | instid1(VALU_DEP_2)
	v_lshrrev_b32_e32 v16, s48, v16
	v_mul_lo_u32 v9, v9, s53
	s_delay_alu instid0(VALU_DEP_2) | instskip(NEXT) | instid1(VALU_DEP_2)
	v_mul_hi_u32 v40, s50, v16
	v_add3_u32 v0, v41, v0, v9
	s_delay_alu instid0(VALU_DEP_2) | instskip(NEXT) | instid1(VALU_DEP_1)
	v_add_nc_u32_e32 v40, v16, v40
	v_lshrrev_b32_e32 v8, s51, v40
	v_mul_lo_u32 v40, v16, s46
	s_delay_alu instid0(VALU_DEP_2) | instskip(NEXT) | instid1(VALU_DEP_2)
	v_mul_lo_u32 v43, v8, s49
	v_sub_nc_u32_e32 v10, v10, v40
	s_delay_alu instid0(VALU_DEP_2) | instskip(NEXT) | instid1(VALU_DEP_2)
	v_sub_nc_u32_e32 v16, v16, v43
	v_mul_lo_u32 v10, v10, s54
	s_delay_alu instid0(VALU_DEP_2) | instskip(NEXT) | instid1(VALU_DEP_1)
	v_mul_lo_u32 v16, v16, s55
	v_add3_u32 v0, v10, v0, v16
	s_cbranch_scc0 .LBB87_39
; %bb.40:                               ;   in Loop: Header=BB87_9 Depth=1
	s_mov_b32 s20, s31
	s_and_not1_b32 vcc_lo, exec_lo, s34
	s_cbranch_vccz .LBB87_43
	s_branch .LBB87_45
.LBB87_41:                              ;   in Loop: Header=BB87_9 Depth=1
                                        ; implicit-def: $vgpr0
	s_branch .LBB87_46
.LBB87_42:                              ;   in Loop: Header=BB87_9 Depth=1
	v_mov_b32_e32 v8, v7
	s_and_not1_b32 vcc_lo, exec_lo, s34
	s_cbranch_vccnz .LBB87_45
.LBB87_43:                              ;   in Loop: Header=BB87_9 Depth=1
	s_lshl_b32 s21, s20, 2
	s_mul_i32 s22, s20, 12
	s_add_u32 s20, s0, s21
	s_addc_u32 s21, s1, 0
	s_add_u32 s22, s12, s22
	s_addc_u32 s23, s13, 0
	s_mov_b32 s36, s29
	.p2align	6
.LBB87_44:                              ;   Parent Loop BB87_9 Depth=1
                                        ; =>  This Inner Loop Header: Depth=2
	s_clause 0x1
	s_load_b64 s[38:39], s[22:23], 0x4
	s_load_b32 s37, s[22:23], 0xc
	s_add_u32 s22, s22, 12
	s_addc_u32 s23, s23, 0
	s_waitcnt lgkmcnt(0)
	v_mul_hi_u32 v9, s39, v8
	s_load_b32 s39, s[20:21], 0x0
	s_add_u32 s20, s20, 4
	s_addc_u32 s21, s21, 0
	s_add_i32 s36, s36, -1
	s_delay_alu instid0(SALU_CYCLE_1) | instskip(NEXT) | instid1(VALU_DEP_1)
	s_cmp_lg_u32 s36, 0
	v_add_nc_u32_e32 v9, v8, v9
	s_delay_alu instid0(VALU_DEP_1) | instskip(NEXT) | instid1(VALU_DEP_1)
	v_lshrrev_b32_e32 v16, s37, v9
	v_mul_lo_u32 v9, v16, s38
	s_delay_alu instid0(VALU_DEP_1) | instskip(SKIP_1) | instid1(VALU_DEP_1)
	v_sub_nc_u32_e32 v8, v8, v9
	s_waitcnt lgkmcnt(0)
	v_mad_u64_u32 v[9:10], null, v8, s39, v[0:1]
	v_mov_b32_e32 v8, v16
	s_delay_alu instid0(VALU_DEP_2)
	v_mov_b32_e32 v0, v9
	s_cbranch_scc1 .LBB87_44
.LBB87_45:                              ;   in Loop: Header=BB87_9 Depth=1
	s_cbranch_execnz .LBB87_48
.LBB87_46:                              ;   in Loop: Header=BB87_9 Depth=1
	v_mul_hi_u32 v0, v7, s6
	s_and_not1_b32 vcc_lo, exec_lo, s4
	s_delay_alu instid0(VALU_DEP_1) | instskip(NEXT) | instid1(VALU_DEP_1)
	v_add_nc_u32_e32 v0, v0, v7
	v_lshrrev_b32_e32 v8, s7, v0
	s_delay_alu instid0(VALU_DEP_1) | instskip(NEXT) | instid1(VALU_DEP_1)
	v_mul_lo_u32 v0, v8, s5
	v_sub_nc_u32_e32 v0, v7, v0
	s_delay_alu instid0(VALU_DEP_1)
	v_mul_lo_u32 v0, v0, s14
	s_cbranch_vccnz .LBB87_48
; %bb.47:                               ;   in Loop: Header=BB87_9 Depth=1
	v_mul_hi_u32 v7, s9, v8
	s_delay_alu instid0(VALU_DEP_1) | instskip(NEXT) | instid1(VALU_DEP_1)
	v_add_nc_u32_e32 v7, v8, v7
	v_lshrrev_b32_e32 v7, s10, v7
	s_delay_alu instid0(VALU_DEP_1) | instskip(NEXT) | instid1(VALU_DEP_1)
	v_mul_lo_u32 v7, v7, s8
	v_sub_nc_u32_e32 v9, v8, v7
	s_delay_alu instid0(VALU_DEP_1) | instskip(NEXT) | instid1(VALU_DEP_1)
	v_mad_u64_u32 v[7:8], null, v9, s15, v[0:1]
	v_mov_b32_e32 v0, v7
.LBB87_48:                              ;   in Loop: Header=BB87_9 Depth=1
	v_and_b32_e32 v1, 0x7fff, v1
	global_store_b16 v0, v1, s[18:19]
.LBB87_49:                              ;   in Loop: Header=BB87_9 Depth=1
	s_or_b32 exec_lo, exec_lo, s35
	v_add_co_u32 v0, vcc_lo, v13, s28
	v_add_co_ci_u32_e32 v1, vcc_lo, 0, v14, vcc_lo
	s_mov_b32 s35, exec_lo
	s_delay_alu instid0(VALU_DEP_1)
	v_cmpx_gt_i64_e64 s[16:17], v[0:1]
	s_cbranch_execz .LBB87_64
; %bb.50:                               ;   in Loop: Header=BB87_9 Depth=1
	s_and_not1_b32 vcc_lo, exec_lo, s11
	s_cbranch_vccnz .LBB87_56
; %bb.51:                               ;   in Loop: Header=BB87_9 Depth=1
	v_mov_b32_e32 v1, 0
	s_and_not1_b32 vcc_lo, exec_lo, s27
	s_cbranch_vccnz .LBB87_60
; %bb.52:                               ;   in Loop: Header=BB87_9 Depth=1
	s_and_not1_b32 vcc_lo, exec_lo, s30
	s_mov_b32 s20, 0
	s_cbranch_vccnz .LBB87_57
; %bb.53:                               ;   in Loop: Header=BB87_9 Depth=1
	v_mov_b32_e32 v1, 0
	v_mov_b32_e32 v7, v0
	s_mov_b32 s36, 0
	s_mov_b64 s[20:21], s[12:13]
	s_mov_b64 s[22:23], s[0:1]
.LBB87_54:                              ;   Parent Loop BB87_9 Depth=1
                                        ; =>  This Inner Loop Header: Depth=2
	s_clause 0x1
	s_load_b256 s[40:47], s[20:21], 0x4
	s_load_b128 s[48:51], s[20:21], 0x24
	s_load_b128 s[52:55], s[22:23], 0x0
	s_add_u32 s20, s20, 48
	s_addc_u32 s21, s21, 0
	s_add_i32 s36, s36, 4
	s_add_u32 s22, s22, 16
	s_addc_u32 s23, s23, 0
	s_cmp_eq_u32 s31, s36
	s_waitcnt lgkmcnt(0)
	v_mul_hi_u32 v8, s41, v7
	s_delay_alu instid0(VALU_DEP_1) | instskip(NEXT) | instid1(VALU_DEP_1)
	v_add_nc_u32_e32 v8, v7, v8
	v_lshrrev_b32_e32 v8, s42, v8
	s_delay_alu instid0(VALU_DEP_1) | instskip(SKIP_1) | instid1(VALU_DEP_2)
	v_mul_hi_u32 v9, s44, v8
	v_mul_lo_u32 v40, v8, s40
	v_add_nc_u32_e32 v9, v8, v9
	s_delay_alu instid0(VALU_DEP_2) | instskip(NEXT) | instid1(VALU_DEP_2)
	v_sub_nc_u32_e32 v40, v7, v40
	v_lshrrev_b32_e32 v9, s45, v9
	s_delay_alu instid0(VALU_DEP_2) | instskip(NEXT) | instid1(VALU_DEP_2)
	v_mul_lo_u32 v40, v40, s52
	v_mul_hi_u32 v10, s47, v9
	v_mul_lo_u32 v41, v9, s43
	s_delay_alu instid0(VALU_DEP_2) | instskip(NEXT) | instid1(VALU_DEP_2)
	v_add_nc_u32_e32 v10, v9, v10
	v_sub_nc_u32_e32 v8, v8, v41
	s_delay_alu instid0(VALU_DEP_2) | instskip(NEXT) | instid1(VALU_DEP_2)
	v_lshrrev_b32_e32 v10, s48, v10
	v_mul_lo_u32 v8, v8, s53
	s_delay_alu instid0(VALU_DEP_2) | instskip(NEXT) | instid1(VALU_DEP_2)
	v_mul_hi_u32 v16, s50, v10
	v_add3_u32 v1, v40, v1, v8
	s_delay_alu instid0(VALU_DEP_2) | instskip(NEXT) | instid1(VALU_DEP_1)
	v_add_nc_u32_e32 v16, v10, v16
	v_lshrrev_b32_e32 v7, s51, v16
	v_mul_lo_u32 v16, v10, s46
	s_delay_alu instid0(VALU_DEP_2) | instskip(NEXT) | instid1(VALU_DEP_2)
	v_mul_lo_u32 v42, v7, s49
	v_sub_nc_u32_e32 v9, v9, v16
	s_delay_alu instid0(VALU_DEP_2) | instskip(NEXT) | instid1(VALU_DEP_2)
	v_sub_nc_u32_e32 v10, v10, v42
	v_mul_lo_u32 v9, v9, s54
	s_delay_alu instid0(VALU_DEP_2) | instskip(NEXT) | instid1(VALU_DEP_1)
	v_mul_lo_u32 v10, v10, s55
	v_add3_u32 v1, v9, v1, v10
	s_cbranch_scc0 .LBB87_54
; %bb.55:                               ;   in Loop: Header=BB87_9 Depth=1
	s_mov_b32 s20, s31
	s_and_not1_b32 vcc_lo, exec_lo, s34
	s_cbranch_vccz .LBB87_58
	s_branch .LBB87_60
.LBB87_56:                              ;   in Loop: Header=BB87_9 Depth=1
                                        ; implicit-def: $vgpr1
	s_branch .LBB87_61
.LBB87_57:                              ;   in Loop: Header=BB87_9 Depth=1
	v_mov_b32_e32 v7, v0
	s_and_not1_b32 vcc_lo, exec_lo, s34
	s_cbranch_vccnz .LBB87_60
.LBB87_58:                              ;   in Loop: Header=BB87_9 Depth=1
	s_lshl_b32 s21, s20, 2
	s_mul_i32 s22, s20, 12
	s_add_u32 s20, s0, s21
	s_addc_u32 s21, s1, 0
	s_add_u32 s22, s12, s22
	s_addc_u32 s23, s13, 0
	s_mov_b32 s36, s29
	.p2align	6
.LBB87_59:                              ;   Parent Loop BB87_9 Depth=1
                                        ; =>  This Inner Loop Header: Depth=2
	s_clause 0x1
	s_load_b64 s[38:39], s[22:23], 0x4
	s_load_b32 s37, s[22:23], 0xc
	s_add_u32 s22, s22, 12
	s_addc_u32 s23, s23, 0
	s_waitcnt lgkmcnt(0)
	v_mul_hi_u32 v8, s39, v7
	s_load_b32 s39, s[20:21], 0x0
	s_add_u32 s20, s20, 4
	s_addc_u32 s21, s21, 0
	s_add_i32 s36, s36, -1
	s_delay_alu instid0(SALU_CYCLE_1) | instskip(NEXT) | instid1(VALU_DEP_1)
	s_cmp_lg_u32 s36, 0
	v_add_nc_u32_e32 v8, v7, v8
	s_delay_alu instid0(VALU_DEP_1) | instskip(NEXT) | instid1(VALU_DEP_1)
	v_lshrrev_b32_e32 v10, s37, v8
	v_mul_lo_u32 v8, v10, s38
	s_delay_alu instid0(VALU_DEP_1) | instskip(SKIP_1) | instid1(VALU_DEP_1)
	v_sub_nc_u32_e32 v7, v7, v8
	s_waitcnt lgkmcnt(0)
	v_mad_u64_u32 v[8:9], null, v7, s39, v[1:2]
	v_mov_b32_e32 v7, v10
	s_delay_alu instid0(VALU_DEP_2)
	v_mov_b32_e32 v1, v8
	s_cbranch_scc1 .LBB87_59
.LBB87_60:                              ;   in Loop: Header=BB87_9 Depth=1
	s_cbranch_execnz .LBB87_63
.LBB87_61:                              ;   in Loop: Header=BB87_9 Depth=1
	v_mul_hi_u32 v1, v0, s6
	s_and_not1_b32 vcc_lo, exec_lo, s4
	s_delay_alu instid0(VALU_DEP_1) | instskip(NEXT) | instid1(VALU_DEP_1)
	v_add_nc_u32_e32 v1, v1, v0
	v_lshrrev_b32_e32 v7, s7, v1
	s_delay_alu instid0(VALU_DEP_1) | instskip(NEXT) | instid1(VALU_DEP_1)
	v_mul_lo_u32 v1, v7, s5
	v_sub_nc_u32_e32 v0, v0, v1
	s_delay_alu instid0(VALU_DEP_1)
	v_mul_lo_u32 v1, v0, s14
	s_cbranch_vccnz .LBB87_63
; %bb.62:                               ;   in Loop: Header=BB87_9 Depth=1
	v_mul_hi_u32 v0, s9, v7
	s_delay_alu instid0(VALU_DEP_1) | instskip(NEXT) | instid1(VALU_DEP_1)
	v_add_nc_u32_e32 v0, v7, v0
	v_lshrrev_b32_e32 v0, s10, v0
	s_delay_alu instid0(VALU_DEP_1) | instskip(NEXT) | instid1(VALU_DEP_1)
	v_mul_lo_u32 v0, v0, s8
	v_sub_nc_u32_e32 v0, v7, v0
	s_delay_alu instid0(VALU_DEP_1) | instskip(NEXT) | instid1(VALU_DEP_1)
	v_mad_u64_u32 v[7:8], null, v0, s15, v[1:2]
	v_mov_b32_e32 v1, v7
.LBB87_63:                              ;   in Loop: Header=BB87_9 Depth=1
	v_and_b32_e32 v0, 0x7fff, v2
	global_store_b16 v1, v0, s[18:19]
.LBB87_64:                              ;   in Loop: Header=BB87_9 Depth=1
	s_or_b32 exec_lo, exec_lo, s35
	v_add_co_u32 v0, vcc_lo, v13, s33
	v_add_co_ci_u32_e32 v1, vcc_lo, 0, v14, vcc_lo
	s_mov_b32 s35, exec_lo
	s_delay_alu instid0(VALU_DEP_1)
	v_cmpx_gt_i64_e64 s[16:17], v[0:1]
	s_cbranch_execz .LBB87_8
; %bb.65:                               ;   in Loop: Header=BB87_9 Depth=1
	s_and_not1_b32 vcc_lo, exec_lo, s11
	s_cbranch_vccnz .LBB87_71
; %bb.66:                               ;   in Loop: Header=BB87_9 Depth=1
	v_mov_b32_e32 v1, 0
	s_and_not1_b32 vcc_lo, exec_lo, s27
	s_cbranch_vccnz .LBB87_75
; %bb.67:                               ;   in Loop: Header=BB87_9 Depth=1
	s_and_not1_b32 vcc_lo, exec_lo, s30
	s_mov_b32 s20, 0
	s_cbranch_vccnz .LBB87_72
; %bb.68:                               ;   in Loop: Header=BB87_9 Depth=1
	v_dual_mov_b32 v1, 0 :: v_dual_mov_b32 v2, v0
	s_mov_b32 s36, 0
	s_mov_b64 s[20:21], s[12:13]
	s_mov_b64 s[22:23], s[0:1]
.LBB87_69:                              ;   Parent Loop BB87_9 Depth=1
                                        ; =>  This Inner Loop Header: Depth=2
	s_clause 0x1
	s_load_b256 s[40:47], s[20:21], 0x4
	s_load_b128 s[48:51], s[20:21], 0x24
	s_load_b128 s[52:55], s[22:23], 0x0
	s_add_u32 s20, s20, 48
	s_addc_u32 s21, s21, 0
	s_add_i32 s36, s36, 4
	s_add_u32 s22, s22, 16
	s_addc_u32 s23, s23, 0
	s_cmp_eq_u32 s31, s36
	s_waitcnt lgkmcnt(0)
	v_mul_hi_u32 v7, s41, v2
	s_delay_alu instid0(VALU_DEP_1) | instskip(NEXT) | instid1(VALU_DEP_1)
	v_add_nc_u32_e32 v7, v2, v7
	v_lshrrev_b32_e32 v7, s42, v7
	s_delay_alu instid0(VALU_DEP_1) | instskip(SKIP_1) | instid1(VALU_DEP_2)
	v_mul_hi_u32 v8, s44, v7
	v_mul_lo_u32 v16, v7, s40
	v_add_nc_u32_e32 v8, v7, v8
	s_delay_alu instid0(VALU_DEP_2) | instskip(NEXT) | instid1(VALU_DEP_2)
	v_sub_nc_u32_e32 v16, v2, v16
	v_lshrrev_b32_e32 v8, s45, v8
	s_delay_alu instid0(VALU_DEP_2) | instskip(NEXT) | instid1(VALU_DEP_2)
	v_mul_lo_u32 v16, v16, s52
	v_mul_hi_u32 v9, s47, v8
	v_mul_lo_u32 v40, v8, s43
	s_delay_alu instid0(VALU_DEP_2) | instskip(NEXT) | instid1(VALU_DEP_2)
	v_add_nc_u32_e32 v9, v8, v9
	v_sub_nc_u32_e32 v7, v7, v40
	s_delay_alu instid0(VALU_DEP_2) | instskip(NEXT) | instid1(VALU_DEP_2)
	v_lshrrev_b32_e32 v9, s48, v9
	v_mul_lo_u32 v7, v7, s53
	s_delay_alu instid0(VALU_DEP_2) | instskip(NEXT) | instid1(VALU_DEP_2)
	v_mul_hi_u32 v10, s50, v9
	v_add3_u32 v1, v16, v1, v7
	s_delay_alu instid0(VALU_DEP_2) | instskip(NEXT) | instid1(VALU_DEP_1)
	v_add_nc_u32_e32 v10, v9, v10
	v_lshrrev_b32_e32 v2, s51, v10
	v_mul_lo_u32 v10, v9, s46
	s_delay_alu instid0(VALU_DEP_2) | instskip(NEXT) | instid1(VALU_DEP_2)
	v_mul_lo_u32 v41, v2, s49
	v_sub_nc_u32_e32 v8, v8, v10
	s_delay_alu instid0(VALU_DEP_2) | instskip(NEXT) | instid1(VALU_DEP_2)
	v_sub_nc_u32_e32 v9, v9, v41
	v_mul_lo_u32 v8, v8, s54
	s_delay_alu instid0(VALU_DEP_2) | instskip(NEXT) | instid1(VALU_DEP_1)
	v_mul_lo_u32 v9, v9, s55
	v_add3_u32 v1, v8, v1, v9
	s_cbranch_scc0 .LBB87_69
; %bb.70:                               ;   in Loop: Header=BB87_9 Depth=1
	s_mov_b32 s20, s31
	s_and_not1_b32 vcc_lo, exec_lo, s34
	s_cbranch_vccz .LBB87_73
	s_branch .LBB87_75
.LBB87_71:                              ;   in Loop: Header=BB87_9 Depth=1
                                        ; implicit-def: $vgpr1
	s_branch .LBB87_76
.LBB87_72:                              ;   in Loop: Header=BB87_9 Depth=1
	v_mov_b32_e32 v2, v0
	s_and_not1_b32 vcc_lo, exec_lo, s34
	s_cbranch_vccnz .LBB87_75
.LBB87_73:                              ;   in Loop: Header=BB87_9 Depth=1
	s_lshl_b32 s21, s20, 2
	s_mul_i32 s22, s20, 12
	s_add_u32 s20, s0, s21
	s_addc_u32 s21, s1, 0
	s_add_u32 s22, s12, s22
	s_addc_u32 s23, s13, 0
	s_mov_b32 s36, s29
	.p2align	6
.LBB87_74:                              ;   Parent Loop BB87_9 Depth=1
                                        ; =>  This Inner Loop Header: Depth=2
	s_clause 0x1
	s_load_b64 s[38:39], s[22:23], 0x4
	s_load_b32 s37, s[22:23], 0xc
	s_add_u32 s22, s22, 12
	s_addc_u32 s23, s23, 0
	s_waitcnt lgkmcnt(0)
	v_mul_hi_u32 v7, s39, v2
	s_load_b32 s39, s[20:21], 0x0
	s_add_u32 s20, s20, 4
	s_addc_u32 s21, s21, 0
	s_add_i32 s36, s36, -1
	s_delay_alu instid0(SALU_CYCLE_1) | instskip(NEXT) | instid1(VALU_DEP_1)
	s_cmp_lg_u32 s36, 0
	v_add_nc_u32_e32 v7, v2, v7
	s_delay_alu instid0(VALU_DEP_1) | instskip(NEXT) | instid1(VALU_DEP_1)
	v_lshrrev_b32_e32 v9, s37, v7
	v_mul_lo_u32 v7, v9, s38
	s_delay_alu instid0(VALU_DEP_1) | instskip(SKIP_1) | instid1(VALU_DEP_1)
	v_sub_nc_u32_e32 v2, v2, v7
	s_waitcnt lgkmcnt(0)
	v_mad_u64_u32 v[7:8], null, v2, s39, v[1:2]
	s_delay_alu instid0(VALU_DEP_1)
	v_dual_mov_b32 v2, v9 :: v_dual_mov_b32 v1, v7
	s_cbranch_scc1 .LBB87_74
.LBB87_75:                              ;   in Loop: Header=BB87_9 Depth=1
	s_cbranch_execnz .LBB87_7
.LBB87_76:                              ;   in Loop: Header=BB87_9 Depth=1
	v_mul_hi_u32 v1, v0, s6
	s_and_not1_b32 vcc_lo, exec_lo, s4
	s_delay_alu instid0(VALU_DEP_1) | instskip(NEXT) | instid1(VALU_DEP_1)
	v_add_nc_u32_e32 v1, v1, v0
	v_lshrrev_b32_e32 v2, s7, v1
	s_delay_alu instid0(VALU_DEP_1) | instskip(NEXT) | instid1(VALU_DEP_1)
	v_mul_lo_u32 v1, v2, s5
	v_sub_nc_u32_e32 v0, v0, v1
	s_delay_alu instid0(VALU_DEP_1)
	v_mul_lo_u32 v1, v0, s14
	s_cbranch_vccnz .LBB87_7
; %bb.77:                               ;   in Loop: Header=BB87_9 Depth=1
	v_mul_hi_u32 v0, s9, v2
	s_delay_alu instid0(VALU_DEP_1) | instskip(NEXT) | instid1(VALU_DEP_1)
	v_add_nc_u32_e32 v0, v2, v0
	v_lshrrev_b32_e32 v0, s10, v0
	s_delay_alu instid0(VALU_DEP_1) | instskip(NEXT) | instid1(VALU_DEP_1)
	v_mul_lo_u32 v0, v0, s8
	v_sub_nc_u32_e32 v0, v2, v0
	s_delay_alu instid0(VALU_DEP_1) | instskip(NEXT) | instid1(VALU_DEP_1)
	v_mad_u64_u32 v[7:8], null, v0, s15, v[1:2]
	v_mov_b32_e32 v1, v7
	s_branch .LBB87_7
.LBB87_78:
	s_endpgm
.LBB87_79:
                                        ; implicit-def: $sgpr2_sgpr3
	s_branch .LBB87_4
	.section	.rodata,"a",@progbits
	.p2align	6, 0x0
	.amdhsa_kernel _ZN2at6native12_GLOBAL__N_143distribution_elementwise_grid_stride_kernelIjLi4EZZZNS0_9templates4cuda13random_kernelIPNS_17CUDAGeneratorImplEEEvRNS_18TensorIteratorBaseET_ENKUlvE_clEvENKUlvE3_clEvEUlP25hiprandStatePhilox4_32_10E0_ZNS1_27distribution_nullary_kernelIsj15HIP_vector_typeIjLj4EES7_SF_ZZZNS5_IS7_EEvS9_SA_ENKSB_clEvENKSC_clEvEUljE_EEvS9_T2_RKT3_T4_EUlijE0_EEvlNS_15PhiloxCudaStateET1_SK_
		.amdhsa_group_segment_fixed_size 0
		.amdhsa_private_segment_fixed_size 0
		.amdhsa_kernarg_size 584
		.amdhsa_user_sgpr_count 15
		.amdhsa_user_sgpr_dispatch_ptr 0
		.amdhsa_user_sgpr_queue_ptr 0
		.amdhsa_user_sgpr_kernarg_segment_ptr 1
		.amdhsa_user_sgpr_dispatch_id 0
		.amdhsa_user_sgpr_private_segment_size 0
		.amdhsa_wavefront_size32 1
		.amdhsa_uses_dynamic_stack 0
		.amdhsa_enable_private_segment 0
		.amdhsa_system_sgpr_workgroup_id_x 1
		.amdhsa_system_sgpr_workgroup_id_y 0
		.amdhsa_system_sgpr_workgroup_id_z 0
		.amdhsa_system_sgpr_workgroup_info 0
		.amdhsa_system_vgpr_workitem_id 0
		.amdhsa_next_free_vgpr 44
		.amdhsa_next_free_sgpr 56
		.amdhsa_reserve_vcc 1
		.amdhsa_float_round_mode_32 0
		.amdhsa_float_round_mode_16_64 0
		.amdhsa_float_denorm_mode_32 3
		.amdhsa_float_denorm_mode_16_64 3
		.amdhsa_dx10_clamp 1
		.amdhsa_ieee_mode 1
		.amdhsa_fp16_overflow 0
		.amdhsa_workgroup_processor_mode 1
		.amdhsa_memory_ordered 1
		.amdhsa_forward_progress 0
		.amdhsa_shared_vgpr_count 0
		.amdhsa_exception_fp_ieee_invalid_op 0
		.amdhsa_exception_fp_denorm_src 0
		.amdhsa_exception_fp_ieee_div_zero 0
		.amdhsa_exception_fp_ieee_overflow 0
		.amdhsa_exception_fp_ieee_underflow 0
		.amdhsa_exception_fp_ieee_inexact 0
		.amdhsa_exception_int_div_zero 0
	.end_amdhsa_kernel
	.section	.text._ZN2at6native12_GLOBAL__N_143distribution_elementwise_grid_stride_kernelIjLi4EZZZNS0_9templates4cuda13random_kernelIPNS_17CUDAGeneratorImplEEEvRNS_18TensorIteratorBaseET_ENKUlvE_clEvENKUlvE3_clEvEUlP25hiprandStatePhilox4_32_10E0_ZNS1_27distribution_nullary_kernelIsj15HIP_vector_typeIjLj4EES7_SF_ZZZNS5_IS7_EEvS9_SA_ENKSB_clEvENKSC_clEvEUljE_EEvS9_T2_RKT3_T4_EUlijE0_EEvlNS_15PhiloxCudaStateET1_SK_,"axG",@progbits,_ZN2at6native12_GLOBAL__N_143distribution_elementwise_grid_stride_kernelIjLi4EZZZNS0_9templates4cuda13random_kernelIPNS_17CUDAGeneratorImplEEEvRNS_18TensorIteratorBaseET_ENKUlvE_clEvENKUlvE3_clEvEUlP25hiprandStatePhilox4_32_10E0_ZNS1_27distribution_nullary_kernelIsj15HIP_vector_typeIjLj4EES7_SF_ZZZNS5_IS7_EEvS9_SA_ENKSB_clEvENKSC_clEvEUljE_EEvS9_T2_RKT3_T4_EUlijE0_EEvlNS_15PhiloxCudaStateET1_SK_,comdat
.Lfunc_end87:
	.size	_ZN2at6native12_GLOBAL__N_143distribution_elementwise_grid_stride_kernelIjLi4EZZZNS0_9templates4cuda13random_kernelIPNS_17CUDAGeneratorImplEEEvRNS_18TensorIteratorBaseET_ENKUlvE_clEvENKUlvE3_clEvEUlP25hiprandStatePhilox4_32_10E0_ZNS1_27distribution_nullary_kernelIsj15HIP_vector_typeIjLj4EES7_SF_ZZZNS5_IS7_EEvS9_SA_ENKSB_clEvENKSC_clEvEUljE_EEvS9_T2_RKT3_T4_EUlijE0_EEvlNS_15PhiloxCudaStateET1_SK_, .Lfunc_end87-_ZN2at6native12_GLOBAL__N_143distribution_elementwise_grid_stride_kernelIjLi4EZZZNS0_9templates4cuda13random_kernelIPNS_17CUDAGeneratorImplEEEvRNS_18TensorIteratorBaseET_ENKUlvE_clEvENKUlvE3_clEvEUlP25hiprandStatePhilox4_32_10E0_ZNS1_27distribution_nullary_kernelIsj15HIP_vector_typeIjLj4EES7_SF_ZZZNS5_IS7_EEvS9_SA_ENKSB_clEvENKSC_clEvEUljE_EEvS9_T2_RKT3_T4_EUlijE0_EEvlNS_15PhiloxCudaStateET1_SK_
                                        ; -- End function
	.section	.AMDGPU.csdata,"",@progbits
; Kernel info:
; codeLenInByte = 5168
; NumSgprs: 58
; NumVgprs: 44
; ScratchSize: 0
; MemoryBound: 0
; FloatMode: 240
; IeeeMode: 1
; LDSByteSize: 0 bytes/workgroup (compile time only)
; SGPRBlocks: 7
; VGPRBlocks: 5
; NumSGPRsForWavesPerEU: 58
; NumVGPRsForWavesPerEU: 44
; Occupancy: 16
; WaveLimiterHint : 1
; COMPUTE_PGM_RSRC2:SCRATCH_EN: 0
; COMPUTE_PGM_RSRC2:USER_SGPR: 15
; COMPUTE_PGM_RSRC2:TRAP_HANDLER: 0
; COMPUTE_PGM_RSRC2:TGID_X_EN: 1
; COMPUTE_PGM_RSRC2:TGID_Y_EN: 0
; COMPUTE_PGM_RSRC2:TGID_Z_EN: 0
; COMPUTE_PGM_RSRC2:TIDIG_COMP_CNT: 0
	.section	.text._ZN2at6native12_GLOBAL__N_143distribution_elementwise_grid_stride_kernelImLi2EZZZNS0_9templates4cuda13random_kernelIPNS_17CUDAGeneratorImplEEEvRNS_18TensorIteratorBaseET_ENKUlvE_clEvENKUlvE4_clEvEUlP25hiprandStatePhilox4_32_10E_ZNS1_27distribution_nullary_kernelIdm15HIP_vector_typeIyLj2EES7_SF_ZZZNS5_IS7_EEvS9_SA_ENKSB_clEvENKSC_clEvEUlmE_EEvS9_T2_RKT3_T4_EUlimE_EEvlNS_15PhiloxCudaStateET1_SK_,"axG",@progbits,_ZN2at6native12_GLOBAL__N_143distribution_elementwise_grid_stride_kernelImLi2EZZZNS0_9templates4cuda13random_kernelIPNS_17CUDAGeneratorImplEEEvRNS_18TensorIteratorBaseET_ENKUlvE_clEvENKUlvE4_clEvEUlP25hiprandStatePhilox4_32_10E_ZNS1_27distribution_nullary_kernelIdm15HIP_vector_typeIyLj2EES7_SF_ZZZNS5_IS7_EEvS9_SA_ENKSB_clEvENKSC_clEvEUlmE_EEvS9_T2_RKT3_T4_EUlimE_EEvlNS_15PhiloxCudaStateET1_SK_,comdat
	.globl	_ZN2at6native12_GLOBAL__N_143distribution_elementwise_grid_stride_kernelImLi2EZZZNS0_9templates4cuda13random_kernelIPNS_17CUDAGeneratorImplEEEvRNS_18TensorIteratorBaseET_ENKUlvE_clEvENKUlvE4_clEvEUlP25hiprandStatePhilox4_32_10E_ZNS1_27distribution_nullary_kernelIdm15HIP_vector_typeIyLj2EES7_SF_ZZZNS5_IS7_EEvS9_SA_ENKSB_clEvENKSC_clEvEUlmE_EEvS9_T2_RKT3_T4_EUlimE_EEvlNS_15PhiloxCudaStateET1_SK_ ; -- Begin function _ZN2at6native12_GLOBAL__N_143distribution_elementwise_grid_stride_kernelImLi2EZZZNS0_9templates4cuda13random_kernelIPNS_17CUDAGeneratorImplEEEvRNS_18TensorIteratorBaseET_ENKUlvE_clEvENKUlvE4_clEvEUlP25hiprandStatePhilox4_32_10E_ZNS1_27distribution_nullary_kernelIdm15HIP_vector_typeIyLj2EES7_SF_ZZZNS5_IS7_EEvS9_SA_ENKSB_clEvENKSC_clEvEUlmE_EEvS9_T2_RKT3_T4_EUlimE_EEvlNS_15PhiloxCudaStateET1_SK_
	.p2align	8
	.type	_ZN2at6native12_GLOBAL__N_143distribution_elementwise_grid_stride_kernelImLi2EZZZNS0_9templates4cuda13random_kernelIPNS_17CUDAGeneratorImplEEEvRNS_18TensorIteratorBaseET_ENKUlvE_clEvENKUlvE4_clEvEUlP25hiprandStatePhilox4_32_10E_ZNS1_27distribution_nullary_kernelIdm15HIP_vector_typeIyLj2EES7_SF_ZZZNS5_IS7_EEvS9_SA_ENKSB_clEvENKSC_clEvEUlmE_EEvS9_T2_RKT3_T4_EUlimE_EEvlNS_15PhiloxCudaStateET1_SK_,@function
_ZN2at6native12_GLOBAL__N_143distribution_elementwise_grid_stride_kernelImLi2EZZZNS0_9templates4cuda13random_kernelIPNS_17CUDAGeneratorImplEEEvRNS_18TensorIteratorBaseET_ENKUlvE_clEvENKUlvE4_clEvEUlP25hiprandStatePhilox4_32_10E_ZNS1_27distribution_nullary_kernelIdm15HIP_vector_typeIyLj2EES7_SF_ZZZNS5_IS7_EEvS9_SA_ENKSB_clEvENKSC_clEvEUlmE_EEvS9_T2_RKT3_T4_EUlimE_EEvlNS_15PhiloxCudaStateET1_SK_: ; @_ZN2at6native12_GLOBAL__N_143distribution_elementwise_grid_stride_kernelImLi2EZZZNS0_9templates4cuda13random_kernelIPNS_17CUDAGeneratorImplEEEvRNS_18TensorIteratorBaseET_ENKUlvE_clEvENKUlvE4_clEvEUlP25hiprandStatePhilox4_32_10E_ZNS1_27distribution_nullary_kernelIdm15HIP_vector_typeIyLj2EES7_SF_ZZZNS5_IS7_EEvS9_SA_ENKSB_clEvENKSC_clEvEUlmE_EEvS9_T2_RKT3_T4_EUlimE_EEvlNS_15PhiloxCudaStateET1_SK_
; %bb.0:
	s_clause 0x2
	s_load_b64 s[8:9], s[0:1], 0x10
	s_load_b128 s[4:7], s[0:1], 0x0
	s_load_b32 s2, s[0:1], 0x20
	s_waitcnt lgkmcnt(0)
	v_dual_mov_b32 v2, s8 :: v_dual_mov_b32 v3, s9
	v_dual_mov_b32 v12, s7 :: v_dual_mov_b32 v11, s6
	s_bitcmp0_b32 s2, 0
	s_mov_b32 s2, 0
	s_cbranch_scc1 .LBB88_2
; %bb.1:
	v_dual_mov_b32 v1, s8 :: v_dual_mov_b32 v2, s9
	v_dual_mov_b32 v4, s6 :: v_dual_mov_b32 v5, s7
	s_load_b64 s[6:7], s[0:1], 0x18
	flat_load_b64 v[2:3], v[1:2]
	flat_load_b64 v[11:12], v[4:5]
	s_waitcnt vmcnt(1) lgkmcnt(0)
	v_add_co_u32 v2, vcc_lo, v2, s6
	v_add_co_ci_u32_e32 v3, vcc_lo, s7, v3, vcc_lo
.LBB88_2:
	s_clause 0x1
	s_load_b32 s3, s[0:1], 0x4c
	s_load_b32 s11, s[0:1], 0x40
	s_waitcnt lgkmcnt(0)
	s_and_b32 s10, s3, 0xffff
	s_add_u32 s6, s4, -1
	s_mul_i32 s8, s11, s10
	s_addc_u32 s3, s5, -1
	s_lshl_b32 s9, s8, 1
	s_cmp_lg_u64 s[2:3], 0
	s_cbranch_scc0 .LBB88_23
; %bb.3:
	v_cvt_f32_ubyte0_e32 v1, 0
	v_cvt_f32_u32_e32 v4, s9
	s_sub_u32 s12, 0, s9
	s_subb_u32 s13, 0, 0
	s_delay_alu instid0(VALU_DEP_1) | instskip(NEXT) | instid1(VALU_DEP_1)
	v_fmamk_f32 v1, v1, 0x4f800000, v4
	v_rcp_f32_e32 v1, v1
	s_waitcnt_depctr 0xfff
	v_mul_f32_e32 v1, 0x5f7ffffc, v1
	s_delay_alu instid0(VALU_DEP_1) | instskip(NEXT) | instid1(VALU_DEP_1)
	v_mul_f32_e32 v4, 0x2f800000, v1
	v_trunc_f32_e32 v4, v4
	s_delay_alu instid0(VALU_DEP_1) | instskip(SKIP_1) | instid1(VALU_DEP_2)
	v_fmamk_f32 v1, v4, 0xcf800000, v1
	v_cvt_u32_f32_e32 v4, v4
	v_cvt_u32_f32_e32 v1, v1
	s_delay_alu instid0(VALU_DEP_2) | instskip(NEXT) | instid1(VALU_DEP_2)
	v_readfirstlane_b32 s2, v4
	v_readfirstlane_b32 s7, v1
	s_delay_alu instid0(VALU_DEP_2) | instskip(NEXT) | instid1(VALU_DEP_1)
	s_mul_i32 s14, s12, s2
	s_mul_hi_u32 s17, s12, s7
	s_mul_i32 s16, s13, s7
	s_add_i32 s14, s17, s14
	s_mul_i32 s18, s12, s7
	s_add_i32 s14, s14, s16
	s_mul_hi_u32 s17, s7, s18
	s_mul_hi_u32 s19, s2, s18
	s_mul_i32 s16, s2, s18
	s_mul_hi_u32 s18, s7, s14
	s_mul_i32 s7, s7, s14
	s_mul_hi_u32 s20, s2, s14
	s_add_u32 s7, s17, s7
	s_addc_u32 s17, 0, s18
	s_add_u32 s7, s7, s16
	s_mul_i32 s14, s2, s14
	s_addc_u32 s7, s17, s19
	s_addc_u32 s16, s20, 0
	s_add_u32 s7, s7, s14
	s_addc_u32 s14, 0, s16
	v_add_co_u32 v1, s7, v1, s7
	s_delay_alu instid0(VALU_DEP_1) | instskip(SKIP_1) | instid1(VALU_DEP_1)
	s_cmp_lg_u32 s7, 0
	s_addc_u32 s2, s2, s14
	v_readfirstlane_b32 s7, v1
	s_mul_i32 s14, s12, s2
	s_delay_alu instid0(VALU_DEP_1)
	s_mul_hi_u32 s16, s12, s7
	s_mul_i32 s13, s13, s7
	s_add_i32 s14, s16, s14
	s_mul_i32 s12, s12, s7
	s_add_i32 s14, s14, s13
	s_mul_hi_u32 s16, s2, s12
	s_mul_i32 s17, s2, s12
	s_mul_hi_u32 s12, s7, s12
	s_mul_hi_u32 s18, s7, s14
	s_mul_i32 s7, s7, s14
	s_mul_hi_u32 s13, s2, s14
	s_add_u32 s7, s12, s7
	s_addc_u32 s12, 0, s18
	s_add_u32 s7, s7, s17
	s_mul_i32 s14, s2, s14
	s_addc_u32 s7, s12, s16
	s_addc_u32 s12, s13, 0
	s_add_u32 s7, s7, s14
	s_addc_u32 s12, 0, s12
	v_add_co_u32 v1, s7, v1, s7
	s_delay_alu instid0(VALU_DEP_1) | instskip(SKIP_2) | instid1(VALU_DEP_1)
	s_cmp_lg_u32 s7, 0
	s_addc_u32 s7, s2, s12
	s_ashr_i32 s12, s3, 31
	v_readfirstlane_b32 s14, v1
	s_add_u32 s2, s6, s12
	s_mov_b32 s13, s12
	s_addc_u32 s3, s3, s12
	s_delay_alu instid0(SALU_CYCLE_1) | instskip(NEXT) | instid1(SALU_CYCLE_1)
	s_xor_b64 s[2:3], s[2:3], s[12:13]
	s_mul_i32 s17, s2, s7
	s_mul_hi_u32 s18, s2, s14
	s_mul_hi_u32 s16, s2, s7
	;; [unrolled: 1-line block ×3, first 2 shown]
	s_mul_i32 s14, s3, s14
	s_add_u32 s17, s18, s17
	s_addc_u32 s16, 0, s16
	s_mul_hi_u32 s19, s3, s7
	s_add_u32 s14, s17, s14
	s_mul_i32 s7, s3, s7
	s_addc_u32 s14, s16, s20
	s_addc_u32 s16, s19, 0
	s_add_u32 s7, s14, s7
	s_addc_u32 s14, 0, s16
	s_mul_i32 s17, s9, s7
	s_add_u32 s16, s7, 1
	v_sub_co_u32 v1, s2, s2, s17
	s_mul_hi_u32 s17, s9, s7
	s_addc_u32 s18, s14, 0
	s_mul_i32 s19, s9, s14
	s_delay_alu instid0(VALU_DEP_1)
	v_sub_co_u32 v4, s20, v1, s9
	s_add_u32 s21, s7, 2
	s_addc_u32 s22, s14, 0
	s_add_i32 s17, s17, s19
	s_cmp_lg_u32 s2, 0
	v_readfirstlane_b32 s2, v4
	s_subb_u32 s3, s3, s17
	s_cmp_lg_u32 s20, 0
	s_subb_u32 s17, s3, 0
	s_delay_alu instid0(VALU_DEP_1) | instskip(SKIP_4) | instid1(SALU_CYCLE_1)
	s_cmp_ge_u32 s2, s9
	s_cselect_b32 s2, -1, 0
	s_cmp_eq_u32 s17, 0
	v_readfirstlane_b32 s17, v1
	s_cselect_b32 s2, s2, -1
	s_cmp_lg_u32 s2, 0
	s_cselect_b32 s2, s21, s16
	s_cselect_b32 s16, s22, s18
	s_cmp_ge_u32 s17, s9
	s_cselect_b32 s17, -1, 0
	s_cmp_eq_u32 s3, 0
	s_cselect_b32 s3, s17, -1
	s_delay_alu instid0(SALU_CYCLE_1) | instskip(SKIP_2) | instid1(SALU_CYCLE_1)
	s_cmp_lg_u32 s3, 0
	s_cselect_b32 s3, s16, s14
	s_cselect_b32 s2, s2, s7
	s_xor_b64 s[2:3], s[2:3], s[12:13]
	s_delay_alu instid0(SALU_CYCLE_1)
	s_sub_u32 s2, s2, s12
	s_subb_u32 s3, s3, s12
	s_cbranch_execnz .LBB88_5
.LBB88_4:
	v_cvt_f32_u32_e32 v1, s9
	s_sub_i32 s3, 0, s9
	s_delay_alu instid0(VALU_DEP_1) | instskip(SKIP_2) | instid1(VALU_DEP_1)
	v_rcp_iflag_f32_e32 v1, v1
	s_waitcnt_depctr 0xfff
	v_mul_f32_e32 v1, 0x4f7ffffe, v1
	v_cvt_u32_f32_e32 v1, v1
	s_delay_alu instid0(VALU_DEP_1) | instskip(NEXT) | instid1(VALU_DEP_1)
	v_readfirstlane_b32 s2, v1
	s_mul_i32 s3, s3, s2
	s_delay_alu instid0(SALU_CYCLE_1) | instskip(NEXT) | instid1(SALU_CYCLE_1)
	s_mul_hi_u32 s3, s2, s3
	s_add_i32 s2, s2, s3
	s_delay_alu instid0(SALU_CYCLE_1) | instskip(NEXT) | instid1(SALU_CYCLE_1)
	s_mul_hi_u32 s2, s6, s2
	s_mul_i32 s3, s2, s9
	s_delay_alu instid0(SALU_CYCLE_1)
	s_sub_i32 s3, s6, s3
	s_add_i32 s6, s2, 1
	s_sub_i32 s7, s3, s9
	s_cmp_ge_u32 s3, s9
	s_cselect_b32 s2, s6, s2
	s_cselect_b32 s3, s7, s3
	s_add_i32 s6, s2, 1
	s_cmp_ge_u32 s3, s9
	s_mov_b32 s3, 0
	s_cselect_b32 s2, s6, s2
.LBB88_5:
	v_mov_b32_e32 v1, 0
	s_add_u32 s2, s2, 1
	s_addc_u32 s3, s3, 0
	s_mul_hi_u32 s6, s8, s2
	s_mul_i32 s3, s8, s3
	v_mad_u64_u32 v[13:14], null, s10, s15, v[0:1]
	s_mul_hi_u32 s7, s11, s10
	s_add_i32 s3, s6, s3
	s_mul_i32 s7, s7, s2
	s_mul_i32 s2, s8, s2
	s_add_i32 s3, s3, s7
	s_mov_b32 s6, exec_lo
	s_lshl_b64 s[2:3], s[2:3], 1
	s_delay_alu instid0(SALU_CYCLE_1)
	v_cmpx_gt_i64_e64 s[2:3], v[13:14]
	s_cbranch_execz .LBB88_22
; %bb.6:
	v_alignbit_b32 v17, v3, v2, 2
	v_mad_u64_u32 v[6:7], null, 0xcd9e8d57, v13, 0
	v_lshrrev_b32_e32 v18, 2, v3
	s_waitcnt vmcnt(0)
	v_dual_mov_b32 v15, v12 :: v_dual_add_nc_u32 v34, 0x8ff34781, v11
	v_mad_u64_u32 v[4:5], null, 0xd2511f53, v17, 0
	v_add_co_u32 v20, null, 0x9e3779b9, v11
	v_xor3_b32 v3, v11, v7, v18
	s_delay_alu instid0(VALU_DEP_4) | instskip(SKIP_2) | instid1(VALU_DEP_4)
	v_add_co_u32 v19, null, 0xbb67ae85, v15
	v_add_co_u32 v21, null, 0x3c6ef372, v11
	v_xor_b32_e32 v1, v5, v12
	v_mad_u64_u32 v[7:8], null, 0xd2511f53, v3, 0
	v_add_co_u32 v22, null, 0x76cf5d0a, v15
	s_delay_alu instid0(VALU_DEP_3) | instskip(SKIP_2) | instid1(VALU_DEP_3)
	v_xor_b32_e32 v1, v1, v14
	v_add_co_u32 v23, null, 0x32370b8f, v15
	v_add_co_u32 v24, null, 0xdaa66d2b, v11
	v_mad_u64_u32 v[9:10], null, 0xcd9e8d57, v1, 0
	v_xor3_b32 v1, v19, v8, v4
	v_add_co_u32 v25, null, 0x78dde6e4, v11
	v_add_co_u32 v26, null, 0xed9eba14, v15
	s_delay_alu instid0(VALU_DEP_3) | instskip(SKIP_3) | instid1(VALU_DEP_3)
	v_mad_u64_u32 v[3:4], null, 0xcd9e8d57, v1, 0
	v_xor3_b32 v8, v20, v10, v6
	v_add_co_u32 v27, null, 0xa9066899, v15
	v_add_co_u32 v28, null, 0x1715609d, v11
	v_mad_u64_u32 v[5:6], null, 0xd2511f53, v8, 0
	v_xor3_b32 v1, v21, v4, v9
	v_add_co_u32 v29, null, 0xb54cda56, v11
	v_add_co_u32 v30, null, 0x646e171e, v15
	v_add_co_u32 v31, null, 0x1fd5c5a3, v15
	v_xor3_b32 v4, v22, v6, v7
	v_mad_u64_u32 v[6:7], null, 0xd2511f53, v1, 0
	v_add_co_u32 v32, null, 0x5384540f, v11
	s_delay_alu instid0(VALU_DEP_3) | instskip(SKIP_1) | instid1(VALU_DEP_4)
	v_mad_u64_u32 v[8:9], null, 0xcd9e8d57, v4, 0
	v_dual_mov_b32 v38, v13 :: v_dual_and_b32 v33, 3, v2
	v_xor3_b32 v1, v23, v7, v5
	s_clause 0x1
	s_load_b64 s[6:7], s[0:1], 0x30
	s_load_b32 s0, s[0:1], 0x38
	v_add_co_u32 v35, null, 0xf1bbcdc8, v11
	s_delay_alu instid0(VALU_DEP_4) | instskip(SKIP_2) | instid1(VALU_DEP_3)
	v_xor3_b32 v5, v24, v9, v3
	v_mad_u64_u32 v[3:4], null, 0xcd9e8d57, v1, 0
	v_add_co_u32 v36, null, 0xdb3d7428, v15
	v_mad_u64_u32 v[9:10], null, 0xd2511f53, v5, 0
	v_add_nc_u32_e32 v37, 0x96a522ad, v12
	v_mov_b32_e32 v41, v14
	v_xor3_b32 v1, v25, v4, v8
	s_delay_alu instid0(VALU_DEP_4) | instskip(NEXT) | instid1(VALU_DEP_2)
	v_xor3_b32 v8, v26, v10, v6
	v_mad_u64_u32 v[4:5], null, 0xd2511f53, v1, 0
	s_waitcnt lgkmcnt(0)
	s_mul_i32 s1, s11, s0
	s_delay_alu instid0(VALU_DEP_2) | instskip(NEXT) | instid1(VALU_DEP_2)
	v_mad_u64_u32 v[6:7], null, 0xcd9e8d57, v8, 0
	v_xor3_b32 v1, v27, v5, v9
	s_delay_alu instid0(VALU_DEP_2) | instskip(NEXT) | instid1(VALU_DEP_2)
	v_xor3_b32 v3, v28, v7, v3
	v_mad_u64_u32 v[7:8], null, 0xcd9e8d57, v1, 0
	s_delay_alu instid0(VALU_DEP_2) | instskip(NEXT) | instid1(VALU_DEP_2)
	v_mad_u64_u32 v[9:10], null, 0xd2511f53, v3, 0
	v_xor3_b32 v1, v29, v8, v6
	s_delay_alu instid0(VALU_DEP_2) | instskip(NEXT) | instid1(VALU_DEP_2)
	v_xor3_b32 v8, v30, v10, v4
	v_mad_u64_u32 v[3:4], null, 0xd2511f53, v1, 0
	;; [unrolled: 6-line block ×3, first 2 shown]
	v_mad_u64_u32 v[15:16], null, s15, s10, v[0:1]
	s_delay_alu instid0(VALU_DEP_3) | instskip(SKIP_2) | instid1(VALU_DEP_3)
	v_mad_u64_u32 v[8:9], null, 0xd2511f53, v2, 0
	s_add_i32 s15, s15, s11
	s_mov_b32 s11, 0
	v_xor3_b32 v1, v35, v7, v5
	s_delay_alu instid0(VALU_DEP_3) | instskip(NEXT) | instid1(VALU_DEP_3)
	v_mul_lo_u32 v39, s0, v15
	v_xor3_b32 v7, v36, v9, v3
	s_delay_alu instid0(VALU_DEP_3) | instskip(SKIP_1) | instid1(VALU_DEP_3)
	v_mad_u64_u32 v[3:4], null, s15, s10, v[0:1]
	v_mad_u64_u32 v[4:5], null, 0xd2511f53, v1, 0
	v_mad_u64_u32 v[1:2], null, 0xcd9e8d57, v7, 0
	s_delay_alu instid0(VALU_DEP_3) | instskip(SKIP_1) | instid1(VALU_DEP_3)
	v_mul_lo_u32 v40, s0, v3
	s_mul_i32 s0, s1, s10
	v_mov_b32_e32 v3, v4
	s_mov_b32 s1, 0
	s_delay_alu instid0(VALU_DEP_3)
	v_xor3_b32 v0, v2, v6, v34
	v_xor3_b32 v2, v5, v8, v37
	s_lshl_b32 s10, s0, 1
	s_branch .LBB88_8
.LBB88_7:                               ;   in Loop: Header=BB88_8 Depth=1
	s_or_b32 exec_lo, exec_lo, s12
	v_add_co_u32 v13, vcc_lo, v13, s9
	v_add_co_ci_u32_e32 v14, vcc_lo, 0, v14, vcc_lo
	v_mov_b32_e32 v7, v15
	v_dual_mov_b32 v0, v4 :: v_dual_mov_b32 v1, v5
	s_delay_alu instid0(VALU_DEP_3) | instskip(NEXT) | instid1(VALU_DEP_3)
	v_cmp_le_i64_e32 vcc_lo, s[2:3], v[13:14]
	v_dual_mov_b32 v2, v6 :: v_dual_mov_b32 v3, v7
	s_add_i32 s11, s11, s10
	s_waitcnt_vscnt null, 0x0
	s_barrier
	s_or_b32 s1, vcc_lo, s1
	buffer_gl0_inv
	s_and_not1_b32 exec_lo, exec_lo, s1
	s_cbranch_execz .LBB88_22
.LBB88_8:                               ; =>This Inner Loop Header: Depth=1
	v_add_co_u32 v17, vcc_lo, v17, 1
	s_delay_alu instid0(VALU_DEP_1) | instskip(SKIP_2) | instid1(VALU_DEP_1)
	v_cndmask_b32_e64 v4, 0, 1, vcc_lo
	v_add_co_ci_u32_e32 v18, vcc_lo, 0, v18, vcc_lo
	s_mov_b32 s0, exec_lo
	v_cmp_eq_u32_e32 vcc_lo, 0, v18
	s_delay_alu instid0(VALU_DEP_3) | instskip(NEXT) | instid1(VALU_DEP_1)
	v_cndmask_b32_e32 v4, 0, v4, vcc_lo
	v_add_nc_u32_e32 v38, v4, v38
	s_delay_alu instid0(VALU_DEP_1) | instskip(SKIP_2) | instid1(VALU_DEP_2)
	v_cmp_eq_u32_e32 vcc_lo, 0, v38
	v_mad_u64_u32 v[6:7], null, 0xcd9e8d57, v38, 0
	v_cndmask_b32_e32 v4, 0, v4, vcc_lo
	v_xor3_b32 v9, v7, v11, v18
	s_delay_alu instid0(VALU_DEP_2) | instskip(SKIP_1) | instid1(VALU_DEP_3)
	v_add_nc_u32_e32 v41, v4, v41
	v_mad_u64_u32 v[4:5], null, 0xd2511f53, v17, 0
	v_mad_u64_u32 v[7:8], null, 0xd2511f53, v9, 0
	s_delay_alu instid0(VALU_DEP_2) | instskip(NEXT) | instid1(VALU_DEP_2)
	v_xor_b32_e32 v5, v5, v12
	v_xor3_b32 v8, v19, v8, v4
	s_delay_alu instid0(VALU_DEP_2) | instskip(NEXT) | instid1(VALU_DEP_1)
	v_xor_b32_e32 v5, v41, v5
	v_mad_u64_u32 v[9:10], null, 0xcd9e8d57, v5, 0
	s_delay_alu instid0(VALU_DEP_3) | instskip(NEXT) | instid1(VALU_DEP_2)
	v_mad_u64_u32 v[4:5], null, 0xcd9e8d57, v8, 0
	v_xor3_b32 v6, v20, v10, v6
	s_delay_alu instid0(VALU_DEP_2) | instskip(NEXT) | instid1(VALU_DEP_2)
	v_xor3_b32 v8, v21, v5, v9
	v_mad_u64_u32 v[15:16], null, 0xd2511f53, v6, 0
	s_delay_alu instid0(VALU_DEP_2) | instskip(NEXT) | instid1(VALU_DEP_2)
	v_mad_u64_u32 v[5:6], null, 0xd2511f53, v8, 0
	v_xor3_b32 v9, v22, v16, v7
	s_delay_alu instid0(VALU_DEP_2) | instskip(NEXT) | instid1(VALU_DEP_2)
	v_xor3_b32 v6, v23, v6, v15
	v_mad_u64_u32 v[7:8], null, 0xcd9e8d57, v9, 0
	s_delay_alu instid0(VALU_DEP_1) | instskip(NEXT) | instid1(VALU_DEP_3)
	v_xor3_b32 v4, v24, v8, v4
	v_mad_u64_u32 v[8:9], null, 0xcd9e8d57, v6, 0
	s_delay_alu instid0(VALU_DEP_2) | instskip(NEXT) | instid1(VALU_DEP_2)
	v_mad_u64_u32 v[15:16], null, 0xd2511f53, v4, 0
	v_xor3_b32 v6, v25, v9, v7
	s_delay_alu instid0(VALU_DEP_2) | instskip(NEXT) | instid1(VALU_DEP_2)
	v_xor3_b32 v9, v26, v16, v5
	v_mad_u64_u32 v[4:5], null, 0xd2511f53, v6, 0
	s_delay_alu instid0(VALU_DEP_2) | instskip(NEXT) | instid1(VALU_DEP_2)
	v_mad_u64_u32 v[6:7], null, 0xcd9e8d57, v9, 0
	v_xor3_b32 v5, v27, v5, v15
	s_delay_alu instid0(VALU_DEP_2) | instskip(NEXT) | instid1(VALU_DEP_2)
	;; [unrolled: 6-line block ×6, first 2 shown]
	v_xor3_b32 v4, v6, v7, v34
	v_mov_b32_e32 v6, v10
	v_cmpx_lt_i32_e32 1, v33
	s_xor_b32 s0, exec_lo, s0
	s_cbranch_execnz .LBB88_14
; %bb.9:                                ;   in Loop: Header=BB88_8 Depth=1
	s_and_not1_saveexec_b32 s0, s0
	s_cbranch_execnz .LBB88_19
.LBB88_10:                              ;   in Loop: Header=BB88_8 Depth=1
	s_or_b32 exec_lo, exec_lo, s0
	s_delay_alu instid0(SALU_CYCLE_1)
	s_mov_b32 s12, exec_lo
	v_cmpx_gt_i64_e64 s[4:5], v[13:14]
	s_cbranch_execz .LBB88_12
.LBB88_11:                              ;   in Loop: Header=BB88_8 Depth=1
	s_add_u32 s0, 0, 0
	s_addc_u32 s14, 0, 0
	v_add_co_u32 v7, s0, 0x7ff, s0
	s_delay_alu instid0(VALU_DEP_1) | instskip(SKIP_1) | instid1(VALU_DEP_1)
	s_cmp_lg_u32 s0, 0
	s_addc_u32 s0, s14, 0
	v_readfirstlane_b32 s13, v7
	s_delay_alu instid0(VALU_DEP_1)
	s_mul_i32 s15, s13, 0xffdfffff
	s_mul_hi_u32 s16, s13, -1
	s_sub_i32 s14, 0, s13
	s_add_i32 s16, s16, s15
	s_mul_hi_u32 s17, s0, s14
	s_sub_i32 s16, s16, s0
	s_mul_i32 s15, s0, s14
	s_mul_hi_u32 s14, s13, s14
	s_mul_hi_u32 s18, s13, s16
	s_mul_i32 s13, s13, s16
	s_mul_hi_u32 s19, s0, s16
	s_add_u32 s13, s14, s13
	s_addc_u32 s14, 0, s18
	s_add_u32 s13, s13, s15
	s_mul_i32 s16, s0, s16
	s_addc_u32 s13, s14, s17
	s_addc_u32 s14, s19, 0
	s_add_u32 s13, s13, s16
	s_addc_u32 s14, 0, s14
	v_add_co_u32 v16, s13, v7, s13
	s_delay_alu instid0(VALU_DEP_1) | instskip(SKIP_1) | instid1(VALU_DEP_1)
	s_cmp_lg_u32 s13, 0
	s_addc_u32 s0, s0, s14
	v_mul_hi_u32 v44, v1, v16
	v_mad_u64_u32 v[7:8], null, v1, s0, 0
	v_mad_u64_u32 v[9:10], null, v0, v16, 0
	;; [unrolled: 1-line block ×3, first 2 shown]
	s_delay_alu instid0(VALU_DEP_3) | instskip(NEXT) | instid1(VALU_DEP_4)
	v_add_co_u32 v7, vcc_lo, v44, v7
	v_add_co_ci_u32_e32 v8, vcc_lo, 0, v8, vcc_lo
	s_delay_alu instid0(VALU_DEP_2) | instskip(NEXT) | instid1(VALU_DEP_2)
	v_add_co_u32 v7, vcc_lo, v7, v9
	v_add_co_ci_u32_e32 v7, vcc_lo, v8, v10, vcc_lo
	v_add_co_ci_u32_e32 v8, vcc_lo, 0, v43, vcc_lo
	s_delay_alu instid0(VALU_DEP_2) | instskip(NEXT) | instid1(VALU_DEP_2)
	v_add_co_u32 v7, vcc_lo, v7, v42
	v_add_co_ci_u32_e32 v8, vcc_lo, 0, v8, vcc_lo
	s_delay_alu instid0(VALU_DEP_2) | instskip(NEXT) | instid1(VALU_DEP_2)
	v_sub_co_u32 v1, vcc_lo, v1, v7
	v_lshl_add_u32 v8, v7, 21, v8
	s_delay_alu instid0(VALU_DEP_1) | instskip(NEXT) | instid1(VALU_DEP_1)
	v_sub_nc_u32_e32 v9, v0, v8
	v_subrev_co_ci_u32_e64 v7, s0, 0x200000, v9, vcc_lo
	v_sub_co_ci_u32_e32 v0, vcc_lo, v0, v8, vcc_lo
	v_sub_co_u32 v8, vcc_lo, v1, 1
	s_delay_alu instid0(VALU_DEP_1) | instskip(SKIP_2) | instid1(VALU_DEP_3)
	v_subrev_co_ci_u32_e64 v9, s0, 0, v7, vcc_lo
	v_cmp_ne_u32_e64 s0, 0, v1
	v_subrev_co_ci_u32_e32 v7, vcc_lo, 0x200000, v7, vcc_lo
	v_cmp_eq_u32_e32 vcc_lo, 0x200000, v9
	s_delay_alu instid0(VALU_DEP_3) | instskip(SKIP_1) | instid1(VALU_DEP_1)
	v_cndmask_b32_e64 v10, 0, -1, s0
	v_cmp_ne_u32_e64 s0, 0, v8
	v_cndmask_b32_e64 v16, 0, -1, s0
	v_cmp_lt_u32_e64 s0, 0x1fffff, v9
	s_delay_alu instid0(VALU_DEP_1) | instskip(SKIP_1) | instid1(VALU_DEP_2)
	v_cndmask_b32_e64 v42, 0, -1, s0
	v_cmp_lt_u32_e64 s0, 0x1fffff, v0
	v_cndmask_b32_e32 v16, v42, v16, vcc_lo
	s_delay_alu instid0(VALU_DEP_2) | instskip(SKIP_4) | instid1(VALU_DEP_4)
	v_cndmask_b32_e64 v43, 0, -1, s0
	v_cmp_eq_u32_e64 s0, 0x200000, v0
	v_sub_co_u32 v42, vcc_lo, v8, 1
	v_subrev_co_ci_u32_e32 v7, vcc_lo, 0, v7, vcc_lo
	v_cmp_ne_u32_e32 vcc_lo, 0, v16
	v_cndmask_b32_e64 v10, v43, v10, s0
	s_delay_alu instid0(VALU_DEP_3) | instskip(NEXT) | instid1(VALU_DEP_2)
	v_dual_cndmask_b32 v7, v9, v7 :: v_dual_cndmask_b32 v8, v8, v42
	v_cmp_ne_u32_e32 vcc_lo, 0, v10
	s_delay_alu instid0(VALU_DEP_2) | instskip(NEXT) | instid1(VALU_DEP_3)
	v_cndmask_b32_e32 v0, v0, v7, vcc_lo
	v_cndmask_b32_e32 v8, v1, v8, vcc_lo
	s_delay_alu instid0(VALU_DEP_2) | instskip(NEXT) | instid1(VALU_DEP_2)
	v_cvt_f64_u32_e32 v[0:1], v0
	v_cvt_f64_u32_e32 v[7:8], v8
	s_delay_alu instid0(VALU_DEP_2) | instskip(NEXT) | instid1(VALU_DEP_1)
	v_ldexp_f64 v[0:1], v[0:1], 32
	v_add_f64 v[0:1], v[0:1], v[7:8]
	v_add_nc_u32_e32 v7, s11, v39
	s_delay_alu instid0(VALU_DEP_1) | instskip(SKIP_1) | instid1(VALU_DEP_2)
	v_ashrrev_i32_e32 v8, 31, v7
	v_add_co_u32 v7, vcc_lo, s6, v7
	v_add_co_ci_u32_e32 v8, vcc_lo, s7, v8, vcc_lo
	global_store_b64 v[7:8], v[0:1], off
.LBB88_12:                              ;   in Loop: Header=BB88_8 Depth=1
	s_or_b32 exec_lo, exec_lo, s12
	v_add_co_u32 v0, vcc_lo, s8, v13
	v_add_co_ci_u32_e32 v1, vcc_lo, 0, v14, vcc_lo
	s_mov_b32 s12, exec_lo
	s_delay_alu instid0(VALU_DEP_1)
	v_cmpx_gt_i64_e64 s[4:5], v[0:1]
	s_cbranch_execz .LBB88_7
; %bb.13:                               ;   in Loop: Header=BB88_8 Depth=1
	s_add_u32 s0, 0, 0
	s_addc_u32 s14, 0, 0
	v_add_co_u32 v0, s0, 0x7ff, s0
	s_delay_alu instid0(VALU_DEP_1) | instskip(SKIP_1) | instid1(VALU_DEP_1)
	s_cmp_lg_u32 s0, 0
	s_addc_u32 s0, s14, 0
	v_readfirstlane_b32 s13, v0
	s_delay_alu instid0(VALU_DEP_1)
	s_mul_i32 s15, s13, 0xffdfffff
	s_mul_hi_u32 s16, s13, -1
	s_sub_i32 s14, 0, s13
	s_add_i32 s16, s16, s15
	s_mul_hi_u32 s17, s0, s14
	s_sub_i32 s16, s16, s0
	s_mul_i32 s15, s0, s14
	s_mul_hi_u32 s14, s13, s14
	s_mul_hi_u32 s18, s13, s16
	s_mul_i32 s13, s13, s16
	s_mul_hi_u32 s19, s0, s16
	s_add_u32 s13, s14, s13
	s_addc_u32 s14, 0, s18
	s_add_u32 s13, s13, s15
	s_mul_i32 s16, s0, s16
	s_addc_u32 s13, s14, s17
	s_addc_u32 s14, s19, 0
	s_add_u32 s13, s13, s16
	s_addc_u32 s14, 0, s14
	v_add_co_u32 v9, s13, v0, s13
	s_delay_alu instid0(VALU_DEP_1) | instskip(SKIP_1) | instid1(VALU_DEP_1)
	s_cmp_lg_u32 s13, 0
	s_addc_u32 s0, s0, s14
	v_mul_hi_u32 v16, v3, v9
	v_mad_u64_u32 v[0:1], null, v3, s0, 0
	v_mad_u64_u32 v[7:8], null, v2, v9, 0
	;; [unrolled: 1-line block ×3, first 2 shown]
	s_delay_alu instid0(VALU_DEP_3) | instskip(NEXT) | instid1(VALU_DEP_4)
	v_add_co_u32 v0, vcc_lo, v16, v0
	v_add_co_ci_u32_e32 v1, vcc_lo, 0, v1, vcc_lo
	s_delay_alu instid0(VALU_DEP_2) | instskip(NEXT) | instid1(VALU_DEP_2)
	v_add_co_u32 v0, vcc_lo, v0, v7
	v_add_co_ci_u32_e32 v0, vcc_lo, v1, v8, vcc_lo
	v_add_co_ci_u32_e32 v1, vcc_lo, 0, v10, vcc_lo
	s_delay_alu instid0(VALU_DEP_2) | instskip(NEXT) | instid1(VALU_DEP_2)
	v_add_co_u32 v0, vcc_lo, v0, v9
	v_add_co_ci_u32_e32 v1, vcc_lo, 0, v1, vcc_lo
	s_delay_alu instid0(VALU_DEP_1) | instskip(SKIP_1) | instid1(VALU_DEP_2)
	v_lshl_add_u32 v1, v0, 21, v1
	v_sub_co_u32 v0, vcc_lo, v3, v0
	v_sub_nc_u32_e32 v7, v2, v1
	s_delay_alu instid0(VALU_DEP_1) | instskip(SKIP_1) | instid1(VALU_DEP_4)
	v_subrev_co_ci_u32_e64 v3, s0, 0x200000, v7, vcc_lo
	v_sub_co_ci_u32_e32 v1, vcc_lo, v2, v1, vcc_lo
	v_sub_co_u32 v2, vcc_lo, v0, 1
	s_delay_alu instid0(VALU_DEP_1) | instskip(SKIP_2) | instid1(VALU_DEP_3)
	v_subrev_co_ci_u32_e64 v7, s0, 0, v3, vcc_lo
	v_cmp_ne_u32_e64 s0, 0, v0
	v_subrev_co_ci_u32_e32 v3, vcc_lo, 0x200000, v3, vcc_lo
	v_cmp_eq_u32_e32 vcc_lo, 0x200000, v7
	s_delay_alu instid0(VALU_DEP_3) | instskip(SKIP_1) | instid1(VALU_DEP_1)
	v_cndmask_b32_e64 v8, 0, -1, s0
	v_cmp_ne_u32_e64 s0, 0, v2
	v_cndmask_b32_e64 v9, 0, -1, s0
	v_cmp_lt_u32_e64 s0, 0x1fffff, v7
	s_delay_alu instid0(VALU_DEP_1) | instskip(SKIP_1) | instid1(VALU_DEP_2)
	v_cndmask_b32_e64 v10, 0, -1, s0
	v_cmp_lt_u32_e64 s0, 0x1fffff, v1
	v_cndmask_b32_e32 v9, v10, v9, vcc_lo
	s_delay_alu instid0(VALU_DEP_2) | instskip(SKIP_4) | instid1(VALU_DEP_4)
	v_cndmask_b32_e64 v16, 0, -1, s0
	v_cmp_eq_u32_e64 s0, 0x200000, v1
	v_sub_co_u32 v10, vcc_lo, v2, 1
	v_subrev_co_ci_u32_e32 v3, vcc_lo, 0, v3, vcc_lo
	v_cmp_ne_u32_e32 vcc_lo, 0, v9
	v_cndmask_b32_e64 v8, v16, v8, s0
	s_delay_alu instid0(VALU_DEP_3) | instskip(NEXT) | instid1(VALU_DEP_2)
	v_dual_cndmask_b32 v2, v2, v10 :: v_dual_cndmask_b32 v3, v7, v3
	v_cmp_ne_u32_e32 vcc_lo, 0, v8
	s_delay_alu instid0(VALU_DEP_2) | instskip(NEXT) | instid1(VALU_DEP_3)
	v_cndmask_b32_e32 v2, v0, v2, vcc_lo
	v_cndmask_b32_e32 v0, v1, v3, vcc_lo
	s_delay_alu instid0(VALU_DEP_2) | instskip(NEXT) | instid1(VALU_DEP_2)
	v_cvt_f64_u32_e32 v[2:3], v2
	v_cvt_f64_u32_e32 v[0:1], v0
	s_delay_alu instid0(VALU_DEP_1) | instskip(NEXT) | instid1(VALU_DEP_1)
	v_ldexp_f64 v[0:1], v[0:1], 32
	v_add_f64 v[0:1], v[0:1], v[2:3]
	v_add_nc_u32_e32 v2, s11, v40
	s_delay_alu instid0(VALU_DEP_1) | instskip(SKIP_1) | instid1(VALU_DEP_2)
	v_ashrrev_i32_e32 v3, 31, v2
	v_add_co_u32 v2, vcc_lo, s6, v2
	v_add_co_ci_u32_e32 v3, vcc_lo, s7, v3, vcc_lo
	global_store_b64 v[2:3], v[0:1], off
	s_branch .LBB88_7
.LBB88_14:                              ;   in Loop: Header=BB88_8 Depth=1
	s_mov_b32 s12, exec_lo
	v_cmpx_lt_i32_e32 2, v33
	s_xor_b32 s12, exec_lo, s12
; %bb.15:                               ;   in Loop: Header=BB88_8 Depth=1
	v_dual_mov_b32 v7, v3 :: v_dual_mov_b32 v8, v4
	v_mov_b32_e32 v9, v5
	s_delay_alu instid0(VALU_DEP_2) | instskip(NEXT) | instid1(VALU_DEP_2)
	v_dual_mov_b32 v0, v7 :: v_dual_mov_b32 v1, v8
	v_dual_mov_b32 v2, v9 :: v_dual_mov_b32 v3, v10
; %bb.16:                               ;   in Loop: Header=BB88_8 Depth=1
	s_and_not1_saveexec_b32 s12, s12
; %bb.17:                               ;   in Loop: Header=BB88_8 Depth=1
	s_delay_alu instid0(VALU_DEP_1)
	v_dual_mov_b32 v0, v2 :: v_dual_mov_b32 v1, v3
	v_dual_mov_b32 v2, v4 :: v_dual_mov_b32 v3, v5
; %bb.18:                               ;   in Loop: Header=BB88_8 Depth=1
	s_or_b32 exec_lo, exec_lo, s12
	s_and_not1_saveexec_b32 s0, s0
	s_cbranch_execz .LBB88_10
.LBB88_19:                              ;   in Loop: Header=BB88_8 Depth=1
	s_mov_b32 s12, exec_lo
	v_cmpx_eq_u32_e32 1, v33
; %bb.20:                               ;   in Loop: Header=BB88_8 Depth=1
	v_dual_mov_b32 v0, v1 :: v_dual_mov_b32 v1, v2
	v_dual_mov_b32 v2, v3 :: v_dual_mov_b32 v3, v4
; %bb.21:                               ;   in Loop: Header=BB88_8 Depth=1
	s_or_b32 exec_lo, exec_lo, s12
	s_delay_alu instid0(SALU_CYCLE_1) | instskip(NEXT) | instid1(SALU_CYCLE_1)
	s_or_b32 exec_lo, exec_lo, s0
	s_mov_b32 s12, exec_lo
	v_cmpx_gt_i64_e64 s[4:5], v[13:14]
	s_cbranch_execnz .LBB88_11
	s_branch .LBB88_12
.LBB88_22:
	s_endpgm
.LBB88_23:
                                        ; implicit-def: $sgpr2_sgpr3
	s_branch .LBB88_4
	.section	.rodata,"a",@progbits
	.p2align	6, 0x0
	.amdhsa_kernel _ZN2at6native12_GLOBAL__N_143distribution_elementwise_grid_stride_kernelImLi2EZZZNS0_9templates4cuda13random_kernelIPNS_17CUDAGeneratorImplEEEvRNS_18TensorIteratorBaseET_ENKUlvE_clEvENKUlvE4_clEvEUlP25hiprandStatePhilox4_32_10E_ZNS1_27distribution_nullary_kernelIdm15HIP_vector_typeIyLj2EES7_SF_ZZZNS5_IS7_EEvS9_SA_ENKSB_clEvENKSC_clEvEUlmE_EEvS9_T2_RKT3_T4_EUlimE_EEvlNS_15PhiloxCudaStateET1_SK_
		.amdhsa_group_segment_fixed_size 0
		.amdhsa_private_segment_fixed_size 0
		.amdhsa_kernarg_size 320
		.amdhsa_user_sgpr_count 15
		.amdhsa_user_sgpr_dispatch_ptr 0
		.amdhsa_user_sgpr_queue_ptr 0
		.amdhsa_user_sgpr_kernarg_segment_ptr 1
		.amdhsa_user_sgpr_dispatch_id 0
		.amdhsa_user_sgpr_private_segment_size 0
		.amdhsa_wavefront_size32 1
		.amdhsa_uses_dynamic_stack 0
		.amdhsa_enable_private_segment 0
		.amdhsa_system_sgpr_workgroup_id_x 1
		.amdhsa_system_sgpr_workgroup_id_y 0
		.amdhsa_system_sgpr_workgroup_id_z 0
		.amdhsa_system_sgpr_workgroup_info 0
		.amdhsa_system_vgpr_workitem_id 0
		.amdhsa_next_free_vgpr 45
		.amdhsa_next_free_sgpr 23
		.amdhsa_reserve_vcc 1
		.amdhsa_float_round_mode_32 0
		.amdhsa_float_round_mode_16_64 0
		.amdhsa_float_denorm_mode_32 3
		.amdhsa_float_denorm_mode_16_64 3
		.amdhsa_dx10_clamp 1
		.amdhsa_ieee_mode 1
		.amdhsa_fp16_overflow 0
		.amdhsa_workgroup_processor_mode 1
		.amdhsa_memory_ordered 1
		.amdhsa_forward_progress 0
		.amdhsa_shared_vgpr_count 0
		.amdhsa_exception_fp_ieee_invalid_op 0
		.amdhsa_exception_fp_denorm_src 0
		.amdhsa_exception_fp_ieee_div_zero 0
		.amdhsa_exception_fp_ieee_overflow 0
		.amdhsa_exception_fp_ieee_underflow 0
		.amdhsa_exception_fp_ieee_inexact 0
		.amdhsa_exception_int_div_zero 0
	.end_amdhsa_kernel
	.section	.text._ZN2at6native12_GLOBAL__N_143distribution_elementwise_grid_stride_kernelImLi2EZZZNS0_9templates4cuda13random_kernelIPNS_17CUDAGeneratorImplEEEvRNS_18TensorIteratorBaseET_ENKUlvE_clEvENKUlvE4_clEvEUlP25hiprandStatePhilox4_32_10E_ZNS1_27distribution_nullary_kernelIdm15HIP_vector_typeIyLj2EES7_SF_ZZZNS5_IS7_EEvS9_SA_ENKSB_clEvENKSC_clEvEUlmE_EEvS9_T2_RKT3_T4_EUlimE_EEvlNS_15PhiloxCudaStateET1_SK_,"axG",@progbits,_ZN2at6native12_GLOBAL__N_143distribution_elementwise_grid_stride_kernelImLi2EZZZNS0_9templates4cuda13random_kernelIPNS_17CUDAGeneratorImplEEEvRNS_18TensorIteratorBaseET_ENKUlvE_clEvENKUlvE4_clEvEUlP25hiprandStatePhilox4_32_10E_ZNS1_27distribution_nullary_kernelIdm15HIP_vector_typeIyLj2EES7_SF_ZZZNS5_IS7_EEvS9_SA_ENKSB_clEvENKSC_clEvEUlmE_EEvS9_T2_RKT3_T4_EUlimE_EEvlNS_15PhiloxCudaStateET1_SK_,comdat
.Lfunc_end88:
	.size	_ZN2at6native12_GLOBAL__N_143distribution_elementwise_grid_stride_kernelImLi2EZZZNS0_9templates4cuda13random_kernelIPNS_17CUDAGeneratorImplEEEvRNS_18TensorIteratorBaseET_ENKUlvE_clEvENKUlvE4_clEvEUlP25hiprandStatePhilox4_32_10E_ZNS1_27distribution_nullary_kernelIdm15HIP_vector_typeIyLj2EES7_SF_ZZZNS5_IS7_EEvS9_SA_ENKSB_clEvENKSC_clEvEUlmE_EEvS9_T2_RKT3_T4_EUlimE_EEvlNS_15PhiloxCudaStateET1_SK_, .Lfunc_end88-_ZN2at6native12_GLOBAL__N_143distribution_elementwise_grid_stride_kernelImLi2EZZZNS0_9templates4cuda13random_kernelIPNS_17CUDAGeneratorImplEEEvRNS_18TensorIteratorBaseET_ENKUlvE_clEvENKUlvE4_clEvEUlP25hiprandStatePhilox4_32_10E_ZNS1_27distribution_nullary_kernelIdm15HIP_vector_typeIyLj2EES7_SF_ZZZNS5_IS7_EEvS9_SA_ENKSB_clEvENKSC_clEvEUlmE_EEvS9_T2_RKT3_T4_EUlimE_EEvlNS_15PhiloxCudaStateET1_SK_
                                        ; -- End function
	.section	.AMDGPU.csdata,"",@progbits
; Kernel info:
; codeLenInByte = 3588
; NumSgprs: 25
; NumVgprs: 45
; ScratchSize: 0
; MemoryBound: 0
; FloatMode: 240
; IeeeMode: 1
; LDSByteSize: 0 bytes/workgroup (compile time only)
; SGPRBlocks: 3
; VGPRBlocks: 5
; NumSGPRsForWavesPerEU: 25
; NumVGPRsForWavesPerEU: 45
; Occupancy: 16
; WaveLimiterHint : 0
; COMPUTE_PGM_RSRC2:SCRATCH_EN: 0
; COMPUTE_PGM_RSRC2:USER_SGPR: 15
; COMPUTE_PGM_RSRC2:TRAP_HANDLER: 0
; COMPUTE_PGM_RSRC2:TGID_X_EN: 1
; COMPUTE_PGM_RSRC2:TGID_Y_EN: 0
; COMPUTE_PGM_RSRC2:TGID_Z_EN: 0
; COMPUTE_PGM_RSRC2:TIDIG_COMP_CNT: 0
	.section	.text._ZN2at6native12_GLOBAL__N_143distribution_elementwise_grid_stride_kernelImLi2EZZZNS0_9templates4cuda13random_kernelIPNS_17CUDAGeneratorImplEEEvRNS_18TensorIteratorBaseET_ENKUlvE_clEvENKUlvE4_clEvEUlP25hiprandStatePhilox4_32_10E_ZNS1_27distribution_nullary_kernelIdm15HIP_vector_typeIyLj2EES7_SF_ZZZNS5_IS7_EEvS9_SA_ENKSB_clEvENKSC_clEvEUlmE_EEvS9_T2_RKT3_T4_EUlimE0_EEvlNS_15PhiloxCudaStateET1_SK_,"axG",@progbits,_ZN2at6native12_GLOBAL__N_143distribution_elementwise_grid_stride_kernelImLi2EZZZNS0_9templates4cuda13random_kernelIPNS_17CUDAGeneratorImplEEEvRNS_18TensorIteratorBaseET_ENKUlvE_clEvENKUlvE4_clEvEUlP25hiprandStatePhilox4_32_10E_ZNS1_27distribution_nullary_kernelIdm15HIP_vector_typeIyLj2EES7_SF_ZZZNS5_IS7_EEvS9_SA_ENKSB_clEvENKSC_clEvEUlmE_EEvS9_T2_RKT3_T4_EUlimE0_EEvlNS_15PhiloxCudaStateET1_SK_,comdat
	.globl	_ZN2at6native12_GLOBAL__N_143distribution_elementwise_grid_stride_kernelImLi2EZZZNS0_9templates4cuda13random_kernelIPNS_17CUDAGeneratorImplEEEvRNS_18TensorIteratorBaseET_ENKUlvE_clEvENKUlvE4_clEvEUlP25hiprandStatePhilox4_32_10E_ZNS1_27distribution_nullary_kernelIdm15HIP_vector_typeIyLj2EES7_SF_ZZZNS5_IS7_EEvS9_SA_ENKSB_clEvENKSC_clEvEUlmE_EEvS9_T2_RKT3_T4_EUlimE0_EEvlNS_15PhiloxCudaStateET1_SK_ ; -- Begin function _ZN2at6native12_GLOBAL__N_143distribution_elementwise_grid_stride_kernelImLi2EZZZNS0_9templates4cuda13random_kernelIPNS_17CUDAGeneratorImplEEEvRNS_18TensorIteratorBaseET_ENKUlvE_clEvENKUlvE4_clEvEUlP25hiprandStatePhilox4_32_10E_ZNS1_27distribution_nullary_kernelIdm15HIP_vector_typeIyLj2EES7_SF_ZZZNS5_IS7_EEvS9_SA_ENKSB_clEvENKSC_clEvEUlmE_EEvS9_T2_RKT3_T4_EUlimE0_EEvlNS_15PhiloxCudaStateET1_SK_
	.p2align	8
	.type	_ZN2at6native12_GLOBAL__N_143distribution_elementwise_grid_stride_kernelImLi2EZZZNS0_9templates4cuda13random_kernelIPNS_17CUDAGeneratorImplEEEvRNS_18TensorIteratorBaseET_ENKUlvE_clEvENKUlvE4_clEvEUlP25hiprandStatePhilox4_32_10E_ZNS1_27distribution_nullary_kernelIdm15HIP_vector_typeIyLj2EES7_SF_ZZZNS5_IS7_EEvS9_SA_ENKSB_clEvENKSC_clEvEUlmE_EEvS9_T2_RKT3_T4_EUlimE0_EEvlNS_15PhiloxCudaStateET1_SK_,@function
_ZN2at6native12_GLOBAL__N_143distribution_elementwise_grid_stride_kernelImLi2EZZZNS0_9templates4cuda13random_kernelIPNS_17CUDAGeneratorImplEEEvRNS_18TensorIteratorBaseET_ENKUlvE_clEvENKUlvE4_clEvEUlP25hiprandStatePhilox4_32_10E_ZNS1_27distribution_nullary_kernelIdm15HIP_vector_typeIyLj2EES7_SF_ZZZNS5_IS7_EEvS9_SA_ENKSB_clEvENKSC_clEvEUlmE_EEvS9_T2_RKT3_T4_EUlimE0_EEvlNS_15PhiloxCudaStateET1_SK_: ; @_ZN2at6native12_GLOBAL__N_143distribution_elementwise_grid_stride_kernelImLi2EZZZNS0_9templates4cuda13random_kernelIPNS_17CUDAGeneratorImplEEEvRNS_18TensorIteratorBaseET_ENKUlvE_clEvENKUlvE4_clEvEUlP25hiprandStatePhilox4_32_10E_ZNS1_27distribution_nullary_kernelIdm15HIP_vector_typeIyLj2EES7_SF_ZZZNS5_IS7_EEvS9_SA_ENKSB_clEvENKSC_clEvEUlmE_EEvS9_T2_RKT3_T4_EUlimE0_EEvlNS_15PhiloxCudaStateET1_SK_
; %bb.0:
	s_clause 0x2
	s_load_b64 s[4:5], s[0:1], 0x10
	s_load_b128 s[16:19], s[0:1], 0x0
	s_load_b32 s2, s[0:1], 0x20
	s_waitcnt lgkmcnt(0)
	v_dual_mov_b32 v2, s4 :: v_dual_mov_b32 v3, s5
	v_dual_mov_b32 v11, s18 :: v_dual_mov_b32 v12, s19
	s_bitcmp0_b32 s2, 0
	s_mov_b32 s2, 0
	s_cbranch_scc1 .LBB89_2
; %bb.1:
	v_dual_mov_b32 v1, s4 :: v_dual_mov_b32 v2, s5
	v_dual_mov_b32 v4, s18 :: v_dual_mov_b32 v5, s19
	s_load_b64 s[4:5], s[0:1], 0x18
	flat_load_b64 v[2:3], v[1:2]
	flat_load_b64 v[11:12], v[4:5]
	s_waitcnt vmcnt(1) lgkmcnt(0)
	v_add_co_u32 v2, vcc_lo, v2, s4
	v_add_co_ci_u32_e32 v3, vcc_lo, s5, v3, vcc_lo
.LBB89_2:
	s_clause 0x1
	s_load_b32 s3, s[0:1], 0x154
	s_load_b32 s4, s[0:1], 0x148
	s_waitcnt lgkmcnt(0)
	s_and_b32 s5, s3, 0xffff
	s_add_u32 s6, s16, -1
	s_mul_i32 s24, s4, s5
	s_addc_u32 s3, s17, -1
	s_lshl_b32 s25, s24, 1
	s_cmp_lg_u64 s[2:3], 0
	s_cbranch_scc0 .LBB89_49
; %bb.3:
	v_cvt_f32_ubyte0_e32 v1, 0
	v_cvt_f32_u32_e32 v4, s25
	s_sub_u32 s8, 0, s25
	s_subb_u32 s9, 0, 0
	s_delay_alu instid0(VALU_DEP_1) | instskip(NEXT) | instid1(VALU_DEP_1)
	v_fmamk_f32 v1, v1, 0x4f800000, v4
	v_rcp_f32_e32 v1, v1
	s_waitcnt_depctr 0xfff
	v_mul_f32_e32 v1, 0x5f7ffffc, v1
	s_delay_alu instid0(VALU_DEP_1) | instskip(NEXT) | instid1(VALU_DEP_1)
	v_mul_f32_e32 v4, 0x2f800000, v1
	v_trunc_f32_e32 v4, v4
	s_delay_alu instid0(VALU_DEP_1) | instskip(SKIP_1) | instid1(VALU_DEP_2)
	v_fmamk_f32 v1, v4, 0xcf800000, v1
	v_cvt_u32_f32_e32 v4, v4
	v_cvt_u32_f32_e32 v1, v1
	s_delay_alu instid0(VALU_DEP_2) | instskip(NEXT) | instid1(VALU_DEP_2)
	v_readfirstlane_b32 s2, v4
	v_readfirstlane_b32 s7, v1
	s_delay_alu instid0(VALU_DEP_2) | instskip(NEXT) | instid1(VALU_DEP_1)
	s_mul_i32 s10, s8, s2
	s_mul_hi_u32 s12, s8, s7
	s_mul_i32 s11, s9, s7
	s_add_i32 s10, s12, s10
	s_mul_i32 s13, s8, s7
	s_add_i32 s10, s10, s11
	s_mul_hi_u32 s12, s7, s13
	s_mul_hi_u32 s14, s2, s13
	s_mul_i32 s11, s2, s13
	s_mul_hi_u32 s13, s7, s10
	s_mul_i32 s7, s7, s10
	s_mul_hi_u32 s18, s2, s10
	s_add_u32 s7, s12, s7
	s_addc_u32 s12, 0, s13
	s_add_u32 s7, s7, s11
	s_mul_i32 s10, s2, s10
	s_addc_u32 s7, s12, s14
	s_addc_u32 s11, s18, 0
	s_add_u32 s7, s7, s10
	s_addc_u32 s10, 0, s11
	v_add_co_u32 v1, s7, v1, s7
	s_delay_alu instid0(VALU_DEP_1) | instskip(SKIP_1) | instid1(VALU_DEP_1)
	s_cmp_lg_u32 s7, 0
	s_addc_u32 s2, s2, s10
	v_readfirstlane_b32 s7, v1
	s_mul_i32 s10, s8, s2
	s_delay_alu instid0(VALU_DEP_1)
	s_mul_hi_u32 s11, s8, s7
	s_mul_i32 s9, s9, s7
	s_add_i32 s10, s11, s10
	s_mul_i32 s8, s8, s7
	s_add_i32 s10, s10, s9
	s_mul_hi_u32 s11, s2, s8
	s_mul_i32 s12, s2, s8
	s_mul_hi_u32 s8, s7, s8
	s_mul_hi_u32 s13, s7, s10
	s_mul_i32 s7, s7, s10
	s_mul_hi_u32 s9, s2, s10
	s_add_u32 s7, s8, s7
	s_addc_u32 s8, 0, s13
	s_add_u32 s7, s7, s12
	s_mul_i32 s10, s2, s10
	s_addc_u32 s7, s8, s11
	s_addc_u32 s8, s9, 0
	s_add_u32 s7, s7, s10
	s_addc_u32 s8, 0, s8
	v_add_co_u32 v1, s7, v1, s7
	s_delay_alu instid0(VALU_DEP_1) | instskip(SKIP_2) | instid1(VALU_DEP_1)
	s_cmp_lg_u32 s7, 0
	s_addc_u32 s7, s2, s8
	s_ashr_i32 s8, s3, 31
	v_readfirstlane_b32 s10, v1
	s_add_u32 s2, s6, s8
	s_mov_b32 s9, s8
	s_addc_u32 s3, s3, s8
	s_delay_alu instid0(SALU_CYCLE_1) | instskip(NEXT) | instid1(SALU_CYCLE_1)
	s_xor_b64 s[2:3], s[2:3], s[8:9]
	s_mul_i32 s12, s2, s7
	s_mul_hi_u32 s13, s2, s10
	s_mul_hi_u32 s11, s2, s7
	;; [unrolled: 1-line block ×3, first 2 shown]
	s_mul_i32 s10, s3, s10
	s_add_u32 s12, s13, s12
	s_addc_u32 s11, 0, s11
	s_mul_hi_u32 s14, s3, s7
	s_add_u32 s10, s12, s10
	s_mul_i32 s7, s3, s7
	s_addc_u32 s10, s11, s18
	s_addc_u32 s11, s14, 0
	s_add_u32 s7, s10, s7
	s_addc_u32 s10, 0, s11
	s_mul_i32 s12, s25, s7
	s_add_u32 s11, s7, 1
	v_sub_co_u32 v1, s2, s2, s12
	s_mul_hi_u32 s12, s25, s7
	s_addc_u32 s13, s10, 0
	s_mul_i32 s14, s25, s10
	s_delay_alu instid0(VALU_DEP_1)
	v_sub_co_u32 v4, s18, v1, s25
	s_add_u32 s19, s7, 2
	s_addc_u32 s20, s10, 0
	s_add_i32 s12, s12, s14
	s_cmp_lg_u32 s2, 0
	v_readfirstlane_b32 s2, v4
	s_subb_u32 s3, s3, s12
	s_cmp_lg_u32 s18, 0
	s_subb_u32 s12, s3, 0
	s_delay_alu instid0(VALU_DEP_1) | instskip(SKIP_4) | instid1(SALU_CYCLE_1)
	s_cmp_ge_u32 s2, s25
	s_cselect_b32 s2, -1, 0
	s_cmp_eq_u32 s12, 0
	v_readfirstlane_b32 s12, v1
	s_cselect_b32 s2, s2, -1
	s_cmp_lg_u32 s2, 0
	s_cselect_b32 s2, s19, s11
	s_cselect_b32 s11, s20, s13
	s_cmp_ge_u32 s12, s25
	s_cselect_b32 s12, -1, 0
	s_cmp_eq_u32 s3, 0
	s_cselect_b32 s3, s12, -1
	s_delay_alu instid0(SALU_CYCLE_1) | instskip(SKIP_2) | instid1(SALU_CYCLE_1)
	s_cmp_lg_u32 s3, 0
	s_cselect_b32 s3, s11, s10
	s_cselect_b32 s2, s2, s7
	s_xor_b64 s[2:3], s[2:3], s[8:9]
	s_delay_alu instid0(SALU_CYCLE_1)
	s_sub_u32 s2, s2, s8
	s_subb_u32 s3, s3, s8
	s_cbranch_execnz .LBB89_5
.LBB89_4:
	v_cvt_f32_u32_e32 v1, s25
	s_sub_i32 s3, 0, s25
	s_delay_alu instid0(VALU_DEP_1) | instskip(SKIP_2) | instid1(VALU_DEP_1)
	v_rcp_iflag_f32_e32 v1, v1
	s_waitcnt_depctr 0xfff
	v_mul_f32_e32 v1, 0x4f7ffffe, v1
	v_cvt_u32_f32_e32 v1, v1
	s_delay_alu instid0(VALU_DEP_1) | instskip(NEXT) | instid1(VALU_DEP_1)
	v_readfirstlane_b32 s2, v1
	s_mul_i32 s3, s3, s2
	s_delay_alu instid0(SALU_CYCLE_1) | instskip(NEXT) | instid1(SALU_CYCLE_1)
	s_mul_hi_u32 s3, s2, s3
	s_add_i32 s2, s2, s3
	s_delay_alu instid0(SALU_CYCLE_1) | instskip(NEXT) | instid1(SALU_CYCLE_1)
	s_mul_hi_u32 s2, s6, s2
	s_mul_i32 s3, s2, s25
	s_delay_alu instid0(SALU_CYCLE_1)
	s_sub_i32 s3, s6, s3
	s_add_i32 s6, s2, 1
	s_sub_i32 s7, s3, s25
	s_cmp_ge_u32 s3, s25
	s_cselect_b32 s2, s6, s2
	s_cselect_b32 s3, s7, s3
	s_add_i32 s6, s2, 1
	s_cmp_ge_u32 s3, s25
	s_mov_b32 s3, 0
	s_cselect_b32 s2, s6, s2
.LBB89_5:
	v_mov_b32_e32 v1, 0
	s_add_u32 s2, s2, 1
	s_addc_u32 s3, s3, 0
	s_mul_hi_u32 s6, s24, s2
	s_mul_i32 s3, s24, s3
	v_mad_u64_u32 v[13:14], null, s5, s15, v[0:1]
	s_mul_hi_u32 s4, s4, s5
	s_add_i32 s3, s6, s3
	s_mul_i32 s4, s4, s2
	s_mul_i32 s2, s24, s2
	s_add_i32 s3, s3, s4
	s_mov_b32 s4, exec_lo
	s_lshl_b64 s[2:3], s[2:3], 1
	s_delay_alu instid0(SALU_CYCLE_1)
	v_cmpx_gt_i64_e64 s[2:3], v[13:14]
	s_cbranch_execz .LBB89_48
; %bb.6:
	v_alignbit_b32 v17, v3, v2, 2
	v_mad_u64_u32 v[4:5], null, 0xcd9e8d57, v13, 0
	v_lshrrev_b32_e32 v18, 2, v3
	s_waitcnt vmcnt(0)
	v_dual_mov_b32 v9, v12 :: v_dual_add_nc_u32 v28, 0x8ff34781, v11
	v_mad_u64_u32 v[0:1], null, 0xd2511f53, v17, 0
	v_add_co_u32 v20, null, 0x9e3779b9, v11
	v_xor3_b32 v3, v11, v5, v18
	s_delay_alu instid0(VALU_DEP_4) | instskip(SKIP_2) | instid1(VALU_DEP_4)
	v_add_co_u32 v19, null, 0xbb67ae85, v9
	v_add_co_u32 v21, null, 0x3c6ef372, v11
	v_xor_b32_e32 v1, v1, v12
	v_mad_u64_u32 v[5:6], null, 0xd2511f53, v3, 0
	v_add_co_u32 v22, null, 0x76cf5d0a, v9
	s_delay_alu instid0(VALU_DEP_3) | instskip(SKIP_2) | instid1(VALU_DEP_3)
	v_xor_b32_e32 v1, v1, v14
	v_add_co_u32 v23, null, 0x32370b8f, v9
	v_add_co_u32 v24, null, 0xdaa66d2b, v11
	v_mad_u64_u32 v[7:8], null, 0xcd9e8d57, v1, 0
	v_xor3_b32 v3, v19, v6, v0
	v_add_co_u32 v25, null, 0x78dde6e4, v11
	v_add_co_u32 v26, null, 0xed9eba14, v9
	s_delay_alu instid0(VALU_DEP_3) | instskip(SKIP_3) | instid1(VALU_DEP_3)
	v_mad_u64_u32 v[0:1], null, 0xcd9e8d57, v3, 0
	v_xor3_b32 v6, v20, v8, v4
	v_dual_mov_b32 v38, v13 :: v_dual_and_b32 v27, 3, v2
	v_add_co_u32 v29, null, 0xa9066899, v9
	v_mad_u64_u32 v[3:4], null, 0xd2511f53, v6, 0
	v_xor3_b32 v1, v21, v1, v7
	v_add_co_u32 v30, null, 0x1715609d, v11
	v_add_co_u32 v32, null, 0xb54cda56, v11
	;; [unrolled: 1-line block ×3, first 2 shown]
	v_xor3_b32 v8, v22, v4, v5
	v_mad_u64_u32 v[4:5], null, 0xd2511f53, v1, 0
	s_load_b256 s[4:11], s[0:1], 0x30
	v_add_co_u32 v31, null, 0x5384540f, v11
	s_delay_alu instid0(VALU_DEP_3) | instskip(SKIP_1) | instid1(VALU_DEP_4)
	v_mad_u64_u32 v[6:7], null, 0xcd9e8d57, v8, 0
	v_add_co_u32 v35, null, 0x1fd5c5a3, v9
	v_xor3_b32 v3, v23, v5, v3
	v_add_co_u32 v34, null, 0xf1bbcdc8, v11
	v_add_co_u32 v36, null, 0xdb3d7428, v9
	v_xor3_b32 v5, v24, v7, v0
	s_delay_alu instid0(VALU_DEP_4)
	v_mad_u64_u32 v[0:1], null, 0xcd9e8d57, v3, 0
	s_add_u32 s12, s0, 48
	s_clause 0x1
	s_load_b64 s[14:15], s[0:1], 0xf4
	s_load_b64 s[18:19], s[0:1], 0x138
	v_mad_u64_u32 v[7:8], null, 0xd2511f53, v5, 0
	s_addc_u32 s13, s1, 0
	s_waitcnt lgkmcnt(0)
	s_add_i32 s22, s4, -1
	v_xor3_b32 v3, v25, v1, v6
	s_cmp_gt_u32 s22, 1
	v_add_nc_u32_e32 v37, 0x96a522ad, v12
	s_cselect_b32 s11, -1, 0
	v_xor3_b32 v5, v26, v8, v4
	v_mad_u64_u32 v[1:2], null, 0xd2511f53, v3, 0
	s_cmp_lg_u32 s4, 0
	v_mov_b32_e32 v39, v14
	s_delay_alu instid0(VALU_DEP_3) | instskip(SKIP_2) | instid1(VALU_DEP_3)
	v_mad_u64_u32 v[3:4], null, 0xcd9e8d57, v5, 0
	s_cselect_b32 s27, -1, 0
	s_add_u32 s20, s0, 0xf4
	v_xor3_b32 v2, v29, v2, v7
	s_addc_u32 s21, s1, 0
	s_min_u32 s0, s22, 15
	s_cmp_gt_u32 s4, 1
	s_delay_alu instid0(VALU_DEP_2) | instskip(SKIP_3) | instid1(VALU_DEP_2)
	v_xor3_b32 v0, v30, v4, v0
	v_mad_u64_u32 v[4:5], null, 0xcd9e8d57, v2, 0
	s_cselect_b32 s4, -1, 0
	s_add_i32 s0, s0, 1
	v_mad_u64_u32 v[6:7], null, 0xd2511f53, v0, 0
	s_and_b32 s28, s0, 3
	s_cmp_lg_u32 s22, 2
	s_delay_alu instid0(VALU_DEP_2) | instskip(SKIP_3) | instid1(VALU_DEP_2)
	v_xor3_b32 v2, v32, v5, v3
	s_cselect_b32 s29, -1, 0
	s_and_b32 s30, s0, 28
	s_cmp_lg_u32 s28, 0
	v_xor3_b32 v5, v33, v7, v1
	v_mad_u64_u32 v[0:1], null, 0xd2511f53, v2, 0
	s_mov_b32 s26, 0
	s_cselect_b32 s31, -1, 0
	s_delay_alu instid0(VALU_DEP_2) | instskip(NEXT) | instid1(VALU_DEP_2)
	v_mad_u64_u32 v[2:3], null, 0xcd9e8d57, v5, 0
	v_xor3_b32 v1, v35, v1, v6
	s_delay_alu instid0(VALU_DEP_2) | instskip(NEXT) | instid1(VALU_DEP_2)
	v_xor3_b32 v3, v31, v3, v4
	v_mad_u64_u32 v[4:5], null, 0xcd9e8d57, v1, 0
	s_delay_alu instid0(VALU_DEP_2) | instskip(NEXT) | instid1(VALU_DEP_2)
	v_mad_u64_u32 v[6:7], null, 0xd2511f53, v3, 0
	v_xor3_b32 v1, v34, v5, v2
	s_delay_alu instid0(VALU_DEP_2) | instskip(NEXT) | instid1(VALU_DEP_2)
	v_xor3_b32 v0, v36, v7, v0
	v_mad_u64_u32 v[7:8], null, 0xd2511f53, v1, 0
	s_delay_alu instid0(VALU_DEP_2) | instskip(NEXT) | instid1(VALU_DEP_2)
	v_mad_u64_u32 v[1:2], null, 0xcd9e8d57, v0, 0
	v_mov_b32_e32 v3, v7
	s_delay_alu instid0(VALU_DEP_2) | instskip(NEXT) | instid1(VALU_DEP_4)
	v_xor3_b32 v0, v2, v4, v28
	v_xor3_b32 v2, v8, v6, v37
	s_branch .LBB89_9
.LBB89_7:                               ;   in Loop: Header=BB89_9 Depth=1
	s_add_u32 s0, 0, 0
	s_addc_u32 s22, 0, 0
	v_add_co_u32 v1, s0, 0x7ff, s0
	s_delay_alu instid0(VALU_DEP_1) | instskip(SKIP_1) | instid1(VALU_DEP_1)
	s_cmp_lg_u32 s0, 0
	s_addc_u32 s0, s22, 0
	v_readfirstlane_b32 s1, v1
	s_delay_alu instid0(VALU_DEP_1)
	s_mul_i32 s23, s1, 0xffdfffff
	s_mul_hi_u32 s34, s1, -1
	s_sub_i32 s22, 0, s1
	s_add_i32 s34, s34, s23
	s_mul_hi_u32 s35, s0, s22
	s_sub_i32 s34, s34, s0
	s_mul_i32 s23, s0, s22
	s_mul_hi_u32 s22, s1, s22
	s_mul_hi_u32 s36, s1, s34
	s_mul_i32 s1, s1, s34
	s_mul_hi_u32 s37, s0, s34
	s_add_u32 s1, s22, s1
	s_addc_u32 s22, 0, s36
	s_add_u32 s1, s1, s23
	s_mul_i32 s34, s0, s34
	s_addc_u32 s1, s22, s35
	s_addc_u32 s22, s37, 0
	s_add_u32 s1, s1, s34
	s_addc_u32 s22, 0, s22
	v_add_co_u32 v1, s1, v1, s1
	s_delay_alu instid0(VALU_DEP_1) | instskip(SKIP_1) | instid1(VALU_DEP_1)
	s_cmp_lg_u32 s1, 0
	s_addc_u32 s0, s0, s22
	v_mul_hi_u32 v16, v3, v1
	v_mad_u64_u32 v[7:8], null, v3, s0, 0
	v_mad_u64_u32 v[9:10], null, v2, v1, 0
	;; [unrolled: 1-line block ×3, first 2 shown]
	s_delay_alu instid0(VALU_DEP_3) | instskip(NEXT) | instid1(VALU_DEP_4)
	v_add_co_u32 v1, vcc_lo, v16, v7
	v_add_co_ci_u32_e32 v7, vcc_lo, 0, v8, vcc_lo
	s_delay_alu instid0(VALU_DEP_2) | instskip(NEXT) | instid1(VALU_DEP_2)
	v_add_co_u32 v1, vcc_lo, v1, v9
	v_add_co_ci_u32_e32 v1, vcc_lo, v7, v10, vcc_lo
	v_add_co_ci_u32_e32 v7, vcc_lo, 0, v41, vcc_lo
	s_delay_alu instid0(VALU_DEP_2) | instskip(NEXT) | instid1(VALU_DEP_2)
	v_add_co_u32 v1, vcc_lo, v1, v40
	v_add_co_ci_u32_e32 v7, vcc_lo, 0, v7, vcc_lo
	s_delay_alu instid0(VALU_DEP_1) | instskip(SKIP_1) | instid1(VALU_DEP_2)
	v_lshl_add_u32 v7, v1, 21, v7
	v_sub_co_u32 v1, vcc_lo, v3, v1
	v_sub_nc_u32_e32 v8, v2, v7
	s_delay_alu instid0(VALU_DEP_1) | instskip(SKIP_1) | instid1(VALU_DEP_4)
	v_subrev_co_ci_u32_e64 v3, s0, 0x200000, v8, vcc_lo
	v_sub_co_ci_u32_e32 v2, vcc_lo, v2, v7, vcc_lo
	v_sub_co_u32 v7, vcc_lo, v1, 1
	s_delay_alu instid0(VALU_DEP_1) | instskip(SKIP_2) | instid1(VALU_DEP_3)
	v_subrev_co_ci_u32_e64 v8, s0, 0, v3, vcc_lo
	v_cmp_ne_u32_e64 s0, 0, v1
	v_subrev_co_ci_u32_e32 v3, vcc_lo, 0x200000, v3, vcc_lo
	v_cmp_eq_u32_e32 vcc_lo, 0x200000, v8
	s_delay_alu instid0(VALU_DEP_3) | instskip(SKIP_1) | instid1(VALU_DEP_1)
	v_cndmask_b32_e64 v9, 0, -1, s0
	v_cmp_ne_u32_e64 s0, 0, v7
	v_cndmask_b32_e64 v10, 0, -1, s0
	v_cmp_lt_u32_e64 s0, 0x1fffff, v8
	s_delay_alu instid0(VALU_DEP_1) | instskip(SKIP_1) | instid1(VALU_DEP_2)
	v_cndmask_b32_e64 v16, 0, -1, s0
	v_cmp_lt_u32_e64 s0, 0x1fffff, v2
	v_cndmask_b32_e32 v10, v16, v10, vcc_lo
	s_delay_alu instid0(VALU_DEP_2) | instskip(SKIP_4) | instid1(VALU_DEP_4)
	v_cndmask_b32_e64 v40, 0, -1, s0
	v_cmp_eq_u32_e64 s0, 0x200000, v2
	v_sub_co_u32 v16, vcc_lo, v7, 1
	v_subrev_co_ci_u32_e32 v3, vcc_lo, 0, v3, vcc_lo
	v_cmp_ne_u32_e32 vcc_lo, 0, v10
	v_cndmask_b32_e64 v9, v40, v9, s0
	s_delay_alu instid0(VALU_DEP_4) | instskip(NEXT) | instid1(VALU_DEP_4)
	v_cndmask_b32_e32 v7, v7, v16, vcc_lo
	v_cndmask_b32_e32 v3, v8, v3, vcc_lo
	s_delay_alu instid0(VALU_DEP_3) | instskip(NEXT) | instid1(VALU_DEP_3)
	v_cmp_ne_u32_e32 vcc_lo, 0, v9
	v_cndmask_b32_e32 v7, v1, v7, vcc_lo
	s_delay_alu instid0(VALU_DEP_3) | instskip(NEXT) | instid1(VALU_DEP_2)
	v_cndmask_b32_e32 v1, v2, v3, vcc_lo
	v_cvt_f64_u32_e32 v[7:8], v7
	s_delay_alu instid0(VALU_DEP_2) | instskip(NEXT) | instid1(VALU_DEP_1)
	v_cvt_f64_u32_e32 v[1:2], v1
	v_ldexp_f64 v[1:2], v[1:2], 32
	s_delay_alu instid0(VALU_DEP_1)
	v_add_f64 v[1:2], v[1:2], v[7:8]
	global_store_b64 v0, v[1:2], s[18:19]
.LBB89_8:                               ;   in Loop: Header=BB89_9 Depth=1
	s_or_b32 exec_lo, exec_lo, s33
	v_add_co_u32 v13, vcc_lo, v13, s25
	v_add_co_ci_u32_e32 v14, vcc_lo, 0, v14, vcc_lo
	v_mov_b32_e32 v7, v15
	v_dual_mov_b32 v0, v4 :: v_dual_mov_b32 v1, v5
	s_delay_alu instid0(VALU_DEP_3) | instskip(NEXT) | instid1(VALU_DEP_3)
	v_cmp_le_i64_e32 vcc_lo, s[2:3], v[13:14]
	v_dual_mov_b32 v2, v6 :: v_dual_mov_b32 v3, v7
	s_waitcnt_vscnt null, 0x0
	s_barrier
	buffer_gl0_inv
	s_or_b32 s26, vcc_lo, s26
	s_delay_alu instid0(SALU_CYCLE_1)
	s_and_not1_b32 exec_lo, exec_lo, s26
	s_cbranch_execz .LBB89_48
.LBB89_9:                               ; =>This Loop Header: Depth=1
                                        ;     Child Loop BB89_24 Depth 2
                                        ;     Child Loop BB89_29 Depth 2
	;; [unrolled: 1-line block ×4, first 2 shown]
	v_add_co_u32 v17, vcc_lo, v17, 1
	s_delay_alu instid0(VALU_DEP_1) | instskip(SKIP_2) | instid1(VALU_DEP_1)
	v_cndmask_b32_e64 v4, 0, 1, vcc_lo
	v_add_co_ci_u32_e32 v18, vcc_lo, 0, v18, vcc_lo
	s_mov_b32 s0, exec_lo
	v_cmp_eq_u32_e32 vcc_lo, 0, v18
	s_delay_alu instid0(VALU_DEP_3) | instskip(NEXT) | instid1(VALU_DEP_1)
	v_cndmask_b32_e32 v4, 0, v4, vcc_lo
	v_add_nc_u32_e32 v38, v4, v38
	s_delay_alu instid0(VALU_DEP_1) | instskip(SKIP_2) | instid1(VALU_DEP_2)
	v_cmp_eq_u32_e32 vcc_lo, 0, v38
	v_mad_u64_u32 v[6:7], null, 0xcd9e8d57, v38, 0
	v_cndmask_b32_e32 v4, 0, v4, vcc_lo
	v_xor3_b32 v9, v7, v11, v18
	s_delay_alu instid0(VALU_DEP_2) | instskip(SKIP_1) | instid1(VALU_DEP_3)
	v_add_nc_u32_e32 v39, v4, v39
	v_mad_u64_u32 v[4:5], null, 0xd2511f53, v17, 0
	v_mad_u64_u32 v[7:8], null, 0xd2511f53, v9, 0
	s_delay_alu instid0(VALU_DEP_2) | instskip(NEXT) | instid1(VALU_DEP_2)
	v_xor_b32_e32 v5, v5, v12
	v_xor3_b32 v8, v19, v8, v4
	s_delay_alu instid0(VALU_DEP_2) | instskip(NEXT) | instid1(VALU_DEP_1)
	v_xor_b32_e32 v5, v39, v5
	v_mad_u64_u32 v[9:10], null, 0xcd9e8d57, v5, 0
	s_delay_alu instid0(VALU_DEP_3) | instskip(NEXT) | instid1(VALU_DEP_2)
	v_mad_u64_u32 v[4:5], null, 0xcd9e8d57, v8, 0
	v_xor3_b32 v6, v20, v10, v6
	s_delay_alu instid0(VALU_DEP_2) | instskip(NEXT) | instid1(VALU_DEP_2)
	v_xor3_b32 v8, v21, v5, v9
	v_mad_u64_u32 v[15:16], null, 0xd2511f53, v6, 0
	s_delay_alu instid0(VALU_DEP_2) | instskip(NEXT) | instid1(VALU_DEP_2)
	v_mad_u64_u32 v[5:6], null, 0xd2511f53, v8, 0
	v_xor3_b32 v9, v22, v16, v7
	s_delay_alu instid0(VALU_DEP_2) | instskip(NEXT) | instid1(VALU_DEP_2)
	v_xor3_b32 v6, v23, v6, v15
	v_mad_u64_u32 v[7:8], null, 0xcd9e8d57, v9, 0
	s_delay_alu instid0(VALU_DEP_1) | instskip(NEXT) | instid1(VALU_DEP_3)
	v_xor3_b32 v4, v24, v8, v4
	v_mad_u64_u32 v[8:9], null, 0xcd9e8d57, v6, 0
	s_delay_alu instid0(VALU_DEP_2) | instskip(NEXT) | instid1(VALU_DEP_2)
	v_mad_u64_u32 v[15:16], null, 0xd2511f53, v4, 0
	v_xor3_b32 v6, v25, v9, v7
	s_delay_alu instid0(VALU_DEP_2) | instskip(NEXT) | instid1(VALU_DEP_2)
	v_xor3_b32 v9, v26, v16, v5
	v_mad_u64_u32 v[4:5], null, 0xd2511f53, v6, 0
	s_delay_alu instid0(VALU_DEP_2) | instskip(NEXT) | instid1(VALU_DEP_2)
	v_mad_u64_u32 v[6:7], null, 0xcd9e8d57, v9, 0
	v_xor3_b32 v5, v29, v5, v15
	s_delay_alu instid0(VALU_DEP_2) | instskip(NEXT) | instid1(VALU_DEP_2)
	;; [unrolled: 6-line block ×6, first 2 shown]
	v_xor3_b32 v4, v6, v7, v28
	v_mov_b32_e32 v6, v10
	v_cmpx_lt_i32_e32 1, v27
	s_xor_b32 s0, exec_lo, s0
	s_cbranch_execnz .LBB89_12
; %bb.10:                               ;   in Loop: Header=BB89_9 Depth=1
	s_and_not1_saveexec_b32 s0, s0
	s_cbranch_execnz .LBB89_17
.LBB89_11:                              ;   in Loop: Header=BB89_9 Depth=1
	s_or_b32 exec_lo, exec_lo, s0
	s_delay_alu instid0(SALU_CYCLE_1)
	s_mov_b32 s33, exec_lo
	v_cmpx_gt_i64_e64 s[16:17], v[13:14]
	s_cbranch_execnz .LBB89_20
	s_branch .LBB89_34
.LBB89_12:                              ;   in Loop: Header=BB89_9 Depth=1
	s_mov_b32 s1, exec_lo
	v_cmpx_lt_i32_e32 2, v27
	s_xor_b32 s1, exec_lo, s1
; %bb.13:                               ;   in Loop: Header=BB89_9 Depth=1
	v_dual_mov_b32 v7, v3 :: v_dual_mov_b32 v8, v4
	v_mov_b32_e32 v9, v5
	s_delay_alu instid0(VALU_DEP_2) | instskip(NEXT) | instid1(VALU_DEP_2)
	v_dual_mov_b32 v0, v7 :: v_dual_mov_b32 v1, v8
	v_dual_mov_b32 v2, v9 :: v_dual_mov_b32 v3, v10
; %bb.14:                               ;   in Loop: Header=BB89_9 Depth=1
	s_and_not1_saveexec_b32 s1, s1
; %bb.15:                               ;   in Loop: Header=BB89_9 Depth=1
	s_delay_alu instid0(VALU_DEP_1)
	v_dual_mov_b32 v0, v2 :: v_dual_mov_b32 v1, v3
	v_dual_mov_b32 v2, v4 :: v_dual_mov_b32 v3, v5
; %bb.16:                               ;   in Loop: Header=BB89_9 Depth=1
	s_or_b32 exec_lo, exec_lo, s1
	s_and_not1_saveexec_b32 s0, s0
	s_cbranch_execz .LBB89_11
.LBB89_17:                              ;   in Loop: Header=BB89_9 Depth=1
	s_mov_b32 s1, exec_lo
	v_cmpx_eq_u32_e32 1, v27
; %bb.18:                               ;   in Loop: Header=BB89_9 Depth=1
	v_dual_mov_b32 v0, v1 :: v_dual_mov_b32 v1, v2
	v_dual_mov_b32 v2, v3 :: v_dual_mov_b32 v3, v4
; %bb.19:                               ;   in Loop: Header=BB89_9 Depth=1
	s_or_b32 exec_lo, exec_lo, s1
	s_delay_alu instid0(SALU_CYCLE_1) | instskip(NEXT) | instid1(SALU_CYCLE_1)
	s_or_b32 exec_lo, exec_lo, s0
	s_mov_b32 s33, exec_lo
	v_cmpx_gt_i64_e64 s[16:17], v[13:14]
	s_cbranch_execz .LBB89_34
.LBB89_20:                              ;   in Loop: Header=BB89_9 Depth=1
	s_and_not1_b32 vcc_lo, exec_lo, s11
	s_cbranch_vccnz .LBB89_26
; %bb.21:                               ;   in Loop: Header=BB89_9 Depth=1
	v_mov_b32_e32 v7, 0
	s_and_not1_b32 vcc_lo, exec_lo, s27
	s_cbranch_vccnz .LBB89_30
; %bb.22:                               ;   in Loop: Header=BB89_9 Depth=1
	s_and_not1_b32 vcc_lo, exec_lo, s29
	s_mov_b32 s0, 0
	s_cbranch_vccnz .LBB89_27
; %bb.23:                               ;   in Loop: Header=BB89_9 Depth=1
	v_dual_mov_b32 v7, 0 :: v_dual_mov_b32 v8, v13
	s_mov_b32 s34, 0
	s_mov_b64 s[0:1], s[12:13]
	s_mov_b64 s[22:23], s[20:21]
.LBB89_24:                              ;   Parent Loop BB89_9 Depth=1
                                        ; =>  This Inner Loop Header: Depth=2
	s_clause 0x1
	s_load_b256 s[36:43], s[0:1], 0x4
	s_load_b128 s[44:47], s[0:1], 0x24
	s_load_b128 s[48:51], s[22:23], 0x0
	s_add_u32 s0, s0, 48
	s_addc_u32 s1, s1, 0
	s_add_i32 s34, s34, 4
	s_add_u32 s22, s22, 16
	s_addc_u32 s23, s23, 0
	s_cmp_lg_u32 s30, s34
	s_waitcnt lgkmcnt(0)
	v_mul_hi_u32 v9, s37, v8
	s_delay_alu instid0(VALU_DEP_1) | instskip(NEXT) | instid1(VALU_DEP_1)
	v_add_nc_u32_e32 v9, v8, v9
	v_lshrrev_b32_e32 v9, s38, v9
	s_delay_alu instid0(VALU_DEP_1) | instskip(SKIP_1) | instid1(VALU_DEP_2)
	v_mul_hi_u32 v10, s40, v9
	v_mul_lo_u32 v41, v9, s36
	v_add_nc_u32_e32 v10, v9, v10
	s_delay_alu instid0(VALU_DEP_2) | instskip(NEXT) | instid1(VALU_DEP_2)
	v_sub_nc_u32_e32 v41, v8, v41
	v_lshrrev_b32_e32 v10, s41, v10
	s_delay_alu instid0(VALU_DEP_2) | instskip(NEXT) | instid1(VALU_DEP_2)
	v_mul_lo_u32 v41, v41, s48
	v_mul_hi_u32 v16, s43, v10
	v_mul_lo_u32 v42, v10, s39
	s_delay_alu instid0(VALU_DEP_2) | instskip(NEXT) | instid1(VALU_DEP_2)
	v_add_nc_u32_e32 v16, v10, v16
	v_sub_nc_u32_e32 v9, v9, v42
	s_delay_alu instid0(VALU_DEP_2) | instskip(NEXT) | instid1(VALU_DEP_2)
	v_lshrrev_b32_e32 v16, s44, v16
	v_mul_lo_u32 v9, v9, s49
	s_delay_alu instid0(VALU_DEP_2) | instskip(NEXT) | instid1(VALU_DEP_2)
	v_mul_hi_u32 v40, s46, v16
	v_add3_u32 v7, v41, v7, v9
	s_delay_alu instid0(VALU_DEP_2) | instskip(NEXT) | instid1(VALU_DEP_1)
	v_add_nc_u32_e32 v40, v16, v40
	v_lshrrev_b32_e32 v8, s47, v40
	v_mul_lo_u32 v40, v16, s42
	s_delay_alu instid0(VALU_DEP_2) | instskip(NEXT) | instid1(VALU_DEP_2)
	v_mul_lo_u32 v43, v8, s45
	v_sub_nc_u32_e32 v10, v10, v40
	s_delay_alu instid0(VALU_DEP_2) | instskip(NEXT) | instid1(VALU_DEP_2)
	v_sub_nc_u32_e32 v16, v16, v43
	v_mul_lo_u32 v10, v10, s50
	s_delay_alu instid0(VALU_DEP_2) | instskip(NEXT) | instid1(VALU_DEP_1)
	v_mul_lo_u32 v16, v16, s51
	v_add3_u32 v7, v10, v7, v16
	s_cbranch_scc1 .LBB89_24
; %bb.25:                               ;   in Loop: Header=BB89_9 Depth=1
	s_mov_b32 s0, s30
	s_and_not1_b32 vcc_lo, exec_lo, s31
	s_cbranch_vccz .LBB89_28
	s_branch .LBB89_30
.LBB89_26:                              ;   in Loop: Header=BB89_9 Depth=1
                                        ; implicit-def: $vgpr7
	s_branch .LBB89_31
.LBB89_27:                              ;   in Loop: Header=BB89_9 Depth=1
	v_mov_b32_e32 v8, v13
	s_and_not1_b32 vcc_lo, exec_lo, s31
	s_cbranch_vccnz .LBB89_30
.LBB89_28:                              ;   in Loop: Header=BB89_9 Depth=1
	s_lshl_b32 s1, s0, 2
	s_mul_i32 s22, s0, 12
	s_add_u32 s0, s20, s1
	s_addc_u32 s1, s21, 0
	s_add_u32 s22, s12, s22
	s_addc_u32 s23, s13, 0
	s_mov_b32 s34, s28
	.p2align	6
.LBB89_29:                              ;   Parent Loop BB89_9 Depth=1
                                        ; =>  This Inner Loop Header: Depth=2
	s_clause 0x1
	s_load_b64 s[36:37], s[22:23], 0x4
	s_load_b32 s35, s[22:23], 0xc
	s_add_u32 s22, s22, 12
	s_addc_u32 s23, s23, 0
	s_waitcnt lgkmcnt(0)
	v_mul_hi_u32 v9, s37, v8
	s_load_b32 s37, s[0:1], 0x0
	s_add_u32 s0, s0, 4
	s_addc_u32 s1, s1, 0
	s_add_i32 s34, s34, -1
	s_delay_alu instid0(SALU_CYCLE_1) | instskip(NEXT) | instid1(VALU_DEP_1)
	s_cmp_lg_u32 s34, 0
	v_add_nc_u32_e32 v9, v8, v9
	s_delay_alu instid0(VALU_DEP_1) | instskip(NEXT) | instid1(VALU_DEP_1)
	v_lshrrev_b32_e32 v16, s35, v9
	v_mul_lo_u32 v9, v16, s36
	s_delay_alu instid0(VALU_DEP_1) | instskip(SKIP_1) | instid1(VALU_DEP_1)
	v_sub_nc_u32_e32 v8, v8, v9
	s_waitcnt lgkmcnt(0)
	v_mad_u64_u32 v[9:10], null, v8, s37, v[7:8]
	s_delay_alu instid0(VALU_DEP_1)
	v_dual_mov_b32 v8, v16 :: v_dual_mov_b32 v7, v9
	s_cbranch_scc1 .LBB89_29
.LBB89_30:                              ;   in Loop: Header=BB89_9 Depth=1
	s_cbranch_execnz .LBB89_33
.LBB89_31:                              ;   in Loop: Header=BB89_9 Depth=1
	v_mul_hi_u32 v7, v13, s6
	s_and_not1_b32 vcc_lo, exec_lo, s4
	s_delay_alu instid0(VALU_DEP_1) | instskip(NEXT) | instid1(VALU_DEP_1)
	v_add_nc_u32_e32 v7, v7, v13
	v_lshrrev_b32_e32 v8, s7, v7
	s_delay_alu instid0(VALU_DEP_1) | instskip(NEXT) | instid1(VALU_DEP_1)
	v_mul_lo_u32 v7, v8, s5
	v_sub_nc_u32_e32 v7, v13, v7
	s_delay_alu instid0(VALU_DEP_1)
	v_mul_lo_u32 v7, v7, s14
	s_cbranch_vccnz .LBB89_33
; %bb.32:                               ;   in Loop: Header=BB89_9 Depth=1
	v_mul_hi_u32 v9, s9, v8
	s_delay_alu instid0(VALU_DEP_1) | instskip(NEXT) | instid1(VALU_DEP_1)
	v_add_nc_u32_e32 v9, v8, v9
	v_lshrrev_b32_e32 v9, s10, v9
	s_delay_alu instid0(VALU_DEP_1) | instskip(NEXT) | instid1(VALU_DEP_1)
	v_mul_lo_u32 v9, v9, s8
	v_sub_nc_u32_e32 v10, v8, v9
	s_delay_alu instid0(VALU_DEP_1) | instskip(NEXT) | instid1(VALU_DEP_1)
	v_mad_u64_u32 v[8:9], null, v10, s15, v[7:8]
	v_mov_b32_e32 v7, v8
.LBB89_33:                              ;   in Loop: Header=BB89_9 Depth=1
	s_add_u32 s0, 0, 0
	s_addc_u32 s22, 0, 0
	v_add_co_u32 v8, s0, 0x7ff, s0
	s_delay_alu instid0(VALU_DEP_1) | instskip(SKIP_1) | instid1(VALU_DEP_1)
	s_cmp_lg_u32 s0, 0
	s_addc_u32 s0, s22, 0
	v_readfirstlane_b32 s1, v8
	s_delay_alu instid0(VALU_DEP_1)
	s_mul_i32 s23, s1, 0xffdfffff
	s_mul_hi_u32 s34, s1, -1
	s_sub_i32 s22, 0, s1
	s_add_i32 s34, s34, s23
	s_mul_hi_u32 s35, s0, s22
	s_sub_i32 s34, s34, s0
	s_mul_i32 s23, s0, s22
	s_mul_hi_u32 s22, s1, s22
	s_mul_hi_u32 s36, s1, s34
	s_mul_i32 s1, s1, s34
	s_mul_hi_u32 s37, s0, s34
	s_add_u32 s1, s22, s1
	s_addc_u32 s22, 0, s36
	s_add_u32 s1, s1, s23
	s_mul_i32 s34, s0, s34
	s_addc_u32 s1, s22, s35
	s_addc_u32 s22, s37, 0
	s_add_u32 s1, s1, s34
	s_addc_u32 s22, 0, s22
	v_add_co_u32 v10, s1, v8, s1
	s_delay_alu instid0(VALU_DEP_1) | instskip(SKIP_1) | instid1(VALU_DEP_1)
	s_cmp_lg_u32 s1, 0
	s_addc_u32 s0, s0, s22
	v_mul_hi_u32 v16, v1, v10
	v_mad_u64_u32 v[8:9], null, v1, s0, 0
	v_mad_u64_u32 v[40:41], null, v0, v10, 0
	;; [unrolled: 1-line block ×3, first 2 shown]
	s_delay_alu instid0(VALU_DEP_3) | instskip(NEXT) | instid1(VALU_DEP_4)
	v_add_co_u32 v8, vcc_lo, v16, v8
	v_add_co_ci_u32_e32 v9, vcc_lo, 0, v9, vcc_lo
	s_delay_alu instid0(VALU_DEP_2) | instskip(NEXT) | instid1(VALU_DEP_2)
	v_add_co_u32 v8, vcc_lo, v8, v40
	v_add_co_ci_u32_e32 v8, vcc_lo, v9, v41, vcc_lo
	v_add_co_ci_u32_e32 v9, vcc_lo, 0, v43, vcc_lo
	s_delay_alu instid0(VALU_DEP_2) | instskip(NEXT) | instid1(VALU_DEP_2)
	v_add_co_u32 v8, vcc_lo, v8, v42
	v_add_co_ci_u32_e32 v9, vcc_lo, 0, v9, vcc_lo
	s_delay_alu instid0(VALU_DEP_2) | instskip(NEXT) | instid1(VALU_DEP_2)
	v_sub_co_u32 v1, vcc_lo, v1, v8
	v_lshl_add_u32 v9, v8, 21, v9
	s_delay_alu instid0(VALU_DEP_1) | instskip(NEXT) | instid1(VALU_DEP_1)
	v_sub_nc_u32_e32 v10, v0, v9
	v_subrev_co_ci_u32_e64 v8, s0, 0x200000, v10, vcc_lo
	v_sub_co_ci_u32_e32 v0, vcc_lo, v0, v9, vcc_lo
	v_sub_co_u32 v9, vcc_lo, v1, 1
	s_delay_alu instid0(VALU_DEP_1) | instskip(SKIP_2) | instid1(VALU_DEP_3)
	v_subrev_co_ci_u32_e64 v10, s0, 0, v8, vcc_lo
	v_cmp_ne_u32_e64 s0, 0, v1
	v_subrev_co_ci_u32_e32 v8, vcc_lo, 0x200000, v8, vcc_lo
	v_cmp_eq_u32_e32 vcc_lo, 0x200000, v10
	s_delay_alu instid0(VALU_DEP_3) | instskip(SKIP_1) | instid1(VALU_DEP_1)
	v_cndmask_b32_e64 v16, 0, -1, s0
	v_cmp_ne_u32_e64 s0, 0, v9
	v_cndmask_b32_e64 v40, 0, -1, s0
	v_cmp_lt_u32_e64 s0, 0x1fffff, v10
	s_delay_alu instid0(VALU_DEP_1) | instskip(SKIP_1) | instid1(VALU_DEP_2)
	v_cndmask_b32_e64 v41, 0, -1, s0
	v_cmp_lt_u32_e64 s0, 0x1fffff, v0
	v_cndmask_b32_e32 v40, v41, v40, vcc_lo
	s_delay_alu instid0(VALU_DEP_2) | instskip(SKIP_4) | instid1(VALU_DEP_4)
	v_cndmask_b32_e64 v42, 0, -1, s0
	v_cmp_eq_u32_e64 s0, 0x200000, v0
	v_sub_co_u32 v41, vcc_lo, v9, 1
	v_subrev_co_ci_u32_e32 v8, vcc_lo, 0, v8, vcc_lo
	v_cmp_ne_u32_e32 vcc_lo, 0, v40
	v_cndmask_b32_e64 v16, v42, v16, s0
	s_delay_alu instid0(VALU_DEP_3) | instskip(NEXT) | instid1(VALU_DEP_2)
	v_dual_cndmask_b32 v9, v9, v41 :: v_dual_cndmask_b32 v8, v10, v8
	v_cmp_ne_u32_e32 vcc_lo, 0, v16
	s_delay_alu instid0(VALU_DEP_2) | instskip(NEXT) | instid1(VALU_DEP_1)
	v_dual_cndmask_b32 v9, v1, v9 :: v_dual_cndmask_b32 v0, v0, v8
	v_cvt_f64_u32_e32 v[8:9], v9
	s_delay_alu instid0(VALU_DEP_2) | instskip(NEXT) | instid1(VALU_DEP_1)
	v_cvt_f64_u32_e32 v[0:1], v0
	v_ldexp_f64 v[0:1], v[0:1], 32
	s_delay_alu instid0(VALU_DEP_1)
	v_add_f64 v[0:1], v[0:1], v[8:9]
	global_store_b64 v7, v[0:1], s[18:19]
.LBB89_34:                              ;   in Loop: Header=BB89_9 Depth=1
	s_or_b32 exec_lo, exec_lo, s33
	v_add_co_u32 v7, vcc_lo, v13, s24
	v_add_co_ci_u32_e32 v8, vcc_lo, 0, v14, vcc_lo
	s_mov_b32 s33, exec_lo
	s_delay_alu instid0(VALU_DEP_1)
	v_cmpx_gt_i64_e64 s[16:17], v[7:8]
	s_cbranch_execz .LBB89_8
; %bb.35:                               ;   in Loop: Header=BB89_9 Depth=1
	s_and_not1_b32 vcc_lo, exec_lo, s11
	s_cbranch_vccnz .LBB89_41
; %bb.36:                               ;   in Loop: Header=BB89_9 Depth=1
	v_mov_b32_e32 v0, 0
	s_and_not1_b32 vcc_lo, exec_lo, s27
	s_cbranch_vccnz .LBB89_45
; %bb.37:                               ;   in Loop: Header=BB89_9 Depth=1
	s_and_not1_b32 vcc_lo, exec_lo, s29
	s_mov_b32 s0, 0
	s_cbranch_vccnz .LBB89_42
; %bb.38:                               ;   in Loop: Header=BB89_9 Depth=1
	v_dual_mov_b32 v0, 0 :: v_dual_mov_b32 v1, v7
	s_mov_b32 s34, 0
	s_mov_b64 s[0:1], s[12:13]
	s_mov_b64 s[22:23], s[20:21]
.LBB89_39:                              ;   Parent Loop BB89_9 Depth=1
                                        ; =>  This Inner Loop Header: Depth=2
	s_clause 0x1
	s_load_b256 s[36:43], s[0:1], 0x4
	s_load_b128 s[44:47], s[0:1], 0x24
	s_load_b128 s[48:51], s[22:23], 0x0
	s_add_u32 s0, s0, 48
	s_addc_u32 s1, s1, 0
	s_add_i32 s34, s34, 4
	s_add_u32 s22, s22, 16
	s_addc_u32 s23, s23, 0
	s_cmp_eq_u32 s30, s34
	s_waitcnt lgkmcnt(0)
	v_mul_hi_u32 v8, s37, v1
	s_delay_alu instid0(VALU_DEP_1) | instskip(NEXT) | instid1(VALU_DEP_1)
	v_add_nc_u32_e32 v8, v1, v8
	v_lshrrev_b32_e32 v8, s38, v8
	s_delay_alu instid0(VALU_DEP_1) | instskip(SKIP_1) | instid1(VALU_DEP_2)
	v_mul_hi_u32 v9, s40, v8
	v_mul_lo_u32 v40, v8, s36
	v_add_nc_u32_e32 v9, v8, v9
	s_delay_alu instid0(VALU_DEP_2) | instskip(NEXT) | instid1(VALU_DEP_2)
	v_sub_nc_u32_e32 v40, v1, v40
	v_lshrrev_b32_e32 v9, s41, v9
	s_delay_alu instid0(VALU_DEP_2) | instskip(NEXT) | instid1(VALU_DEP_2)
	v_mul_lo_u32 v40, v40, s48
	v_mul_hi_u32 v10, s43, v9
	v_mul_lo_u32 v41, v9, s39
	s_delay_alu instid0(VALU_DEP_2) | instskip(NEXT) | instid1(VALU_DEP_2)
	v_add_nc_u32_e32 v10, v9, v10
	v_sub_nc_u32_e32 v8, v8, v41
	s_delay_alu instid0(VALU_DEP_2) | instskip(NEXT) | instid1(VALU_DEP_2)
	v_lshrrev_b32_e32 v10, s44, v10
	v_mul_lo_u32 v8, v8, s49
	s_delay_alu instid0(VALU_DEP_2) | instskip(NEXT) | instid1(VALU_DEP_2)
	v_mul_hi_u32 v16, s46, v10
	v_add3_u32 v0, v40, v0, v8
	s_delay_alu instid0(VALU_DEP_2) | instskip(NEXT) | instid1(VALU_DEP_1)
	v_add_nc_u32_e32 v16, v10, v16
	v_lshrrev_b32_e32 v1, s47, v16
	v_mul_lo_u32 v16, v10, s42
	s_delay_alu instid0(VALU_DEP_2) | instskip(NEXT) | instid1(VALU_DEP_2)
	v_mul_lo_u32 v42, v1, s45
	v_sub_nc_u32_e32 v9, v9, v16
	s_delay_alu instid0(VALU_DEP_2) | instskip(NEXT) | instid1(VALU_DEP_2)
	v_sub_nc_u32_e32 v10, v10, v42
	v_mul_lo_u32 v9, v9, s50
	s_delay_alu instid0(VALU_DEP_2) | instskip(NEXT) | instid1(VALU_DEP_1)
	v_mul_lo_u32 v10, v10, s51
	v_add3_u32 v0, v9, v0, v10
	s_cbranch_scc0 .LBB89_39
; %bb.40:                               ;   in Loop: Header=BB89_9 Depth=1
	s_mov_b32 s0, s30
	s_and_not1_b32 vcc_lo, exec_lo, s31
	s_cbranch_vccz .LBB89_43
	s_branch .LBB89_45
.LBB89_41:                              ;   in Loop: Header=BB89_9 Depth=1
                                        ; implicit-def: $vgpr0
	s_branch .LBB89_46
.LBB89_42:                              ;   in Loop: Header=BB89_9 Depth=1
	v_mov_b32_e32 v1, v7
	s_and_not1_b32 vcc_lo, exec_lo, s31
	s_cbranch_vccnz .LBB89_45
.LBB89_43:                              ;   in Loop: Header=BB89_9 Depth=1
	s_lshl_b32 s1, s0, 2
	s_mul_i32 s22, s0, 12
	s_add_u32 s0, s20, s1
	s_addc_u32 s1, s21, 0
	s_add_u32 s22, s12, s22
	s_addc_u32 s23, s13, 0
	s_mov_b32 s34, s28
	.p2align	6
.LBB89_44:                              ;   Parent Loop BB89_9 Depth=1
                                        ; =>  This Inner Loop Header: Depth=2
	s_clause 0x1
	s_load_b64 s[36:37], s[22:23], 0x4
	s_load_b32 s35, s[22:23], 0xc
	s_add_u32 s22, s22, 12
	s_addc_u32 s23, s23, 0
	s_waitcnt lgkmcnt(0)
	v_mul_hi_u32 v8, s37, v1
	s_load_b32 s37, s[0:1], 0x0
	s_add_u32 s0, s0, 4
	s_addc_u32 s1, s1, 0
	s_add_i32 s34, s34, -1
	s_delay_alu instid0(SALU_CYCLE_1) | instskip(NEXT) | instid1(VALU_DEP_1)
	s_cmp_lg_u32 s34, 0
	v_add_nc_u32_e32 v8, v1, v8
	s_delay_alu instid0(VALU_DEP_1) | instskip(NEXT) | instid1(VALU_DEP_1)
	v_lshrrev_b32_e32 v10, s35, v8
	v_mul_lo_u32 v8, v10, s36
	s_delay_alu instid0(VALU_DEP_1) | instskip(SKIP_1) | instid1(VALU_DEP_1)
	v_sub_nc_u32_e32 v1, v1, v8
	s_waitcnt lgkmcnt(0)
	v_mad_u64_u32 v[8:9], null, v1, s37, v[0:1]
	s_delay_alu instid0(VALU_DEP_1)
	v_dual_mov_b32 v1, v10 :: v_dual_mov_b32 v0, v8
	s_cbranch_scc1 .LBB89_44
.LBB89_45:                              ;   in Loop: Header=BB89_9 Depth=1
	s_cbranch_execnz .LBB89_7
.LBB89_46:                              ;   in Loop: Header=BB89_9 Depth=1
	v_mul_hi_u32 v0, v7, s6
	s_and_not1_b32 vcc_lo, exec_lo, s4
	s_delay_alu instid0(VALU_DEP_1) | instskip(NEXT) | instid1(VALU_DEP_1)
	v_add_nc_u32_e32 v0, v0, v7
	v_lshrrev_b32_e32 v1, s7, v0
	s_delay_alu instid0(VALU_DEP_1) | instskip(NEXT) | instid1(VALU_DEP_1)
	v_mul_lo_u32 v0, v1, s5
	v_sub_nc_u32_e32 v0, v7, v0
	s_delay_alu instid0(VALU_DEP_1)
	v_mul_lo_u32 v0, v0, s14
	s_cbranch_vccnz .LBB89_7
; %bb.47:                               ;   in Loop: Header=BB89_9 Depth=1
	v_mul_hi_u32 v7, s9, v1
	s_delay_alu instid0(VALU_DEP_1) | instskip(NEXT) | instid1(VALU_DEP_1)
	v_add_nc_u32_e32 v7, v1, v7
	v_lshrrev_b32_e32 v7, s10, v7
	s_delay_alu instid0(VALU_DEP_1) | instskip(NEXT) | instid1(VALU_DEP_1)
	v_mul_lo_u32 v7, v7, s8
	v_sub_nc_u32_e32 v1, v1, v7
	s_delay_alu instid0(VALU_DEP_1) | instskip(NEXT) | instid1(VALU_DEP_1)
	v_mad_u64_u32 v[7:8], null, v1, s15, v[0:1]
	v_mov_b32_e32 v0, v7
	s_branch .LBB89_7
.LBB89_48:
	s_endpgm
.LBB89_49:
                                        ; implicit-def: $sgpr2_sgpr3
	s_branch .LBB89_4
	.section	.rodata,"a",@progbits
	.p2align	6, 0x0
	.amdhsa_kernel _ZN2at6native12_GLOBAL__N_143distribution_elementwise_grid_stride_kernelImLi2EZZZNS0_9templates4cuda13random_kernelIPNS_17CUDAGeneratorImplEEEvRNS_18TensorIteratorBaseET_ENKUlvE_clEvENKUlvE4_clEvEUlP25hiprandStatePhilox4_32_10E_ZNS1_27distribution_nullary_kernelIdm15HIP_vector_typeIyLj2EES7_SF_ZZZNS5_IS7_EEvS9_SA_ENKSB_clEvENKSC_clEvEUlmE_EEvS9_T2_RKT3_T4_EUlimE0_EEvlNS_15PhiloxCudaStateET1_SK_
		.amdhsa_group_segment_fixed_size 0
		.amdhsa_private_segment_fixed_size 0
		.amdhsa_kernarg_size 584
		.amdhsa_user_sgpr_count 15
		.amdhsa_user_sgpr_dispatch_ptr 0
		.amdhsa_user_sgpr_queue_ptr 0
		.amdhsa_user_sgpr_kernarg_segment_ptr 1
		.amdhsa_user_sgpr_dispatch_id 0
		.amdhsa_user_sgpr_private_segment_size 0
		.amdhsa_wavefront_size32 1
		.amdhsa_uses_dynamic_stack 0
		.amdhsa_enable_private_segment 0
		.amdhsa_system_sgpr_workgroup_id_x 1
		.amdhsa_system_sgpr_workgroup_id_y 0
		.amdhsa_system_sgpr_workgroup_id_z 0
		.amdhsa_system_sgpr_workgroup_info 0
		.amdhsa_system_vgpr_workitem_id 0
		.amdhsa_next_free_vgpr 44
		.amdhsa_next_free_sgpr 52
		.amdhsa_reserve_vcc 1
		.amdhsa_float_round_mode_32 0
		.amdhsa_float_round_mode_16_64 0
		.amdhsa_float_denorm_mode_32 3
		.amdhsa_float_denorm_mode_16_64 3
		.amdhsa_dx10_clamp 1
		.amdhsa_ieee_mode 1
		.amdhsa_fp16_overflow 0
		.amdhsa_workgroup_processor_mode 1
		.amdhsa_memory_ordered 1
		.amdhsa_forward_progress 0
		.amdhsa_shared_vgpr_count 0
		.amdhsa_exception_fp_ieee_invalid_op 0
		.amdhsa_exception_fp_denorm_src 0
		.amdhsa_exception_fp_ieee_div_zero 0
		.amdhsa_exception_fp_ieee_overflow 0
		.amdhsa_exception_fp_ieee_underflow 0
		.amdhsa_exception_fp_ieee_inexact 0
		.amdhsa_exception_int_div_zero 0
	.end_amdhsa_kernel
	.section	.text._ZN2at6native12_GLOBAL__N_143distribution_elementwise_grid_stride_kernelImLi2EZZZNS0_9templates4cuda13random_kernelIPNS_17CUDAGeneratorImplEEEvRNS_18TensorIteratorBaseET_ENKUlvE_clEvENKUlvE4_clEvEUlP25hiprandStatePhilox4_32_10E_ZNS1_27distribution_nullary_kernelIdm15HIP_vector_typeIyLj2EES7_SF_ZZZNS5_IS7_EEvS9_SA_ENKSB_clEvENKSC_clEvEUlmE_EEvS9_T2_RKT3_T4_EUlimE0_EEvlNS_15PhiloxCudaStateET1_SK_,"axG",@progbits,_ZN2at6native12_GLOBAL__N_143distribution_elementwise_grid_stride_kernelImLi2EZZZNS0_9templates4cuda13random_kernelIPNS_17CUDAGeneratorImplEEEvRNS_18TensorIteratorBaseET_ENKUlvE_clEvENKUlvE4_clEvEUlP25hiprandStatePhilox4_32_10E_ZNS1_27distribution_nullary_kernelIdm15HIP_vector_typeIyLj2EES7_SF_ZZZNS5_IS7_EEvS9_SA_ENKSB_clEvENKSC_clEvEUlmE_EEvS9_T2_RKT3_T4_EUlimE0_EEvlNS_15PhiloxCudaStateET1_SK_,comdat
.Lfunc_end89:
	.size	_ZN2at6native12_GLOBAL__N_143distribution_elementwise_grid_stride_kernelImLi2EZZZNS0_9templates4cuda13random_kernelIPNS_17CUDAGeneratorImplEEEvRNS_18TensorIteratorBaseET_ENKUlvE_clEvENKUlvE4_clEvEUlP25hiprandStatePhilox4_32_10E_ZNS1_27distribution_nullary_kernelIdm15HIP_vector_typeIyLj2EES7_SF_ZZZNS5_IS7_EEvS9_SA_ENKSB_clEvENKSC_clEvEUlmE_EEvS9_T2_RKT3_T4_EUlimE0_EEvlNS_15PhiloxCudaStateET1_SK_, .Lfunc_end89-_ZN2at6native12_GLOBAL__N_143distribution_elementwise_grid_stride_kernelImLi2EZZZNS0_9templates4cuda13random_kernelIPNS_17CUDAGeneratorImplEEEvRNS_18TensorIteratorBaseET_ENKUlvE_clEvENKUlvE4_clEvEUlP25hiprandStatePhilox4_32_10E_ZNS1_27distribution_nullary_kernelIdm15HIP_vector_typeIyLj2EES7_SF_ZZZNS5_IS7_EEvS9_SA_ENKSB_clEvENKSC_clEvEUlmE_EEvS9_T2_RKT3_T4_EUlimE0_EEvlNS_15PhiloxCudaStateET1_SK_
                                        ; -- End function
	.section	.AMDGPU.csdata,"",@progbits
; Kernel info:
; codeLenInByte = 4792
; NumSgprs: 54
; NumVgprs: 44
; ScratchSize: 0
; MemoryBound: 0
; FloatMode: 240
; IeeeMode: 1
; LDSByteSize: 0 bytes/workgroup (compile time only)
; SGPRBlocks: 6
; VGPRBlocks: 5
; NumSGPRsForWavesPerEU: 54
; NumVGPRsForWavesPerEU: 44
; Occupancy: 16
; WaveLimiterHint : 1
; COMPUTE_PGM_RSRC2:SCRATCH_EN: 0
; COMPUTE_PGM_RSRC2:USER_SGPR: 15
; COMPUTE_PGM_RSRC2:TRAP_HANDLER: 0
; COMPUTE_PGM_RSRC2:TGID_X_EN: 1
; COMPUTE_PGM_RSRC2:TGID_Y_EN: 0
; COMPUTE_PGM_RSRC2:TGID_Z_EN: 0
; COMPUTE_PGM_RSRC2:TIDIG_COMP_CNT: 0
	.section	.text._ZN2at6native12_GLOBAL__N_143distribution_elementwise_grid_stride_kernelIjLi4EZZZNS0_9templates4cuda13random_kernelIPNS_17CUDAGeneratorImplEEEvRNS_18TensorIteratorBaseET_ENKUlvE_clEvENKUlvE4_clEvEUlP25hiprandStatePhilox4_32_10E0_ZNS1_27distribution_nullary_kernelIdj15HIP_vector_typeIjLj4EES7_SF_ZZZNS5_IS7_EEvS9_SA_ENKSB_clEvENKSC_clEvEUljE_EEvS9_T2_RKT3_T4_EUlijE_EEvlNS_15PhiloxCudaStateET1_SK_,"axG",@progbits,_ZN2at6native12_GLOBAL__N_143distribution_elementwise_grid_stride_kernelIjLi4EZZZNS0_9templates4cuda13random_kernelIPNS_17CUDAGeneratorImplEEEvRNS_18TensorIteratorBaseET_ENKUlvE_clEvENKUlvE4_clEvEUlP25hiprandStatePhilox4_32_10E0_ZNS1_27distribution_nullary_kernelIdj15HIP_vector_typeIjLj4EES7_SF_ZZZNS5_IS7_EEvS9_SA_ENKSB_clEvENKSC_clEvEUljE_EEvS9_T2_RKT3_T4_EUlijE_EEvlNS_15PhiloxCudaStateET1_SK_,comdat
	.globl	_ZN2at6native12_GLOBAL__N_143distribution_elementwise_grid_stride_kernelIjLi4EZZZNS0_9templates4cuda13random_kernelIPNS_17CUDAGeneratorImplEEEvRNS_18TensorIteratorBaseET_ENKUlvE_clEvENKUlvE4_clEvEUlP25hiprandStatePhilox4_32_10E0_ZNS1_27distribution_nullary_kernelIdj15HIP_vector_typeIjLj4EES7_SF_ZZZNS5_IS7_EEvS9_SA_ENKSB_clEvENKSC_clEvEUljE_EEvS9_T2_RKT3_T4_EUlijE_EEvlNS_15PhiloxCudaStateET1_SK_ ; -- Begin function _ZN2at6native12_GLOBAL__N_143distribution_elementwise_grid_stride_kernelIjLi4EZZZNS0_9templates4cuda13random_kernelIPNS_17CUDAGeneratorImplEEEvRNS_18TensorIteratorBaseET_ENKUlvE_clEvENKUlvE4_clEvEUlP25hiprandStatePhilox4_32_10E0_ZNS1_27distribution_nullary_kernelIdj15HIP_vector_typeIjLj4EES7_SF_ZZZNS5_IS7_EEvS9_SA_ENKSB_clEvENKSC_clEvEUljE_EEvS9_T2_RKT3_T4_EUlijE_EEvlNS_15PhiloxCudaStateET1_SK_
	.p2align	8
	.type	_ZN2at6native12_GLOBAL__N_143distribution_elementwise_grid_stride_kernelIjLi4EZZZNS0_9templates4cuda13random_kernelIPNS_17CUDAGeneratorImplEEEvRNS_18TensorIteratorBaseET_ENKUlvE_clEvENKUlvE4_clEvEUlP25hiprandStatePhilox4_32_10E0_ZNS1_27distribution_nullary_kernelIdj15HIP_vector_typeIjLj4EES7_SF_ZZZNS5_IS7_EEvS9_SA_ENKSB_clEvENKSC_clEvEUljE_EEvS9_T2_RKT3_T4_EUlijE_EEvlNS_15PhiloxCudaStateET1_SK_,@function
_ZN2at6native12_GLOBAL__N_143distribution_elementwise_grid_stride_kernelIjLi4EZZZNS0_9templates4cuda13random_kernelIPNS_17CUDAGeneratorImplEEEvRNS_18TensorIteratorBaseET_ENKUlvE_clEvENKUlvE4_clEvEUlP25hiprandStatePhilox4_32_10E0_ZNS1_27distribution_nullary_kernelIdj15HIP_vector_typeIjLj4EES7_SF_ZZZNS5_IS7_EEvS9_SA_ENKSB_clEvENKSC_clEvEUljE_EEvS9_T2_RKT3_T4_EUlijE_EEvlNS_15PhiloxCudaStateET1_SK_: ; @_ZN2at6native12_GLOBAL__N_143distribution_elementwise_grid_stride_kernelIjLi4EZZZNS0_9templates4cuda13random_kernelIPNS_17CUDAGeneratorImplEEEvRNS_18TensorIteratorBaseET_ENKUlvE_clEvENKUlvE4_clEvEUlP25hiprandStatePhilox4_32_10E0_ZNS1_27distribution_nullary_kernelIdj15HIP_vector_typeIjLj4EES7_SF_ZZZNS5_IS7_EEvS9_SA_ENKSB_clEvENKSC_clEvEUljE_EEvS9_T2_RKT3_T4_EUlijE_EEvlNS_15PhiloxCudaStateET1_SK_
; %bb.0:
	s_clause 0x2
	s_load_b64 s[8:9], s[0:1], 0x10
	s_load_b128 s[4:7], s[0:1], 0x0
	s_load_b32 s2, s[0:1], 0x20
	s_waitcnt lgkmcnt(0)
	v_dual_mov_b32 v2, s8 :: v_dual_mov_b32 v3, s9
	v_dual_mov_b32 v12, s7 :: v_dual_mov_b32 v11, s6
	s_bitcmp0_b32 s2, 0
	s_mov_b32 s2, 0
	s_cbranch_scc1 .LBB90_2
; %bb.1:
	v_dual_mov_b32 v1, s8 :: v_dual_mov_b32 v2, s9
	v_dual_mov_b32 v4, s6 :: v_dual_mov_b32 v5, s7
	s_load_b64 s[6:7], s[0:1], 0x18
	flat_load_b64 v[2:3], v[1:2]
	flat_load_b64 v[11:12], v[4:5]
	s_waitcnt vmcnt(1) lgkmcnt(0)
	v_add_co_u32 v2, vcc_lo, v2, s6
	v_add_co_ci_u32_e32 v3, vcc_lo, s7, v3, vcc_lo
.LBB90_2:
	s_clause 0x1
	s_load_b32 s3, s[0:1], 0x4c
	s_load_b32 s11, s[0:1], 0x40
	s_waitcnt lgkmcnt(0)
	s_and_b32 s10, s3, 0xffff
	s_add_u32 s6, s4, -1
	s_mul_i32 s8, s11, s10
	s_addc_u32 s3, s5, -1
	s_lshl_b32 s9, s8, 2
	s_cmp_lg_u64 s[2:3], 0
	s_cbranch_scc0 .LBB90_27
; %bb.3:
	v_cvt_f32_ubyte0_e32 v1, 0
	v_cvt_f32_u32_e32 v4, s9
	s_sub_u32 s12, 0, s9
	s_subb_u32 s13, 0, 0
	s_delay_alu instid0(VALU_DEP_1) | instskip(NEXT) | instid1(VALU_DEP_1)
	v_fmamk_f32 v1, v1, 0x4f800000, v4
	v_rcp_f32_e32 v1, v1
	s_waitcnt_depctr 0xfff
	v_mul_f32_e32 v1, 0x5f7ffffc, v1
	s_delay_alu instid0(VALU_DEP_1) | instskip(NEXT) | instid1(VALU_DEP_1)
	v_mul_f32_e32 v4, 0x2f800000, v1
	v_trunc_f32_e32 v4, v4
	s_delay_alu instid0(VALU_DEP_1) | instskip(SKIP_1) | instid1(VALU_DEP_2)
	v_fmamk_f32 v1, v4, 0xcf800000, v1
	v_cvt_u32_f32_e32 v4, v4
	v_cvt_u32_f32_e32 v1, v1
	s_delay_alu instid0(VALU_DEP_2) | instskip(NEXT) | instid1(VALU_DEP_2)
	v_readfirstlane_b32 s2, v4
	v_readfirstlane_b32 s7, v1
	s_delay_alu instid0(VALU_DEP_2) | instskip(NEXT) | instid1(VALU_DEP_1)
	s_mul_i32 s14, s12, s2
	s_mul_hi_u32 s17, s12, s7
	s_mul_i32 s16, s13, s7
	s_add_i32 s14, s17, s14
	s_mul_i32 s18, s12, s7
	s_add_i32 s14, s14, s16
	s_mul_hi_u32 s17, s7, s18
	s_mul_hi_u32 s19, s2, s18
	s_mul_i32 s16, s2, s18
	s_mul_hi_u32 s18, s7, s14
	s_mul_i32 s7, s7, s14
	s_mul_hi_u32 s20, s2, s14
	s_add_u32 s7, s17, s7
	s_addc_u32 s17, 0, s18
	s_add_u32 s7, s7, s16
	s_mul_i32 s14, s2, s14
	s_addc_u32 s7, s17, s19
	s_addc_u32 s16, s20, 0
	s_add_u32 s7, s7, s14
	s_addc_u32 s14, 0, s16
	v_add_co_u32 v1, s7, v1, s7
	s_delay_alu instid0(VALU_DEP_1) | instskip(SKIP_1) | instid1(VALU_DEP_1)
	s_cmp_lg_u32 s7, 0
	s_addc_u32 s2, s2, s14
	v_readfirstlane_b32 s7, v1
	s_mul_i32 s14, s12, s2
	s_delay_alu instid0(VALU_DEP_1)
	s_mul_hi_u32 s16, s12, s7
	s_mul_i32 s13, s13, s7
	s_add_i32 s14, s16, s14
	s_mul_i32 s12, s12, s7
	s_add_i32 s14, s14, s13
	s_mul_hi_u32 s16, s2, s12
	s_mul_i32 s17, s2, s12
	s_mul_hi_u32 s12, s7, s12
	s_mul_hi_u32 s18, s7, s14
	s_mul_i32 s7, s7, s14
	s_mul_hi_u32 s13, s2, s14
	s_add_u32 s7, s12, s7
	s_addc_u32 s12, 0, s18
	s_add_u32 s7, s7, s17
	s_mul_i32 s14, s2, s14
	s_addc_u32 s7, s12, s16
	s_addc_u32 s12, s13, 0
	s_add_u32 s7, s7, s14
	s_addc_u32 s12, 0, s12
	v_add_co_u32 v1, s7, v1, s7
	s_delay_alu instid0(VALU_DEP_1) | instskip(SKIP_2) | instid1(VALU_DEP_1)
	s_cmp_lg_u32 s7, 0
	s_addc_u32 s7, s2, s12
	s_ashr_i32 s12, s3, 31
	v_readfirstlane_b32 s14, v1
	s_add_u32 s2, s6, s12
	s_mov_b32 s13, s12
	s_addc_u32 s3, s3, s12
	s_delay_alu instid0(SALU_CYCLE_1) | instskip(NEXT) | instid1(SALU_CYCLE_1)
	s_xor_b64 s[2:3], s[2:3], s[12:13]
	s_mul_i32 s17, s2, s7
	s_mul_hi_u32 s18, s2, s14
	s_mul_hi_u32 s16, s2, s7
	;; [unrolled: 1-line block ×3, first 2 shown]
	s_mul_i32 s14, s3, s14
	s_add_u32 s17, s18, s17
	s_addc_u32 s16, 0, s16
	s_mul_hi_u32 s19, s3, s7
	s_add_u32 s14, s17, s14
	s_mul_i32 s7, s3, s7
	s_addc_u32 s14, s16, s20
	s_addc_u32 s16, s19, 0
	s_add_u32 s7, s14, s7
	s_addc_u32 s14, 0, s16
	s_mul_i32 s17, s9, s7
	s_add_u32 s16, s7, 1
	v_sub_co_u32 v1, s2, s2, s17
	s_mul_hi_u32 s17, s9, s7
	s_addc_u32 s18, s14, 0
	s_mul_i32 s19, s9, s14
	s_delay_alu instid0(VALU_DEP_1)
	v_sub_co_u32 v4, s20, v1, s9
	s_add_u32 s21, s7, 2
	s_addc_u32 s22, s14, 0
	s_add_i32 s17, s17, s19
	s_cmp_lg_u32 s2, 0
	v_readfirstlane_b32 s2, v4
	s_subb_u32 s3, s3, s17
	s_cmp_lg_u32 s20, 0
	s_subb_u32 s17, s3, 0
	s_delay_alu instid0(VALU_DEP_1) | instskip(SKIP_4) | instid1(SALU_CYCLE_1)
	s_cmp_ge_u32 s2, s9
	s_cselect_b32 s2, -1, 0
	s_cmp_eq_u32 s17, 0
	v_readfirstlane_b32 s17, v1
	s_cselect_b32 s2, s2, -1
	s_cmp_lg_u32 s2, 0
	s_cselect_b32 s2, s21, s16
	s_cselect_b32 s16, s22, s18
	s_cmp_ge_u32 s17, s9
	s_cselect_b32 s17, -1, 0
	s_cmp_eq_u32 s3, 0
	s_cselect_b32 s3, s17, -1
	s_delay_alu instid0(SALU_CYCLE_1) | instskip(SKIP_2) | instid1(SALU_CYCLE_1)
	s_cmp_lg_u32 s3, 0
	s_cselect_b32 s3, s16, s14
	s_cselect_b32 s2, s2, s7
	s_xor_b64 s[2:3], s[2:3], s[12:13]
	s_delay_alu instid0(SALU_CYCLE_1)
	s_sub_u32 s2, s2, s12
	s_subb_u32 s3, s3, s12
	s_cbranch_execnz .LBB90_5
.LBB90_4:
	v_cvt_f32_u32_e32 v1, s9
	s_sub_i32 s3, 0, s9
	s_delay_alu instid0(VALU_DEP_1) | instskip(SKIP_2) | instid1(VALU_DEP_1)
	v_rcp_iflag_f32_e32 v1, v1
	s_waitcnt_depctr 0xfff
	v_mul_f32_e32 v1, 0x4f7ffffe, v1
	v_cvt_u32_f32_e32 v1, v1
	s_delay_alu instid0(VALU_DEP_1) | instskip(NEXT) | instid1(VALU_DEP_1)
	v_readfirstlane_b32 s2, v1
	s_mul_i32 s3, s3, s2
	s_delay_alu instid0(SALU_CYCLE_1) | instskip(NEXT) | instid1(SALU_CYCLE_1)
	s_mul_hi_u32 s3, s2, s3
	s_add_i32 s2, s2, s3
	s_delay_alu instid0(SALU_CYCLE_1) | instskip(NEXT) | instid1(SALU_CYCLE_1)
	s_mul_hi_u32 s2, s6, s2
	s_mul_i32 s3, s2, s9
	s_delay_alu instid0(SALU_CYCLE_1)
	s_sub_i32 s3, s6, s3
	s_add_i32 s6, s2, 1
	s_sub_i32 s7, s3, s9
	s_cmp_ge_u32 s3, s9
	s_cselect_b32 s2, s6, s2
	s_cselect_b32 s3, s7, s3
	s_add_i32 s6, s2, 1
	s_cmp_ge_u32 s3, s9
	s_mov_b32 s3, 0
	s_cselect_b32 s2, s6, s2
.LBB90_5:
	v_mov_b32_e32 v1, 0
	s_add_u32 s2, s2, 1
	s_addc_u32 s3, s3, 0
	s_mul_hi_u32 s6, s8, s2
	s_mul_i32 s3, s8, s3
	v_mad_u64_u32 v[13:14], null, s10, s15, v[0:1]
	s_mul_hi_u32 s7, s11, s10
	s_add_i32 s3, s6, s3
	s_mul_i32 s7, s7, s2
	s_mul_i32 s2, s8, s2
	s_add_i32 s3, s3, s7
	s_mov_b32 s6, exec_lo
	s_lshl_b64 s[2:3], s[2:3], 2
	s_delay_alu instid0(SALU_CYCLE_1)
	v_cmpx_gt_i64_e64 s[2:3], v[13:14]
	s_cbranch_execz .LBB90_26
; %bb.6:
	v_alignbit_b32 v17, v3, v2, 2
	v_mad_u64_u32 v[6:7], null, 0xcd9e8d57, v13, 0
	v_lshrrev_b32_e32 v18, 2, v3
	s_waitcnt vmcnt(0)
	v_dual_mov_b32 v15, v12 :: v_dual_add_nc_u32 v30, 0x8ff34781, v11
	v_mad_u64_u32 v[4:5], null, 0xd2511f53, v17, 0
	v_add_co_u32 v20, null, 0x9e3779b9, v11
	v_xor3_b32 v3, v11, v7, v18
	s_delay_alu instid0(VALU_DEP_4) | instskip(SKIP_2) | instid1(VALU_DEP_4)
	v_add_co_u32 v19, null, 0xbb67ae85, v15
	v_add_co_u32 v21, null, 0x3c6ef372, v11
	v_xor_b32_e32 v1, v5, v12
	v_mad_u64_u32 v[7:8], null, 0xd2511f53, v3, 0
	v_add_co_u32 v22, null, 0x76cf5d0a, v15
	s_delay_alu instid0(VALU_DEP_3) | instskip(SKIP_2) | instid1(VALU_DEP_3)
	v_xor_b32_e32 v1, v1, v14
	v_add_co_u32 v23, null, 0x32370b8f, v15
	v_add_co_u32 v24, null, 0xdaa66d2b, v11
	v_mad_u64_u32 v[9:10], null, 0xcd9e8d57, v1, 0
	v_xor3_b32 v1, v19, v8, v4
	v_add_co_u32 v25, null, 0x78dde6e4, v11
	v_add_co_u32 v26, null, 0xed9eba14, v15
	s_delay_alu instid0(VALU_DEP_3) | instskip(SKIP_3) | instid1(VALU_DEP_3)
	v_mad_u64_u32 v[3:4], null, 0xcd9e8d57, v1, 0
	v_xor3_b32 v8, v20, v10, v6
	v_add_co_u32 v27, null, 0xa9066899, v15
	v_add_co_u32 v28, null, 0x1715609d, v11
	v_mad_u64_u32 v[5:6], null, 0xd2511f53, v8, 0
	v_xor3_b32 v1, v21, v4, v9
	v_and_b32_e32 v29, 3, v2
	v_add_co_u32 v33, null, 0xb54cda56, v11
	v_add_co_u32 v34, null, 0x646e171e, v15
	v_xor3_b32 v4, v22, v6, v7
	v_mad_u64_u32 v[6:7], null, 0xd2511f53, v1, 0
	v_add_co_u32 v36, null, 0x1fd5c5a3, v15
	s_delay_alu instid0(VALU_DEP_3) | instskip(SKIP_1) | instid1(VALU_DEP_4)
	v_mad_u64_u32 v[8:9], null, 0xcd9e8d57, v4, 0
	v_add_co_u32 v32, null, 0x5384540f, v11
	v_xor3_b32 v1, v23, v7, v5
	s_clause 0x1
	s_load_b64 s[6:7], s[0:1], 0x30
	s_load_b32 s12, s[0:1], 0x38
	v_add_co_u32 v35, null, 0xf1bbcdc8, v11
	s_delay_alu instid0(VALU_DEP_4) | instskip(SKIP_3) | instid1(VALU_DEP_2)
	v_xor3_b32 v5, v24, v9, v3
	v_mad_u64_u32 v[3:4], null, 0xcd9e8d57, v1, 0
	s_mul_i32 s13, s11, 3
	s_add_i32 s16, s15, s11
	v_mad_u64_u32 v[9:10], null, 0xd2511f53, v5, 0
	s_add_i32 s13, s15, s13
	v_add_co_u32 v38, null, 0xdb3d7428, v15
	s_delay_alu instid0(VALU_DEP_3) | instskip(SKIP_2) | instid1(VALU_DEP_4)
	v_xor3_b32 v1, v25, v4, v8
	s_lshl_b32 s14, s11, 1
	v_add_nc_u32_e32 v31, 0x96a522ad, v12
	v_xor3_b32 v8, v26, v10, v6
	v_mov_b32_e32 v37, v13
	v_mad_u64_u32 v[4:5], null, 0xd2511f53, v1, 0
	s_waitcnt lgkmcnt(0)
	s_mul_i32 s11, s11, s12
	v_mad_u64_u32 v[6:7], null, 0xcd9e8d57, v8, 0
	v_mov_b32_e32 v43, v14
	s_mul_i32 s11, s11, s10
	s_mov_b32 s0, 0
	s_delay_alu instid0(VALU_DEP_3) | instskip(SKIP_2) | instid1(VALU_DEP_3)
	v_xor3_b32 v5, v27, v5, v9
	s_lshl_b32 s1, s8, 1
	s_lshl_b32 s11, s11, 2
	v_xor3_b32 v3, v28, v7, v3
	s_delay_alu instid0(VALU_DEP_2) | instskip(NEXT) | instid1(VALU_DEP_2)
	v_mad_u64_u32 v[1:2], null, 0xcd9e8d57, v5, 0
	v_mad_u64_u32 v[7:8], null, 0xd2511f53, v3, 0
	s_delay_alu instid0(VALU_DEP_2) | instskip(NEXT) | instid1(VALU_DEP_2)
	v_xor3_b32 v2, v33, v2, v6
	v_xor3_b32 v6, v34, v8, v4
	s_delay_alu instid0(VALU_DEP_4) | instskip(NEXT) | instid1(VALU_DEP_3)
	v_mad_u64_u32 v[3:4], null, s15, s10, v[0:1]
	v_mad_u64_u32 v[4:5], null, 0xd2511f53, v2, 0
	s_delay_alu instid0(VALU_DEP_3) | instskip(SKIP_1) | instid1(VALU_DEP_3)
	v_mad_u64_u32 v[8:9], null, 0xcd9e8d57, v6, 0
	s_add_i32 s15, s15, s14
	v_mul_lo_u32 v39, s12, v3
	s_delay_alu instid0(VALU_DEP_3) | instskip(NEXT) | instid1(VALU_DEP_3)
	v_xor3_b32 v2, v36, v5, v7
	v_xor3_b32 v1, v32, v9, v1
	s_delay_alu instid0(VALU_DEP_2) | instskip(NEXT) | instid1(VALU_DEP_2)
	v_mad_u64_u32 v[5:6], null, 0xcd9e8d57, v2, 0
	v_mad_u64_u32 v[9:10], null, 0xd2511f53, v1, 0
	;; [unrolled: 1-line block ×4, first 2 shown]
	s_delay_alu instid0(VALU_DEP_4) | instskip(NEXT) | instid1(VALU_DEP_4)
	v_xor3_b32 v1, v35, v6, v8
	v_xor3_b32 v4, v38, v10, v4
	s_delay_alu instid0(VALU_DEP_4) | instskip(NEXT) | instid1(VALU_DEP_3)
	v_mul_lo_u32 v42, s12, v15
	v_mad_u64_u32 v[6:7], null, s15, s10, v[0:1]
	v_mad_u64_u32 v[7:8], null, 0xd2511f53, v1, 0
	s_delay_alu instid0(VALU_DEP_4) | instskip(SKIP_2) | instid1(VALU_DEP_4)
	v_mad_u64_u32 v[1:2], null, 0xcd9e8d57, v4, 0
	v_mul_lo_u32 v40, s12, v40
	s_mul_i32 s10, s8, 3
	v_mul_lo_u32 v41, s12, v6
	s_mov_b32 s12, 0
	s_delay_alu instid0(VALU_DEP_4) | instskip(NEXT) | instid1(VALU_DEP_4)
	v_mov_b32_e32 v3, v7
	v_xor3_b32 v0, v2, v5, v30
	v_xor3_b32 v2, v8, v9, v31
	s_branch .LBB90_8
.LBB90_7:                               ;   in Loop: Header=BB90_8 Depth=1
	s_or_b32 exec_lo, exec_lo, s13
	v_add_co_u32 v13, vcc_lo, v13, s9
	v_add_co_ci_u32_e32 v14, vcc_lo, 0, v14, vcc_lo
	v_mov_b32_e32 v7, v15
	v_dual_mov_b32 v0, v4 :: v_dual_mov_b32 v1, v5
	s_delay_alu instid0(VALU_DEP_3) | instskip(NEXT) | instid1(VALU_DEP_3)
	v_cmp_le_i64_e32 vcc_lo, s[2:3], v[13:14]
	v_dual_mov_b32 v2, v6 :: v_dual_mov_b32 v3, v7
	s_add_i32 s12, s12, s11
	s_waitcnt_vscnt null, 0x0
	s_barrier
	s_or_b32 s0, vcc_lo, s0
	buffer_gl0_inv
	s_and_not1_b32 exec_lo, exec_lo, s0
	s_cbranch_execz .LBB90_26
.LBB90_8:                               ; =>This Inner Loop Header: Depth=1
	v_add_co_u32 v17, vcc_lo, v17, 1
	s_delay_alu instid0(VALU_DEP_1) | instskip(SKIP_2) | instid1(VALU_DEP_1)
	v_cndmask_b32_e64 v4, 0, 1, vcc_lo
	v_add_co_ci_u32_e32 v18, vcc_lo, 0, v18, vcc_lo
	s_mov_b32 s13, exec_lo
	v_cmp_eq_u32_e32 vcc_lo, 0, v18
	s_delay_alu instid0(VALU_DEP_3) | instskip(NEXT) | instid1(VALU_DEP_1)
	v_cndmask_b32_e32 v4, 0, v4, vcc_lo
	v_add_nc_u32_e32 v37, v4, v37
	s_delay_alu instid0(VALU_DEP_1) | instskip(SKIP_2) | instid1(VALU_DEP_2)
	v_cmp_eq_u32_e32 vcc_lo, 0, v37
	v_cndmask_b32_e32 v4, 0, v4, vcc_lo
	v_mad_u64_u32 v[6:7], null, 0xcd9e8d57, v37, 0
	v_add_nc_u32_e32 v43, v4, v43
	v_mad_u64_u32 v[4:5], null, 0xd2511f53, v17, 0
	s_delay_alu instid0(VALU_DEP_3) | instskip(NEXT) | instid1(VALU_DEP_2)
	v_xor3_b32 v9, v7, v11, v18
	v_xor_b32_e32 v5, v5, v12
	s_delay_alu instid0(VALU_DEP_2) | instskip(NEXT) | instid1(VALU_DEP_2)
	v_mad_u64_u32 v[7:8], null, 0xd2511f53, v9, 0
	v_xor_b32_e32 v5, v43, v5
	s_delay_alu instid0(VALU_DEP_2) | instskip(NEXT) | instid1(VALU_DEP_2)
	v_xor3_b32 v8, v19, v8, v4
	v_mad_u64_u32 v[9:10], null, 0xcd9e8d57, v5, 0
	s_delay_alu instid0(VALU_DEP_2) | instskip(NEXT) | instid1(VALU_DEP_2)
	v_mad_u64_u32 v[4:5], null, 0xcd9e8d57, v8, 0
	v_xor3_b32 v6, v20, v10, v6
	s_delay_alu instid0(VALU_DEP_2) | instskip(NEXT) | instid1(VALU_DEP_2)
	v_xor3_b32 v8, v21, v5, v9
	v_mad_u64_u32 v[15:16], null, 0xd2511f53, v6, 0
	s_delay_alu instid0(VALU_DEP_2) | instskip(NEXT) | instid1(VALU_DEP_2)
	v_mad_u64_u32 v[5:6], null, 0xd2511f53, v8, 0
	v_xor3_b32 v9, v22, v16, v7
	s_delay_alu instid0(VALU_DEP_2) | instskip(NEXT) | instid1(VALU_DEP_2)
	v_xor3_b32 v6, v23, v6, v15
	v_mad_u64_u32 v[7:8], null, 0xcd9e8d57, v9, 0
	s_delay_alu instid0(VALU_DEP_1) | instskip(NEXT) | instid1(VALU_DEP_3)
	v_xor3_b32 v4, v24, v8, v4
	v_mad_u64_u32 v[8:9], null, 0xcd9e8d57, v6, 0
	s_delay_alu instid0(VALU_DEP_2) | instskip(NEXT) | instid1(VALU_DEP_2)
	v_mad_u64_u32 v[15:16], null, 0xd2511f53, v4, 0
	v_xor3_b32 v6, v25, v9, v7
	s_delay_alu instid0(VALU_DEP_2) | instskip(NEXT) | instid1(VALU_DEP_2)
	v_xor3_b32 v9, v26, v16, v5
	v_mad_u64_u32 v[4:5], null, 0xd2511f53, v6, 0
	s_delay_alu instid0(VALU_DEP_2) | instskip(NEXT) | instid1(VALU_DEP_2)
	v_mad_u64_u32 v[6:7], null, 0xcd9e8d57, v9, 0
	v_xor3_b32 v5, v27, v5, v15
	s_delay_alu instid0(VALU_DEP_2) | instskip(NEXT) | instid1(VALU_DEP_2)
	;; [unrolled: 6-line block ×6, first 2 shown]
	v_xor3_b32 v4, v6, v7, v30
	v_mov_b32_e32 v6, v10
	v_cmpx_lt_i32_e32 1, v29
	s_xor_b32 s13, exec_lo, s13
	s_cbranch_execnz .LBB90_18
; %bb.9:                                ;   in Loop: Header=BB90_8 Depth=1
	s_and_not1_saveexec_b32 s13, s13
	s_cbranch_execnz .LBB90_23
.LBB90_10:                              ;   in Loop: Header=BB90_8 Depth=1
	s_or_b32 exec_lo, exec_lo, s13
	s_delay_alu instid0(SALU_CYCLE_1)
	s_mov_b32 s13, exec_lo
	v_cmpx_gt_i64_e64 s[4:5], v[13:14]
	s_cbranch_execz .LBB90_12
.LBB90_11:                              ;   in Loop: Header=BB90_8 Depth=1
	v_cvt_f64_u32_e32 v[7:8], v0
	v_add_nc_u32_e32 v0, s12, v39
	s_delay_alu instid0(VALU_DEP_1) | instskip(SKIP_1) | instid1(VALU_DEP_2)
	v_ashrrev_i32_e32 v10, 31, v0
	v_add_co_u32 v9, vcc_lo, s6, v0
	v_add_co_ci_u32_e32 v10, vcc_lo, s7, v10, vcc_lo
	global_store_b64 v[9:10], v[7:8], off
.LBB90_12:                              ;   in Loop: Header=BB90_8 Depth=1
	s_or_b32 exec_lo, exec_lo, s13
	v_add_co_u32 v7, vcc_lo, s8, v13
	v_add_co_ci_u32_e32 v8, vcc_lo, 0, v14, vcc_lo
	s_mov_b32 s13, exec_lo
	s_delay_alu instid0(VALU_DEP_1)
	v_cmpx_gt_i64_e64 s[4:5], v[7:8]
	s_cbranch_execz .LBB90_14
; %bb.13:                               ;   in Loop: Header=BB90_8 Depth=1
	v_cvt_f64_u32_e32 v[0:1], v1
	v_add_nc_u32_e32 v7, s12, v42
	s_delay_alu instid0(VALU_DEP_1) | instskip(SKIP_1) | instid1(VALU_DEP_2)
	v_ashrrev_i32_e32 v8, 31, v7
	v_add_co_u32 v7, vcc_lo, s6, v7
	v_add_co_ci_u32_e32 v8, vcc_lo, s7, v8, vcc_lo
	global_store_b64 v[7:8], v[0:1], off
.LBB90_14:                              ;   in Loop: Header=BB90_8 Depth=1
	s_or_b32 exec_lo, exec_lo, s13
	v_add_co_u32 v0, vcc_lo, s1, v13
	v_add_co_ci_u32_e32 v1, vcc_lo, 0, v14, vcc_lo
	s_mov_b32 s13, exec_lo
	s_delay_alu instid0(VALU_DEP_1)
	v_cmpx_gt_i64_e64 s[4:5], v[0:1]
	s_cbranch_execz .LBB90_16
; %bb.15:                               ;   in Loop: Header=BB90_8 Depth=1
	v_cvt_f64_u32_e32 v[0:1], v2
	v_add_nc_u32_e32 v2, s12, v41
	s_delay_alu instid0(VALU_DEP_1) | instskip(SKIP_1) | instid1(VALU_DEP_2)
	v_ashrrev_i32_e32 v8, 31, v2
	v_add_co_u32 v7, vcc_lo, s6, v2
	v_add_co_ci_u32_e32 v8, vcc_lo, s7, v8, vcc_lo
	global_store_b64 v[7:8], v[0:1], off
.LBB90_16:                              ;   in Loop: Header=BB90_8 Depth=1
	s_or_b32 exec_lo, exec_lo, s13
	v_add_co_u32 v0, vcc_lo, s10, v13
	v_add_co_ci_u32_e32 v1, vcc_lo, 0, v14, vcc_lo
	s_mov_b32 s13, exec_lo
	s_delay_alu instid0(VALU_DEP_1)
	v_cmpx_gt_i64_e64 s[4:5], v[0:1]
	s_cbranch_execz .LBB90_7
; %bb.17:                               ;   in Loop: Header=BB90_8 Depth=1
	v_cvt_f64_u32_e32 v[0:1], v3
	v_add_nc_u32_e32 v2, s12, v40
	s_delay_alu instid0(VALU_DEP_1) | instskip(SKIP_1) | instid1(VALU_DEP_2)
	v_ashrrev_i32_e32 v3, 31, v2
	v_add_co_u32 v2, vcc_lo, s6, v2
	v_add_co_ci_u32_e32 v3, vcc_lo, s7, v3, vcc_lo
	global_store_b64 v[2:3], v[0:1], off
	s_branch .LBB90_7
.LBB90_18:                              ;   in Loop: Header=BB90_8 Depth=1
	s_mov_b32 s14, exec_lo
	v_cmpx_lt_i32_e32 2, v29
	s_xor_b32 s14, exec_lo, s14
; %bb.19:                               ;   in Loop: Header=BB90_8 Depth=1
	v_dual_mov_b32 v7, v3 :: v_dual_mov_b32 v8, v4
	v_mov_b32_e32 v9, v5
	s_delay_alu instid0(VALU_DEP_2) | instskip(NEXT) | instid1(VALU_DEP_2)
	v_dual_mov_b32 v0, v7 :: v_dual_mov_b32 v1, v8
	v_dual_mov_b32 v2, v9 :: v_dual_mov_b32 v3, v10
; %bb.20:                               ;   in Loop: Header=BB90_8 Depth=1
	s_and_not1_saveexec_b32 s14, s14
; %bb.21:                               ;   in Loop: Header=BB90_8 Depth=1
	s_delay_alu instid0(VALU_DEP_1)
	v_dual_mov_b32 v0, v2 :: v_dual_mov_b32 v1, v3
	v_dual_mov_b32 v2, v4 :: v_dual_mov_b32 v3, v5
; %bb.22:                               ;   in Loop: Header=BB90_8 Depth=1
	s_or_b32 exec_lo, exec_lo, s14
	s_and_not1_saveexec_b32 s13, s13
	s_cbranch_execz .LBB90_10
.LBB90_23:                              ;   in Loop: Header=BB90_8 Depth=1
	s_mov_b32 s14, exec_lo
	v_cmpx_eq_u32_e32 1, v29
; %bb.24:                               ;   in Loop: Header=BB90_8 Depth=1
	v_dual_mov_b32 v0, v1 :: v_dual_mov_b32 v1, v2
	v_dual_mov_b32 v2, v3 :: v_dual_mov_b32 v3, v4
; %bb.25:                               ;   in Loop: Header=BB90_8 Depth=1
	s_or_b32 exec_lo, exec_lo, s14
	s_delay_alu instid0(SALU_CYCLE_1) | instskip(NEXT) | instid1(SALU_CYCLE_1)
	s_or_b32 exec_lo, exec_lo, s13
	s_mov_b32 s13, exec_lo
	v_cmpx_gt_i64_e64 s[4:5], v[13:14]
	s_cbranch_execnz .LBB90_11
	s_branch .LBB90_12
.LBB90_26:
	s_endpgm
.LBB90_27:
                                        ; implicit-def: $sgpr2_sgpr3
	s_branch .LBB90_4
	.section	.rodata,"a",@progbits
	.p2align	6, 0x0
	.amdhsa_kernel _ZN2at6native12_GLOBAL__N_143distribution_elementwise_grid_stride_kernelIjLi4EZZZNS0_9templates4cuda13random_kernelIPNS_17CUDAGeneratorImplEEEvRNS_18TensorIteratorBaseET_ENKUlvE_clEvENKUlvE4_clEvEUlP25hiprandStatePhilox4_32_10E0_ZNS1_27distribution_nullary_kernelIdj15HIP_vector_typeIjLj4EES7_SF_ZZZNS5_IS7_EEvS9_SA_ENKSB_clEvENKSC_clEvEUljE_EEvS9_T2_RKT3_T4_EUlijE_EEvlNS_15PhiloxCudaStateET1_SK_
		.amdhsa_group_segment_fixed_size 0
		.amdhsa_private_segment_fixed_size 0
		.amdhsa_kernarg_size 320
		.amdhsa_user_sgpr_count 15
		.amdhsa_user_sgpr_dispatch_ptr 0
		.amdhsa_user_sgpr_queue_ptr 0
		.amdhsa_user_sgpr_kernarg_segment_ptr 1
		.amdhsa_user_sgpr_dispatch_id 0
		.amdhsa_user_sgpr_private_segment_size 0
		.amdhsa_wavefront_size32 1
		.amdhsa_uses_dynamic_stack 0
		.amdhsa_enable_private_segment 0
		.amdhsa_system_sgpr_workgroup_id_x 1
		.amdhsa_system_sgpr_workgroup_id_y 0
		.amdhsa_system_sgpr_workgroup_id_z 0
		.amdhsa_system_sgpr_workgroup_info 0
		.amdhsa_system_vgpr_workitem_id 0
		.amdhsa_next_free_vgpr 44
		.amdhsa_next_free_sgpr 23
		.amdhsa_reserve_vcc 1
		.amdhsa_float_round_mode_32 0
		.amdhsa_float_round_mode_16_64 0
		.amdhsa_float_denorm_mode_32 3
		.amdhsa_float_denorm_mode_16_64 3
		.amdhsa_dx10_clamp 1
		.amdhsa_ieee_mode 1
		.amdhsa_fp16_overflow 0
		.amdhsa_workgroup_processor_mode 1
		.amdhsa_memory_ordered 1
		.amdhsa_forward_progress 0
		.amdhsa_shared_vgpr_count 0
		.amdhsa_exception_fp_ieee_invalid_op 0
		.amdhsa_exception_fp_denorm_src 0
		.amdhsa_exception_fp_ieee_div_zero 0
		.amdhsa_exception_fp_ieee_overflow 0
		.amdhsa_exception_fp_ieee_underflow 0
		.amdhsa_exception_fp_ieee_inexact 0
		.amdhsa_exception_int_div_zero 0
	.end_amdhsa_kernel
	.section	.text._ZN2at6native12_GLOBAL__N_143distribution_elementwise_grid_stride_kernelIjLi4EZZZNS0_9templates4cuda13random_kernelIPNS_17CUDAGeneratorImplEEEvRNS_18TensorIteratorBaseET_ENKUlvE_clEvENKUlvE4_clEvEUlP25hiprandStatePhilox4_32_10E0_ZNS1_27distribution_nullary_kernelIdj15HIP_vector_typeIjLj4EES7_SF_ZZZNS5_IS7_EEvS9_SA_ENKSB_clEvENKSC_clEvEUljE_EEvS9_T2_RKT3_T4_EUlijE_EEvlNS_15PhiloxCudaStateET1_SK_,"axG",@progbits,_ZN2at6native12_GLOBAL__N_143distribution_elementwise_grid_stride_kernelIjLi4EZZZNS0_9templates4cuda13random_kernelIPNS_17CUDAGeneratorImplEEEvRNS_18TensorIteratorBaseET_ENKUlvE_clEvENKUlvE4_clEvEUlP25hiprandStatePhilox4_32_10E0_ZNS1_27distribution_nullary_kernelIdj15HIP_vector_typeIjLj4EES7_SF_ZZZNS5_IS7_EEvS9_SA_ENKSB_clEvENKSC_clEvEUljE_EEvS9_T2_RKT3_T4_EUlijE_EEvlNS_15PhiloxCudaStateET1_SK_,comdat
.Lfunc_end90:
	.size	_ZN2at6native12_GLOBAL__N_143distribution_elementwise_grid_stride_kernelIjLi4EZZZNS0_9templates4cuda13random_kernelIPNS_17CUDAGeneratorImplEEEvRNS_18TensorIteratorBaseET_ENKUlvE_clEvENKUlvE4_clEvEUlP25hiprandStatePhilox4_32_10E0_ZNS1_27distribution_nullary_kernelIdj15HIP_vector_typeIjLj4EES7_SF_ZZZNS5_IS7_EEvS9_SA_ENKSB_clEvENKSC_clEvEUljE_EEvS9_T2_RKT3_T4_EUlijE_EEvlNS_15PhiloxCudaStateET1_SK_, .Lfunc_end90-_ZN2at6native12_GLOBAL__N_143distribution_elementwise_grid_stride_kernelIjLi4EZZZNS0_9templates4cuda13random_kernelIPNS_17CUDAGeneratorImplEEEvRNS_18TensorIteratorBaseET_ENKUlvE_clEvENKUlvE4_clEvEUlP25hiprandStatePhilox4_32_10E0_ZNS1_27distribution_nullary_kernelIdj15HIP_vector_typeIjLj4EES7_SF_ZZZNS5_IS7_EEvS9_SA_ENKSB_clEvENKSC_clEvEUljE_EEvS9_T2_RKT3_T4_EUlijE_EEvlNS_15PhiloxCudaStateET1_SK_
                                        ; -- End function
	.section	.AMDGPU.csdata,"",@progbits
; Kernel info:
; codeLenInByte = 2820
; NumSgprs: 25
; NumVgprs: 44
; ScratchSize: 0
; MemoryBound: 0
; FloatMode: 240
; IeeeMode: 1
; LDSByteSize: 0 bytes/workgroup (compile time only)
; SGPRBlocks: 3
; VGPRBlocks: 5
; NumSGPRsForWavesPerEU: 25
; NumVGPRsForWavesPerEU: 44
; Occupancy: 16
; WaveLimiterHint : 0
; COMPUTE_PGM_RSRC2:SCRATCH_EN: 0
; COMPUTE_PGM_RSRC2:USER_SGPR: 15
; COMPUTE_PGM_RSRC2:TRAP_HANDLER: 0
; COMPUTE_PGM_RSRC2:TGID_X_EN: 1
; COMPUTE_PGM_RSRC2:TGID_Y_EN: 0
; COMPUTE_PGM_RSRC2:TGID_Z_EN: 0
; COMPUTE_PGM_RSRC2:TIDIG_COMP_CNT: 0
	.section	.text._ZN2at6native12_GLOBAL__N_143distribution_elementwise_grid_stride_kernelIjLi4EZZZNS0_9templates4cuda13random_kernelIPNS_17CUDAGeneratorImplEEEvRNS_18TensorIteratorBaseET_ENKUlvE_clEvENKUlvE4_clEvEUlP25hiprandStatePhilox4_32_10E0_ZNS1_27distribution_nullary_kernelIdj15HIP_vector_typeIjLj4EES7_SF_ZZZNS5_IS7_EEvS9_SA_ENKSB_clEvENKSC_clEvEUljE_EEvS9_T2_RKT3_T4_EUlijE0_EEvlNS_15PhiloxCudaStateET1_SK_,"axG",@progbits,_ZN2at6native12_GLOBAL__N_143distribution_elementwise_grid_stride_kernelIjLi4EZZZNS0_9templates4cuda13random_kernelIPNS_17CUDAGeneratorImplEEEvRNS_18TensorIteratorBaseET_ENKUlvE_clEvENKUlvE4_clEvEUlP25hiprandStatePhilox4_32_10E0_ZNS1_27distribution_nullary_kernelIdj15HIP_vector_typeIjLj4EES7_SF_ZZZNS5_IS7_EEvS9_SA_ENKSB_clEvENKSC_clEvEUljE_EEvS9_T2_RKT3_T4_EUlijE0_EEvlNS_15PhiloxCudaStateET1_SK_,comdat
	.globl	_ZN2at6native12_GLOBAL__N_143distribution_elementwise_grid_stride_kernelIjLi4EZZZNS0_9templates4cuda13random_kernelIPNS_17CUDAGeneratorImplEEEvRNS_18TensorIteratorBaseET_ENKUlvE_clEvENKUlvE4_clEvEUlP25hiprandStatePhilox4_32_10E0_ZNS1_27distribution_nullary_kernelIdj15HIP_vector_typeIjLj4EES7_SF_ZZZNS5_IS7_EEvS9_SA_ENKSB_clEvENKSC_clEvEUljE_EEvS9_T2_RKT3_T4_EUlijE0_EEvlNS_15PhiloxCudaStateET1_SK_ ; -- Begin function _ZN2at6native12_GLOBAL__N_143distribution_elementwise_grid_stride_kernelIjLi4EZZZNS0_9templates4cuda13random_kernelIPNS_17CUDAGeneratorImplEEEvRNS_18TensorIteratorBaseET_ENKUlvE_clEvENKUlvE4_clEvEUlP25hiprandStatePhilox4_32_10E0_ZNS1_27distribution_nullary_kernelIdj15HIP_vector_typeIjLj4EES7_SF_ZZZNS5_IS7_EEvS9_SA_ENKSB_clEvENKSC_clEvEUljE_EEvS9_T2_RKT3_T4_EUlijE0_EEvlNS_15PhiloxCudaStateET1_SK_
	.p2align	8
	.type	_ZN2at6native12_GLOBAL__N_143distribution_elementwise_grid_stride_kernelIjLi4EZZZNS0_9templates4cuda13random_kernelIPNS_17CUDAGeneratorImplEEEvRNS_18TensorIteratorBaseET_ENKUlvE_clEvENKUlvE4_clEvEUlP25hiprandStatePhilox4_32_10E0_ZNS1_27distribution_nullary_kernelIdj15HIP_vector_typeIjLj4EES7_SF_ZZZNS5_IS7_EEvS9_SA_ENKSB_clEvENKSC_clEvEUljE_EEvS9_T2_RKT3_T4_EUlijE0_EEvlNS_15PhiloxCudaStateET1_SK_,@function
_ZN2at6native12_GLOBAL__N_143distribution_elementwise_grid_stride_kernelIjLi4EZZZNS0_9templates4cuda13random_kernelIPNS_17CUDAGeneratorImplEEEvRNS_18TensorIteratorBaseET_ENKUlvE_clEvENKUlvE4_clEvEUlP25hiprandStatePhilox4_32_10E0_ZNS1_27distribution_nullary_kernelIdj15HIP_vector_typeIjLj4EES7_SF_ZZZNS5_IS7_EEvS9_SA_ENKSB_clEvENKSC_clEvEUljE_EEvS9_T2_RKT3_T4_EUlijE0_EEvlNS_15PhiloxCudaStateET1_SK_: ; @_ZN2at6native12_GLOBAL__N_143distribution_elementwise_grid_stride_kernelIjLi4EZZZNS0_9templates4cuda13random_kernelIPNS_17CUDAGeneratorImplEEEvRNS_18TensorIteratorBaseET_ENKUlvE_clEvENKUlvE4_clEvEUlP25hiprandStatePhilox4_32_10E0_ZNS1_27distribution_nullary_kernelIdj15HIP_vector_typeIjLj4EES7_SF_ZZZNS5_IS7_EEvS9_SA_ENKSB_clEvENKSC_clEvEUljE_EEvS9_T2_RKT3_T4_EUlijE0_EEvlNS_15PhiloxCudaStateET1_SK_
; %bb.0:
	s_clause 0x2
	s_load_b64 s[4:5], s[0:1], 0x10
	s_load_b128 s[16:19], s[0:1], 0x0
	s_load_b32 s2, s[0:1], 0x20
	s_waitcnt lgkmcnt(0)
	v_dual_mov_b32 v2, s4 :: v_dual_mov_b32 v3, s5
	v_dual_mov_b32 v11, s18 :: v_dual_mov_b32 v12, s19
	s_bitcmp0_b32 s2, 0
	s_mov_b32 s2, 0
	s_cbranch_scc1 .LBB91_2
; %bb.1:
	v_dual_mov_b32 v1, s4 :: v_dual_mov_b32 v2, s5
	v_dual_mov_b32 v4, s18 :: v_dual_mov_b32 v5, s19
	s_load_b64 s[4:5], s[0:1], 0x18
	flat_load_b64 v[2:3], v[1:2]
	flat_load_b64 v[11:12], v[4:5]
	s_waitcnt vmcnt(1) lgkmcnt(0)
	v_add_co_u32 v2, vcc_lo, v2, s4
	v_add_co_ci_u32_e32 v3, vcc_lo, s5, v3, vcc_lo
.LBB91_2:
	s_clause 0x1
	s_load_b32 s3, s[0:1], 0x154
	s_load_b32 s4, s[0:1], 0x148
	s_waitcnt lgkmcnt(0)
	s_and_b32 s5, s3, 0xffff
	s_add_u32 s6, s16, -1
	s_mul_i32 s24, s4, s5
	s_addc_u32 s3, s17, -1
	s_lshl_b32 s25, s24, 2
	s_cmp_lg_u64 s[2:3], 0
	s_cbranch_scc0 .LBB91_79
; %bb.3:
	v_cvt_f32_ubyte0_e32 v1, 0
	v_cvt_f32_u32_e32 v4, s25
	s_sub_u32 s8, 0, s25
	s_subb_u32 s9, 0, 0
	s_delay_alu instid0(VALU_DEP_1) | instskip(NEXT) | instid1(VALU_DEP_1)
	v_fmamk_f32 v1, v1, 0x4f800000, v4
	v_rcp_f32_e32 v1, v1
	s_waitcnt_depctr 0xfff
	v_mul_f32_e32 v1, 0x5f7ffffc, v1
	s_delay_alu instid0(VALU_DEP_1) | instskip(NEXT) | instid1(VALU_DEP_1)
	v_mul_f32_e32 v4, 0x2f800000, v1
	v_trunc_f32_e32 v4, v4
	s_delay_alu instid0(VALU_DEP_1) | instskip(SKIP_1) | instid1(VALU_DEP_2)
	v_fmamk_f32 v1, v4, 0xcf800000, v1
	v_cvt_u32_f32_e32 v4, v4
	v_cvt_u32_f32_e32 v1, v1
	s_delay_alu instid0(VALU_DEP_2) | instskip(NEXT) | instid1(VALU_DEP_2)
	v_readfirstlane_b32 s2, v4
	v_readfirstlane_b32 s7, v1
	s_delay_alu instid0(VALU_DEP_2) | instskip(NEXT) | instid1(VALU_DEP_1)
	s_mul_i32 s10, s8, s2
	s_mul_hi_u32 s12, s8, s7
	s_mul_i32 s11, s9, s7
	s_add_i32 s10, s12, s10
	s_mul_i32 s13, s8, s7
	s_add_i32 s10, s10, s11
	s_mul_hi_u32 s12, s7, s13
	s_mul_hi_u32 s14, s2, s13
	s_mul_i32 s11, s2, s13
	s_mul_hi_u32 s13, s7, s10
	s_mul_i32 s7, s7, s10
	s_mul_hi_u32 s18, s2, s10
	s_add_u32 s7, s12, s7
	s_addc_u32 s12, 0, s13
	s_add_u32 s7, s7, s11
	s_mul_i32 s10, s2, s10
	s_addc_u32 s7, s12, s14
	s_addc_u32 s11, s18, 0
	s_add_u32 s7, s7, s10
	s_addc_u32 s10, 0, s11
	v_add_co_u32 v1, s7, v1, s7
	s_delay_alu instid0(VALU_DEP_1) | instskip(SKIP_1) | instid1(VALU_DEP_1)
	s_cmp_lg_u32 s7, 0
	s_addc_u32 s2, s2, s10
	v_readfirstlane_b32 s7, v1
	s_mul_i32 s10, s8, s2
	s_delay_alu instid0(VALU_DEP_1)
	s_mul_hi_u32 s11, s8, s7
	s_mul_i32 s9, s9, s7
	s_add_i32 s10, s11, s10
	s_mul_i32 s8, s8, s7
	s_add_i32 s10, s10, s9
	s_mul_hi_u32 s11, s2, s8
	s_mul_i32 s12, s2, s8
	s_mul_hi_u32 s8, s7, s8
	s_mul_hi_u32 s13, s7, s10
	s_mul_i32 s7, s7, s10
	s_mul_hi_u32 s9, s2, s10
	s_add_u32 s7, s8, s7
	s_addc_u32 s8, 0, s13
	s_add_u32 s7, s7, s12
	s_mul_i32 s10, s2, s10
	s_addc_u32 s7, s8, s11
	s_addc_u32 s8, s9, 0
	s_add_u32 s7, s7, s10
	s_addc_u32 s8, 0, s8
	v_add_co_u32 v1, s7, v1, s7
	s_delay_alu instid0(VALU_DEP_1) | instskip(SKIP_2) | instid1(VALU_DEP_1)
	s_cmp_lg_u32 s7, 0
	s_addc_u32 s7, s2, s8
	s_ashr_i32 s8, s3, 31
	v_readfirstlane_b32 s10, v1
	s_add_u32 s2, s6, s8
	s_mov_b32 s9, s8
	s_addc_u32 s3, s3, s8
	s_delay_alu instid0(SALU_CYCLE_1) | instskip(NEXT) | instid1(SALU_CYCLE_1)
	s_xor_b64 s[2:3], s[2:3], s[8:9]
	s_mul_i32 s12, s2, s7
	s_mul_hi_u32 s13, s2, s10
	s_mul_hi_u32 s11, s2, s7
	;; [unrolled: 1-line block ×3, first 2 shown]
	s_mul_i32 s10, s3, s10
	s_add_u32 s12, s13, s12
	s_addc_u32 s11, 0, s11
	s_mul_hi_u32 s14, s3, s7
	s_add_u32 s10, s12, s10
	s_mul_i32 s7, s3, s7
	s_addc_u32 s10, s11, s18
	s_addc_u32 s11, s14, 0
	s_add_u32 s7, s10, s7
	s_addc_u32 s10, 0, s11
	s_mul_i32 s12, s25, s7
	s_add_u32 s11, s7, 1
	v_sub_co_u32 v1, s2, s2, s12
	s_mul_hi_u32 s12, s25, s7
	s_addc_u32 s13, s10, 0
	s_mul_i32 s14, s25, s10
	s_delay_alu instid0(VALU_DEP_1)
	v_sub_co_u32 v4, s18, v1, s25
	s_add_u32 s19, s7, 2
	s_addc_u32 s20, s10, 0
	s_add_i32 s12, s12, s14
	s_cmp_lg_u32 s2, 0
	v_readfirstlane_b32 s2, v4
	s_subb_u32 s3, s3, s12
	s_cmp_lg_u32 s18, 0
	s_subb_u32 s12, s3, 0
	s_delay_alu instid0(VALU_DEP_1) | instskip(SKIP_4) | instid1(SALU_CYCLE_1)
	s_cmp_ge_u32 s2, s25
	s_cselect_b32 s2, -1, 0
	s_cmp_eq_u32 s12, 0
	v_readfirstlane_b32 s12, v1
	s_cselect_b32 s2, s2, -1
	s_cmp_lg_u32 s2, 0
	s_cselect_b32 s2, s19, s11
	s_cselect_b32 s11, s20, s13
	s_cmp_ge_u32 s12, s25
	s_cselect_b32 s12, -1, 0
	s_cmp_eq_u32 s3, 0
	s_cselect_b32 s3, s12, -1
	s_delay_alu instid0(SALU_CYCLE_1) | instskip(SKIP_2) | instid1(SALU_CYCLE_1)
	s_cmp_lg_u32 s3, 0
	s_cselect_b32 s3, s11, s10
	s_cselect_b32 s2, s2, s7
	s_xor_b64 s[2:3], s[2:3], s[8:9]
	s_delay_alu instid0(SALU_CYCLE_1)
	s_sub_u32 s2, s2, s8
	s_subb_u32 s3, s3, s8
	s_cbranch_execnz .LBB91_5
.LBB91_4:
	v_cvt_f32_u32_e32 v1, s25
	s_sub_i32 s3, 0, s25
	s_delay_alu instid0(VALU_DEP_1) | instskip(SKIP_2) | instid1(VALU_DEP_1)
	v_rcp_iflag_f32_e32 v1, v1
	s_waitcnt_depctr 0xfff
	v_mul_f32_e32 v1, 0x4f7ffffe, v1
	v_cvt_u32_f32_e32 v1, v1
	s_delay_alu instid0(VALU_DEP_1) | instskip(NEXT) | instid1(VALU_DEP_1)
	v_readfirstlane_b32 s2, v1
	s_mul_i32 s3, s3, s2
	s_delay_alu instid0(SALU_CYCLE_1) | instskip(NEXT) | instid1(SALU_CYCLE_1)
	s_mul_hi_u32 s3, s2, s3
	s_add_i32 s2, s2, s3
	s_delay_alu instid0(SALU_CYCLE_1) | instskip(NEXT) | instid1(SALU_CYCLE_1)
	s_mul_hi_u32 s2, s6, s2
	s_mul_i32 s3, s2, s25
	s_delay_alu instid0(SALU_CYCLE_1)
	s_sub_i32 s3, s6, s3
	s_add_i32 s6, s2, 1
	s_sub_i32 s7, s3, s25
	s_cmp_ge_u32 s3, s25
	s_cselect_b32 s2, s6, s2
	s_cselect_b32 s3, s7, s3
	s_add_i32 s6, s2, 1
	s_cmp_ge_u32 s3, s25
	s_mov_b32 s3, 0
	s_cselect_b32 s2, s6, s2
.LBB91_5:
	v_mov_b32_e32 v1, 0
	s_add_u32 s2, s2, 1
	s_addc_u32 s3, s3, 0
	s_mul_hi_u32 s6, s24, s2
	s_mul_i32 s3, s24, s3
	v_mad_u64_u32 v[13:14], null, s5, s15, v[0:1]
	s_mul_hi_u32 s4, s4, s5
	s_add_i32 s3, s6, s3
	s_mul_i32 s4, s4, s2
	s_mul_i32 s2, s24, s2
	s_add_i32 s3, s3, s4
	s_mov_b32 s4, exec_lo
	s_lshl_b64 s[2:3], s[2:3], 2
	s_delay_alu instid0(SALU_CYCLE_1)
	v_cmpx_gt_i64_e64 s[2:3], v[13:14]
	s_cbranch_execz .LBB91_78
; %bb.6:
	v_alignbit_b32 v17, v3, v2, 2
	v_mad_u64_u32 v[4:5], null, 0xcd9e8d57, v13, 0
	v_lshrrev_b32_e32 v18, 2, v3
	s_waitcnt vmcnt(0)
	v_dual_mov_b32 v9, v12 :: v_dual_and_b32 v26, 3, v2
	v_mad_u64_u32 v[0:1], null, 0xd2511f53, v17, 0
	v_add_co_u32 v20, null, 0x9e3779b9, v11
	v_xor3_b32 v3, v11, v5, v18
	s_delay_alu instid0(VALU_DEP_4) | instskip(SKIP_2) | instid1(VALU_DEP_4)
	v_add_co_u32 v19, null, 0xbb67ae85, v9
	v_add_co_u32 v21, null, 0x3c6ef372, v11
	v_xor_b32_e32 v1, v1, v12
	v_mad_u64_u32 v[5:6], null, 0xd2511f53, v3, 0
	v_add_co_u32 v22, null, 0x76cf5d0a, v9
	s_delay_alu instid0(VALU_DEP_3) | instskip(SKIP_2) | instid1(VALU_DEP_3)
	v_xor_b32_e32 v1, v1, v14
	v_add_co_u32 v23, null, 0x32370b8f, v9
	v_add_co_u32 v24, null, 0xdaa66d2b, v11
	v_mad_u64_u32 v[7:8], null, 0xcd9e8d57, v1, 0
	v_xor3_b32 v3, v19, v6, v0
	v_add_co_u32 v25, null, 0x78dde6e4, v11
	v_add_co_u32 v27, null, 0xed9eba14, v9
	s_delay_alu instid0(VALU_DEP_3) | instskip(SKIP_3) | instid1(VALU_DEP_3)
	v_mad_u64_u32 v[0:1], null, 0xcd9e8d57, v3, 0
	v_xor3_b32 v6, v20, v8, v4
	v_add_co_u32 v30, null, 0xa9066899, v9
	v_add_co_u32 v31, null, 0x1715609d, v11
	v_mad_u64_u32 v[3:4], null, 0xd2511f53, v6, 0
	v_xor3_b32 v1, v21, v1, v7
	v_add_co_u32 v33, null, 0xb54cda56, v11
	v_add_co_u32 v35, null, 0x646e171e, v9
	s_load_b256 s[4:11], s[0:1], 0x30
	s_delay_alu instid0(VALU_DEP_4) | instskip(SKIP_2) | instid1(VALU_DEP_3)
	v_xor3_b32 v8, v22, v4, v5
	v_mad_u64_u32 v[4:5], null, 0xd2511f53, v1, 0
	v_add_co_u32 v32, null, 0x5384540f, v11
	v_mad_u64_u32 v[6:7], null, 0xcd9e8d57, v8, 0
	v_add_co_u32 v37, null, 0x1fd5c5a3, v9
	s_delay_alu instid0(VALU_DEP_4) | instskip(SKIP_3) | instid1(VALU_DEP_4)
	v_xor3_b32 v3, v23, v5, v3
	v_add_co_u32 v34, null, 0xf1bbcdc8, v11
	v_add_co_u32 v38, null, 0xdb3d7428, v9
	v_xor3_b32 v5, v24, v7, v0
	v_mad_u64_u32 v[0:1], null, 0xcd9e8d57, v3, 0
	s_add_u32 s12, s0, 48
	s_clause 0x1
	s_load_b64 s[14:15], s[0:1], 0xf4
	s_load_b64 s[18:19], s[0:1], 0x138
	v_mad_u64_u32 v[7:8], null, 0xd2511f53, v5, 0
	s_addc_u32 s13, s1, 0
	s_waitcnt lgkmcnt(0)
	s_add_i32 s20, s4, -1
	v_xor3_b32 v3, v25, v1, v6
	s_cmp_gt_u32 s20, 1
	v_dual_mov_b32 v36, v13 :: v_dual_add_nc_u32 v29, 0x96a522ad, v12
	s_delay_alu instid0(VALU_DEP_3) | instskip(NEXT) | instid1(VALU_DEP_3)
	v_xor3_b32 v5, v27, v8, v4
	v_mad_u64_u32 v[1:2], null, 0xd2511f53, v3, 0
	s_cselect_b32 s11, -1, 0
	s_cmp_lg_u32 s4, 0
	s_delay_alu instid0(VALU_DEP_2) | instskip(SKIP_2) | instid1(VALU_DEP_2)
	v_mad_u64_u32 v[3:4], null, 0xcd9e8d57, v5, 0
	s_cselect_b32 s27, -1, 0
	s_add_u32 s0, s0, 0xf4
	v_xor3_b32 v2, v30, v2, v7
	s_addc_u32 s1, s1, 0
	s_min_u32 s21, s20, 15
	s_cmp_gt_u32 s4, 1
	s_delay_alu instid0(VALU_DEP_2) | instskip(SKIP_3) | instid1(VALU_DEP_2)
	v_xor3_b32 v0, v31, v4, v0
	v_mad_u64_u32 v[4:5], null, 0xcd9e8d57, v2, 0
	s_cselect_b32 s4, -1, 0
	s_add_i32 s21, s21, 1
	v_mad_u64_u32 v[6:7], null, 0xd2511f53, v0, 0
	s_lshl_b32 s28, s24, 1
	s_and_b32 s29, s21, 3
	s_delay_alu instid0(VALU_DEP_2) | instskip(SKIP_3) | instid1(VALU_DEP_3)
	v_xor3_b32 v2, v33, v5, v3
	s_cmp_lg_u32 s20, 2
	v_mov_b32_e32 v39, v14
	s_cselect_b32 s30, -1, 0
	v_xor3_b32 v5, v35, v7, v1
	v_mad_u64_u32 v[0:1], null, 0xd2511f53, v2, 0
	s_and_b32 s31, s21, 28
	s_cmp_lg_u32 s29, 0
	s_delay_alu instid0(VALU_DEP_2) | instskip(SKIP_2) | instid1(VALU_DEP_2)
	v_mad_u64_u32 v[2:3], null, 0xcd9e8d57, v5, 0
	s_mov_b32 s26, 0
	s_mul_i32 s33, s24, 3
	v_xor3_b32 v1, v37, v1, v6
	s_cselect_b32 s34, -1, 0
	s_delay_alu instid0(VALU_DEP_2) | instskip(NEXT) | instid1(VALU_DEP_2)
	v_xor3_b32 v3, v32, v3, v4
	v_mad_u64_u32 v[4:5], null, 0xcd9e8d57, v1, 0
	s_delay_alu instid0(VALU_DEP_2) | instskip(NEXT) | instid1(VALU_DEP_2)
	v_mad_u64_u32 v[6:7], null, 0xd2511f53, v3, 0
	v_xor3_b32 v1, v34, v5, v2
	s_delay_alu instid0(VALU_DEP_2) | instskip(NEXT) | instid1(VALU_DEP_2)
	v_xor3_b32 v0, v38, v7, v0
	v_mad_u64_u32 v[7:8], null, 0xd2511f53, v1, 0
	v_add_nc_u32_e32 v28, 0x8ff34781, v11
	s_delay_alu instid0(VALU_DEP_3) | instskip(NEXT) | instid1(VALU_DEP_3)
	v_mad_u64_u32 v[1:2], null, 0xcd9e8d57, v0, 0
	v_mov_b32_e32 v3, v7
	s_delay_alu instid0(VALU_DEP_2)
	v_xor3_b32 v0, v2, v4, v28
	v_xor3_b32 v2, v8, v6, v29
	s_branch .LBB91_9
.LBB91_7:                               ;   in Loop: Header=BB91_9 Depth=1
	v_cvt_f64_u32_e32 v[2:3], v3
	global_store_b64 v1, v[2:3], s[18:19]
.LBB91_8:                               ;   in Loop: Header=BB91_9 Depth=1
	s_or_b32 exec_lo, exec_lo, s35
	v_add_co_u32 v13, vcc_lo, v13, s25
	v_add_co_ci_u32_e32 v14, vcc_lo, 0, v14, vcc_lo
	v_mov_b32_e32 v7, v15
	v_dual_mov_b32 v0, v4 :: v_dual_mov_b32 v1, v5
	s_delay_alu instid0(VALU_DEP_3) | instskip(NEXT) | instid1(VALU_DEP_3)
	v_cmp_le_i64_e32 vcc_lo, s[2:3], v[13:14]
	v_dual_mov_b32 v2, v6 :: v_dual_mov_b32 v3, v7
	s_waitcnt_vscnt null, 0x0
	s_barrier
	buffer_gl0_inv
	s_or_b32 s26, vcc_lo, s26
	s_delay_alu instid0(SALU_CYCLE_1)
	s_and_not1_b32 exec_lo, exec_lo, s26
	s_cbranch_execz .LBB91_78
.LBB91_9:                               ; =>This Loop Header: Depth=1
                                        ;     Child Loop BB91_24 Depth 2
                                        ;     Child Loop BB91_29 Depth 2
	;; [unrolled: 1-line block ×8, first 2 shown]
	v_add_co_u32 v17, vcc_lo, v17, 1
	s_delay_alu instid0(VALU_DEP_1) | instskip(SKIP_2) | instid1(VALU_DEP_1)
	v_cndmask_b32_e64 v4, 0, 1, vcc_lo
	v_add_co_ci_u32_e32 v18, vcc_lo, 0, v18, vcc_lo
	s_mov_b32 s20, exec_lo
	v_cmp_eq_u32_e32 vcc_lo, 0, v18
	s_delay_alu instid0(VALU_DEP_3) | instskip(NEXT) | instid1(VALU_DEP_1)
	v_cndmask_b32_e32 v4, 0, v4, vcc_lo
	v_add_nc_u32_e32 v36, v4, v36
	s_delay_alu instid0(VALU_DEP_1) | instskip(SKIP_2) | instid1(VALU_DEP_2)
	v_cmp_eq_u32_e32 vcc_lo, 0, v36
	v_mad_u64_u32 v[6:7], null, 0xcd9e8d57, v36, 0
	v_cndmask_b32_e32 v4, 0, v4, vcc_lo
	v_xor3_b32 v9, v7, v11, v18
	s_delay_alu instid0(VALU_DEP_2) | instskip(SKIP_1) | instid1(VALU_DEP_3)
	v_add_nc_u32_e32 v39, v4, v39
	v_mad_u64_u32 v[4:5], null, 0xd2511f53, v17, 0
	v_mad_u64_u32 v[7:8], null, 0xd2511f53, v9, 0
	s_delay_alu instid0(VALU_DEP_2) | instskip(NEXT) | instid1(VALU_DEP_2)
	v_xor_b32_e32 v5, v5, v12
	v_xor3_b32 v8, v19, v8, v4
	s_delay_alu instid0(VALU_DEP_2) | instskip(NEXT) | instid1(VALU_DEP_1)
	v_xor_b32_e32 v5, v39, v5
	v_mad_u64_u32 v[9:10], null, 0xcd9e8d57, v5, 0
	s_delay_alu instid0(VALU_DEP_3) | instskip(NEXT) | instid1(VALU_DEP_2)
	v_mad_u64_u32 v[4:5], null, 0xcd9e8d57, v8, 0
	v_xor3_b32 v6, v20, v10, v6
	s_delay_alu instid0(VALU_DEP_2) | instskip(NEXT) | instid1(VALU_DEP_2)
	v_xor3_b32 v8, v21, v5, v9
	v_mad_u64_u32 v[15:16], null, 0xd2511f53, v6, 0
	s_delay_alu instid0(VALU_DEP_2) | instskip(NEXT) | instid1(VALU_DEP_2)
	v_mad_u64_u32 v[5:6], null, 0xd2511f53, v8, 0
	v_xor3_b32 v9, v22, v16, v7
	s_delay_alu instid0(VALU_DEP_2) | instskip(NEXT) | instid1(VALU_DEP_2)
	v_xor3_b32 v6, v23, v6, v15
	v_mad_u64_u32 v[7:8], null, 0xcd9e8d57, v9, 0
	s_delay_alu instid0(VALU_DEP_1) | instskip(NEXT) | instid1(VALU_DEP_3)
	v_xor3_b32 v4, v24, v8, v4
	v_mad_u64_u32 v[8:9], null, 0xcd9e8d57, v6, 0
	s_delay_alu instid0(VALU_DEP_2) | instskip(NEXT) | instid1(VALU_DEP_2)
	v_mad_u64_u32 v[15:16], null, 0xd2511f53, v4, 0
	v_xor3_b32 v6, v25, v9, v7
	s_delay_alu instid0(VALU_DEP_2) | instskip(NEXT) | instid1(VALU_DEP_2)
	v_xor3_b32 v9, v27, v16, v5
	v_mad_u64_u32 v[4:5], null, 0xd2511f53, v6, 0
	s_delay_alu instid0(VALU_DEP_2) | instskip(NEXT) | instid1(VALU_DEP_2)
	v_mad_u64_u32 v[6:7], null, 0xcd9e8d57, v9, 0
	v_xor3_b32 v5, v30, v5, v15
	s_delay_alu instid0(VALU_DEP_2) | instskip(NEXT) | instid1(VALU_DEP_2)
	;; [unrolled: 6-line block ×6, first 2 shown]
	v_xor3_b32 v4, v6, v7, v28
	v_mov_b32_e32 v6, v10
	v_cmpx_lt_i32_e32 1, v26
	s_xor_b32 s20, exec_lo, s20
	s_cbranch_execnz .LBB91_12
; %bb.10:                               ;   in Loop: Header=BB91_9 Depth=1
	s_and_not1_saveexec_b32 s20, s20
	s_cbranch_execnz .LBB91_17
.LBB91_11:                              ;   in Loop: Header=BB91_9 Depth=1
	s_or_b32 exec_lo, exec_lo, s20
	s_delay_alu instid0(SALU_CYCLE_1)
	s_mov_b32 s35, exec_lo
	v_cmpx_gt_i64_e64 s[16:17], v[13:14]
	s_cbranch_execnz .LBB91_20
	s_branch .LBB91_34
.LBB91_12:                              ;   in Loop: Header=BB91_9 Depth=1
	s_mov_b32 s21, exec_lo
	v_cmpx_lt_i32_e32 2, v26
	s_xor_b32 s21, exec_lo, s21
; %bb.13:                               ;   in Loop: Header=BB91_9 Depth=1
	v_dual_mov_b32 v7, v3 :: v_dual_mov_b32 v8, v4
	v_mov_b32_e32 v9, v5
	s_delay_alu instid0(VALU_DEP_2) | instskip(NEXT) | instid1(VALU_DEP_2)
	v_dual_mov_b32 v0, v7 :: v_dual_mov_b32 v1, v8
	v_dual_mov_b32 v2, v9 :: v_dual_mov_b32 v3, v10
; %bb.14:                               ;   in Loop: Header=BB91_9 Depth=1
	s_and_not1_saveexec_b32 s21, s21
; %bb.15:                               ;   in Loop: Header=BB91_9 Depth=1
	s_delay_alu instid0(VALU_DEP_1)
	v_dual_mov_b32 v0, v2 :: v_dual_mov_b32 v1, v3
	v_dual_mov_b32 v2, v4 :: v_dual_mov_b32 v3, v5
; %bb.16:                               ;   in Loop: Header=BB91_9 Depth=1
	s_or_b32 exec_lo, exec_lo, s21
	s_and_not1_saveexec_b32 s20, s20
	s_cbranch_execz .LBB91_11
.LBB91_17:                              ;   in Loop: Header=BB91_9 Depth=1
	s_mov_b32 s21, exec_lo
	v_cmpx_eq_u32_e32 1, v26
; %bb.18:                               ;   in Loop: Header=BB91_9 Depth=1
	v_dual_mov_b32 v0, v1 :: v_dual_mov_b32 v1, v2
	v_dual_mov_b32 v2, v3 :: v_dual_mov_b32 v3, v4
; %bb.19:                               ;   in Loop: Header=BB91_9 Depth=1
	s_or_b32 exec_lo, exec_lo, s21
	s_delay_alu instid0(SALU_CYCLE_1) | instskip(NEXT) | instid1(SALU_CYCLE_1)
	s_or_b32 exec_lo, exec_lo, s20
	s_mov_b32 s35, exec_lo
	v_cmpx_gt_i64_e64 s[16:17], v[13:14]
	s_cbranch_execz .LBB91_34
.LBB91_20:                              ;   in Loop: Header=BB91_9 Depth=1
	s_and_not1_b32 vcc_lo, exec_lo, s11
	s_cbranch_vccnz .LBB91_26
; %bb.21:                               ;   in Loop: Header=BB91_9 Depth=1
	v_mov_b32_e32 v7, 0
	s_and_not1_b32 vcc_lo, exec_lo, s27
	s_cbranch_vccnz .LBB91_30
; %bb.22:                               ;   in Loop: Header=BB91_9 Depth=1
	s_and_not1_b32 vcc_lo, exec_lo, s30
	s_mov_b32 s20, 0
	s_cbranch_vccnz .LBB91_27
; %bb.23:                               ;   in Loop: Header=BB91_9 Depth=1
	v_dual_mov_b32 v7, 0 :: v_dual_mov_b32 v8, v13
	s_mov_b32 s36, 0
	s_mov_b64 s[20:21], s[12:13]
	s_mov_b64 s[22:23], s[0:1]
.LBB91_24:                              ;   Parent Loop BB91_9 Depth=1
                                        ; =>  This Inner Loop Header: Depth=2
	s_clause 0x1
	s_load_b256 s[40:47], s[20:21], 0x4
	s_load_b128 s[48:51], s[20:21], 0x24
	s_load_b128 s[52:55], s[22:23], 0x0
	s_add_u32 s20, s20, 48
	s_addc_u32 s21, s21, 0
	s_add_i32 s36, s36, 4
	s_add_u32 s22, s22, 16
	s_addc_u32 s23, s23, 0
	s_cmp_lg_u32 s31, s36
	s_waitcnt lgkmcnt(0)
	v_mul_hi_u32 v9, s41, v8
	s_delay_alu instid0(VALU_DEP_1) | instskip(NEXT) | instid1(VALU_DEP_1)
	v_add_nc_u32_e32 v9, v8, v9
	v_lshrrev_b32_e32 v9, s42, v9
	s_delay_alu instid0(VALU_DEP_1) | instskip(SKIP_1) | instid1(VALU_DEP_2)
	v_mul_hi_u32 v10, s44, v9
	v_mul_lo_u32 v41, v9, s40
	v_add_nc_u32_e32 v10, v9, v10
	s_delay_alu instid0(VALU_DEP_2) | instskip(NEXT) | instid1(VALU_DEP_2)
	v_sub_nc_u32_e32 v41, v8, v41
	v_lshrrev_b32_e32 v10, s45, v10
	s_delay_alu instid0(VALU_DEP_2) | instskip(NEXT) | instid1(VALU_DEP_2)
	v_mul_lo_u32 v41, v41, s52
	v_mul_hi_u32 v16, s47, v10
	v_mul_lo_u32 v42, v10, s43
	s_delay_alu instid0(VALU_DEP_2) | instskip(NEXT) | instid1(VALU_DEP_2)
	v_add_nc_u32_e32 v16, v10, v16
	v_sub_nc_u32_e32 v9, v9, v42
	s_delay_alu instid0(VALU_DEP_2) | instskip(NEXT) | instid1(VALU_DEP_2)
	v_lshrrev_b32_e32 v16, s48, v16
	v_mul_lo_u32 v9, v9, s53
	s_delay_alu instid0(VALU_DEP_2) | instskip(NEXT) | instid1(VALU_DEP_2)
	v_mul_hi_u32 v40, s50, v16
	v_add3_u32 v7, v41, v7, v9
	s_delay_alu instid0(VALU_DEP_2) | instskip(NEXT) | instid1(VALU_DEP_1)
	v_add_nc_u32_e32 v40, v16, v40
	v_lshrrev_b32_e32 v8, s51, v40
	v_mul_lo_u32 v40, v16, s46
	s_delay_alu instid0(VALU_DEP_2) | instskip(NEXT) | instid1(VALU_DEP_2)
	v_mul_lo_u32 v43, v8, s49
	v_sub_nc_u32_e32 v10, v10, v40
	s_delay_alu instid0(VALU_DEP_2) | instskip(NEXT) | instid1(VALU_DEP_2)
	v_sub_nc_u32_e32 v16, v16, v43
	v_mul_lo_u32 v10, v10, s54
	s_delay_alu instid0(VALU_DEP_2) | instskip(NEXT) | instid1(VALU_DEP_1)
	v_mul_lo_u32 v16, v16, s55
	v_add3_u32 v7, v10, v7, v16
	s_cbranch_scc1 .LBB91_24
; %bb.25:                               ;   in Loop: Header=BB91_9 Depth=1
	s_mov_b32 s20, s31
	s_and_not1_b32 vcc_lo, exec_lo, s34
	s_cbranch_vccz .LBB91_28
	s_branch .LBB91_30
.LBB91_26:                              ;   in Loop: Header=BB91_9 Depth=1
                                        ; implicit-def: $vgpr7
	s_branch .LBB91_31
.LBB91_27:                              ;   in Loop: Header=BB91_9 Depth=1
	v_mov_b32_e32 v8, v13
	s_and_not1_b32 vcc_lo, exec_lo, s34
	s_cbranch_vccnz .LBB91_30
.LBB91_28:                              ;   in Loop: Header=BB91_9 Depth=1
	s_lshl_b32 s21, s20, 2
	s_mul_i32 s22, s20, 12
	s_add_u32 s20, s0, s21
	s_addc_u32 s21, s1, 0
	s_add_u32 s22, s12, s22
	s_addc_u32 s23, s13, 0
	s_mov_b32 s36, s29
	.p2align	6
.LBB91_29:                              ;   Parent Loop BB91_9 Depth=1
                                        ; =>  This Inner Loop Header: Depth=2
	s_clause 0x1
	s_load_b64 s[38:39], s[22:23], 0x4
	s_load_b32 s37, s[22:23], 0xc
	s_add_u32 s22, s22, 12
	s_addc_u32 s23, s23, 0
	s_waitcnt lgkmcnt(0)
	v_mul_hi_u32 v9, s39, v8
	s_load_b32 s39, s[20:21], 0x0
	s_add_u32 s20, s20, 4
	s_addc_u32 s21, s21, 0
	s_add_i32 s36, s36, -1
	s_delay_alu instid0(SALU_CYCLE_1) | instskip(NEXT) | instid1(VALU_DEP_1)
	s_cmp_lg_u32 s36, 0
	v_add_nc_u32_e32 v9, v8, v9
	s_delay_alu instid0(VALU_DEP_1) | instskip(NEXT) | instid1(VALU_DEP_1)
	v_lshrrev_b32_e32 v16, s37, v9
	v_mul_lo_u32 v9, v16, s38
	s_delay_alu instid0(VALU_DEP_1) | instskip(SKIP_1) | instid1(VALU_DEP_1)
	v_sub_nc_u32_e32 v8, v8, v9
	s_waitcnt lgkmcnt(0)
	v_mad_u64_u32 v[9:10], null, v8, s39, v[7:8]
	s_delay_alu instid0(VALU_DEP_1)
	v_dual_mov_b32 v8, v16 :: v_dual_mov_b32 v7, v9
	s_cbranch_scc1 .LBB91_29
.LBB91_30:                              ;   in Loop: Header=BB91_9 Depth=1
	s_cbranch_execnz .LBB91_33
.LBB91_31:                              ;   in Loop: Header=BB91_9 Depth=1
	v_mul_hi_u32 v7, v13, s6
	s_and_not1_b32 vcc_lo, exec_lo, s4
	s_delay_alu instid0(VALU_DEP_1) | instskip(NEXT) | instid1(VALU_DEP_1)
	v_add_nc_u32_e32 v7, v7, v13
	v_lshrrev_b32_e32 v8, s7, v7
	s_delay_alu instid0(VALU_DEP_1) | instskip(NEXT) | instid1(VALU_DEP_1)
	v_mul_lo_u32 v7, v8, s5
	v_sub_nc_u32_e32 v7, v13, v7
	s_delay_alu instid0(VALU_DEP_1)
	v_mul_lo_u32 v7, v7, s14
	s_cbranch_vccnz .LBB91_33
; %bb.32:                               ;   in Loop: Header=BB91_9 Depth=1
	v_mul_hi_u32 v9, s9, v8
	s_delay_alu instid0(VALU_DEP_1) | instskip(NEXT) | instid1(VALU_DEP_1)
	v_add_nc_u32_e32 v9, v8, v9
	v_lshrrev_b32_e32 v9, s10, v9
	s_delay_alu instid0(VALU_DEP_1) | instskip(NEXT) | instid1(VALU_DEP_1)
	v_mul_lo_u32 v9, v9, s8
	v_sub_nc_u32_e32 v10, v8, v9
	s_delay_alu instid0(VALU_DEP_1) | instskip(NEXT) | instid1(VALU_DEP_1)
	v_mad_u64_u32 v[8:9], null, v10, s15, v[7:8]
	v_mov_b32_e32 v7, v8
.LBB91_33:                              ;   in Loop: Header=BB91_9 Depth=1
	v_cvt_f64_u32_e32 v[8:9], v0
	global_store_b64 v7, v[8:9], s[18:19]
.LBB91_34:                              ;   in Loop: Header=BB91_9 Depth=1
	s_or_b32 exec_lo, exec_lo, s35
	v_add_co_u32 v7, vcc_lo, v13, s24
	v_add_co_ci_u32_e32 v8, vcc_lo, 0, v14, vcc_lo
	s_mov_b32 s35, exec_lo
	s_delay_alu instid0(VALU_DEP_1)
	v_cmpx_gt_i64_e64 s[16:17], v[7:8]
	s_cbranch_execz .LBB91_49
; %bb.35:                               ;   in Loop: Header=BB91_9 Depth=1
	s_and_not1_b32 vcc_lo, exec_lo, s11
	s_cbranch_vccnz .LBB91_41
; %bb.36:                               ;   in Loop: Header=BB91_9 Depth=1
	v_mov_b32_e32 v0, 0
	s_and_not1_b32 vcc_lo, exec_lo, s27
	s_cbranch_vccnz .LBB91_45
; %bb.37:                               ;   in Loop: Header=BB91_9 Depth=1
	s_and_not1_b32 vcc_lo, exec_lo, s30
	s_mov_b32 s20, 0
	s_cbranch_vccnz .LBB91_42
; %bb.38:                               ;   in Loop: Header=BB91_9 Depth=1
	v_mov_b32_e32 v0, 0
	v_mov_b32_e32 v8, v7
	s_mov_b32 s36, 0
	s_mov_b64 s[20:21], s[12:13]
	s_mov_b64 s[22:23], s[0:1]
.LBB91_39:                              ;   Parent Loop BB91_9 Depth=1
                                        ; =>  This Inner Loop Header: Depth=2
	s_clause 0x1
	s_load_b256 s[40:47], s[20:21], 0x4
	s_load_b128 s[48:51], s[20:21], 0x24
	s_load_b128 s[52:55], s[22:23], 0x0
	s_add_u32 s20, s20, 48
	s_addc_u32 s21, s21, 0
	s_add_i32 s36, s36, 4
	s_add_u32 s22, s22, 16
	s_addc_u32 s23, s23, 0
	s_cmp_eq_u32 s31, s36
	s_waitcnt lgkmcnt(0)
	v_mul_hi_u32 v9, s41, v8
	s_delay_alu instid0(VALU_DEP_1) | instskip(NEXT) | instid1(VALU_DEP_1)
	v_add_nc_u32_e32 v9, v8, v9
	v_lshrrev_b32_e32 v9, s42, v9
	s_delay_alu instid0(VALU_DEP_1) | instskip(SKIP_1) | instid1(VALU_DEP_2)
	v_mul_hi_u32 v10, s44, v9
	v_mul_lo_u32 v41, v9, s40
	v_add_nc_u32_e32 v10, v9, v10
	s_delay_alu instid0(VALU_DEP_2) | instskip(NEXT) | instid1(VALU_DEP_2)
	v_sub_nc_u32_e32 v41, v8, v41
	v_lshrrev_b32_e32 v10, s45, v10
	s_delay_alu instid0(VALU_DEP_2) | instskip(NEXT) | instid1(VALU_DEP_2)
	v_mul_lo_u32 v41, v41, s52
	v_mul_hi_u32 v16, s47, v10
	v_mul_lo_u32 v42, v10, s43
	s_delay_alu instid0(VALU_DEP_2) | instskip(NEXT) | instid1(VALU_DEP_2)
	v_add_nc_u32_e32 v16, v10, v16
	v_sub_nc_u32_e32 v9, v9, v42
	s_delay_alu instid0(VALU_DEP_2) | instskip(NEXT) | instid1(VALU_DEP_2)
	v_lshrrev_b32_e32 v16, s48, v16
	v_mul_lo_u32 v9, v9, s53
	s_delay_alu instid0(VALU_DEP_2) | instskip(NEXT) | instid1(VALU_DEP_2)
	v_mul_hi_u32 v40, s50, v16
	v_add3_u32 v0, v41, v0, v9
	s_delay_alu instid0(VALU_DEP_2) | instskip(NEXT) | instid1(VALU_DEP_1)
	v_add_nc_u32_e32 v40, v16, v40
	v_lshrrev_b32_e32 v8, s51, v40
	v_mul_lo_u32 v40, v16, s46
	s_delay_alu instid0(VALU_DEP_2) | instskip(NEXT) | instid1(VALU_DEP_2)
	v_mul_lo_u32 v43, v8, s49
	v_sub_nc_u32_e32 v10, v10, v40
	s_delay_alu instid0(VALU_DEP_2) | instskip(NEXT) | instid1(VALU_DEP_2)
	v_sub_nc_u32_e32 v16, v16, v43
	v_mul_lo_u32 v10, v10, s54
	s_delay_alu instid0(VALU_DEP_2) | instskip(NEXT) | instid1(VALU_DEP_1)
	v_mul_lo_u32 v16, v16, s55
	v_add3_u32 v0, v10, v0, v16
	s_cbranch_scc0 .LBB91_39
; %bb.40:                               ;   in Loop: Header=BB91_9 Depth=1
	s_mov_b32 s20, s31
	s_and_not1_b32 vcc_lo, exec_lo, s34
	s_cbranch_vccz .LBB91_43
	s_branch .LBB91_45
.LBB91_41:                              ;   in Loop: Header=BB91_9 Depth=1
                                        ; implicit-def: $vgpr0
	s_branch .LBB91_46
.LBB91_42:                              ;   in Loop: Header=BB91_9 Depth=1
	v_mov_b32_e32 v8, v7
	s_and_not1_b32 vcc_lo, exec_lo, s34
	s_cbranch_vccnz .LBB91_45
.LBB91_43:                              ;   in Loop: Header=BB91_9 Depth=1
	s_lshl_b32 s21, s20, 2
	s_mul_i32 s22, s20, 12
	s_add_u32 s20, s0, s21
	s_addc_u32 s21, s1, 0
	s_add_u32 s22, s12, s22
	s_addc_u32 s23, s13, 0
	s_mov_b32 s36, s29
	.p2align	6
.LBB91_44:                              ;   Parent Loop BB91_9 Depth=1
                                        ; =>  This Inner Loop Header: Depth=2
	s_clause 0x1
	s_load_b64 s[38:39], s[22:23], 0x4
	s_load_b32 s37, s[22:23], 0xc
	s_add_u32 s22, s22, 12
	s_addc_u32 s23, s23, 0
	s_waitcnt lgkmcnt(0)
	v_mul_hi_u32 v9, s39, v8
	s_load_b32 s39, s[20:21], 0x0
	s_add_u32 s20, s20, 4
	s_addc_u32 s21, s21, 0
	s_add_i32 s36, s36, -1
	s_delay_alu instid0(SALU_CYCLE_1) | instskip(NEXT) | instid1(VALU_DEP_1)
	s_cmp_lg_u32 s36, 0
	v_add_nc_u32_e32 v9, v8, v9
	s_delay_alu instid0(VALU_DEP_1) | instskip(NEXT) | instid1(VALU_DEP_1)
	v_lshrrev_b32_e32 v16, s37, v9
	v_mul_lo_u32 v9, v16, s38
	s_delay_alu instid0(VALU_DEP_1) | instskip(SKIP_1) | instid1(VALU_DEP_1)
	v_sub_nc_u32_e32 v8, v8, v9
	s_waitcnt lgkmcnt(0)
	v_mad_u64_u32 v[9:10], null, v8, s39, v[0:1]
	v_mov_b32_e32 v8, v16
	s_delay_alu instid0(VALU_DEP_2)
	v_mov_b32_e32 v0, v9
	s_cbranch_scc1 .LBB91_44
.LBB91_45:                              ;   in Loop: Header=BB91_9 Depth=1
	s_cbranch_execnz .LBB91_48
.LBB91_46:                              ;   in Loop: Header=BB91_9 Depth=1
	v_mul_hi_u32 v0, v7, s6
	s_and_not1_b32 vcc_lo, exec_lo, s4
	s_delay_alu instid0(VALU_DEP_1) | instskip(NEXT) | instid1(VALU_DEP_1)
	v_add_nc_u32_e32 v0, v0, v7
	v_lshrrev_b32_e32 v8, s7, v0
	s_delay_alu instid0(VALU_DEP_1) | instskip(NEXT) | instid1(VALU_DEP_1)
	v_mul_lo_u32 v0, v8, s5
	v_sub_nc_u32_e32 v0, v7, v0
	s_delay_alu instid0(VALU_DEP_1)
	v_mul_lo_u32 v0, v0, s14
	s_cbranch_vccnz .LBB91_48
; %bb.47:                               ;   in Loop: Header=BB91_9 Depth=1
	v_mul_hi_u32 v7, s9, v8
	s_delay_alu instid0(VALU_DEP_1) | instskip(NEXT) | instid1(VALU_DEP_1)
	v_add_nc_u32_e32 v7, v8, v7
	v_lshrrev_b32_e32 v7, s10, v7
	s_delay_alu instid0(VALU_DEP_1) | instskip(NEXT) | instid1(VALU_DEP_1)
	v_mul_lo_u32 v7, v7, s8
	v_sub_nc_u32_e32 v9, v8, v7
	s_delay_alu instid0(VALU_DEP_1) | instskip(NEXT) | instid1(VALU_DEP_1)
	v_mad_u64_u32 v[7:8], null, v9, s15, v[0:1]
	v_mov_b32_e32 v0, v7
.LBB91_48:                              ;   in Loop: Header=BB91_9 Depth=1
	v_cvt_f64_u32_e32 v[7:8], v1
	global_store_b64 v0, v[7:8], s[18:19]
.LBB91_49:                              ;   in Loop: Header=BB91_9 Depth=1
	s_or_b32 exec_lo, exec_lo, s35
	v_add_co_u32 v0, vcc_lo, v13, s28
	v_add_co_ci_u32_e32 v1, vcc_lo, 0, v14, vcc_lo
	s_mov_b32 s35, exec_lo
	s_delay_alu instid0(VALU_DEP_1)
	v_cmpx_gt_i64_e64 s[16:17], v[0:1]
	s_cbranch_execz .LBB91_64
; %bb.50:                               ;   in Loop: Header=BB91_9 Depth=1
	s_and_not1_b32 vcc_lo, exec_lo, s11
	s_cbranch_vccnz .LBB91_56
; %bb.51:                               ;   in Loop: Header=BB91_9 Depth=1
	v_mov_b32_e32 v1, 0
	s_and_not1_b32 vcc_lo, exec_lo, s27
	s_cbranch_vccnz .LBB91_60
; %bb.52:                               ;   in Loop: Header=BB91_9 Depth=1
	s_and_not1_b32 vcc_lo, exec_lo, s30
	s_mov_b32 s20, 0
	s_cbranch_vccnz .LBB91_57
; %bb.53:                               ;   in Loop: Header=BB91_9 Depth=1
	v_mov_b32_e32 v1, 0
	v_mov_b32_e32 v7, v0
	s_mov_b32 s36, 0
	s_mov_b64 s[20:21], s[12:13]
	s_mov_b64 s[22:23], s[0:1]
.LBB91_54:                              ;   Parent Loop BB91_9 Depth=1
                                        ; =>  This Inner Loop Header: Depth=2
	s_clause 0x1
	s_load_b256 s[40:47], s[20:21], 0x4
	s_load_b128 s[48:51], s[20:21], 0x24
	s_load_b128 s[52:55], s[22:23], 0x0
	s_add_u32 s20, s20, 48
	s_addc_u32 s21, s21, 0
	s_add_i32 s36, s36, 4
	s_add_u32 s22, s22, 16
	s_addc_u32 s23, s23, 0
	s_cmp_eq_u32 s31, s36
	s_waitcnt lgkmcnt(0)
	v_mul_hi_u32 v8, s41, v7
	s_delay_alu instid0(VALU_DEP_1) | instskip(NEXT) | instid1(VALU_DEP_1)
	v_add_nc_u32_e32 v8, v7, v8
	v_lshrrev_b32_e32 v8, s42, v8
	s_delay_alu instid0(VALU_DEP_1) | instskip(SKIP_1) | instid1(VALU_DEP_2)
	v_mul_hi_u32 v9, s44, v8
	v_mul_lo_u32 v40, v8, s40
	v_add_nc_u32_e32 v9, v8, v9
	s_delay_alu instid0(VALU_DEP_2) | instskip(NEXT) | instid1(VALU_DEP_2)
	v_sub_nc_u32_e32 v40, v7, v40
	v_lshrrev_b32_e32 v9, s45, v9
	s_delay_alu instid0(VALU_DEP_2) | instskip(NEXT) | instid1(VALU_DEP_2)
	v_mul_lo_u32 v40, v40, s52
	v_mul_hi_u32 v10, s47, v9
	v_mul_lo_u32 v41, v9, s43
	s_delay_alu instid0(VALU_DEP_2) | instskip(NEXT) | instid1(VALU_DEP_2)
	v_add_nc_u32_e32 v10, v9, v10
	v_sub_nc_u32_e32 v8, v8, v41
	s_delay_alu instid0(VALU_DEP_2) | instskip(NEXT) | instid1(VALU_DEP_2)
	v_lshrrev_b32_e32 v10, s48, v10
	v_mul_lo_u32 v8, v8, s53
	s_delay_alu instid0(VALU_DEP_2) | instskip(NEXT) | instid1(VALU_DEP_2)
	v_mul_hi_u32 v16, s50, v10
	v_add3_u32 v1, v40, v1, v8
	s_delay_alu instid0(VALU_DEP_2) | instskip(NEXT) | instid1(VALU_DEP_1)
	v_add_nc_u32_e32 v16, v10, v16
	v_lshrrev_b32_e32 v7, s51, v16
	v_mul_lo_u32 v16, v10, s46
	s_delay_alu instid0(VALU_DEP_2) | instskip(NEXT) | instid1(VALU_DEP_2)
	v_mul_lo_u32 v42, v7, s49
	v_sub_nc_u32_e32 v9, v9, v16
	s_delay_alu instid0(VALU_DEP_2) | instskip(NEXT) | instid1(VALU_DEP_2)
	v_sub_nc_u32_e32 v10, v10, v42
	v_mul_lo_u32 v9, v9, s54
	s_delay_alu instid0(VALU_DEP_2) | instskip(NEXT) | instid1(VALU_DEP_1)
	v_mul_lo_u32 v10, v10, s55
	v_add3_u32 v1, v9, v1, v10
	s_cbranch_scc0 .LBB91_54
; %bb.55:                               ;   in Loop: Header=BB91_9 Depth=1
	s_mov_b32 s20, s31
	s_and_not1_b32 vcc_lo, exec_lo, s34
	s_cbranch_vccz .LBB91_58
	s_branch .LBB91_60
.LBB91_56:                              ;   in Loop: Header=BB91_9 Depth=1
                                        ; implicit-def: $vgpr1
	s_branch .LBB91_61
.LBB91_57:                              ;   in Loop: Header=BB91_9 Depth=1
	v_mov_b32_e32 v7, v0
	s_and_not1_b32 vcc_lo, exec_lo, s34
	s_cbranch_vccnz .LBB91_60
.LBB91_58:                              ;   in Loop: Header=BB91_9 Depth=1
	s_lshl_b32 s21, s20, 2
	s_mul_i32 s22, s20, 12
	s_add_u32 s20, s0, s21
	s_addc_u32 s21, s1, 0
	s_add_u32 s22, s12, s22
	s_addc_u32 s23, s13, 0
	s_mov_b32 s36, s29
	.p2align	6
.LBB91_59:                              ;   Parent Loop BB91_9 Depth=1
                                        ; =>  This Inner Loop Header: Depth=2
	s_clause 0x1
	s_load_b64 s[38:39], s[22:23], 0x4
	s_load_b32 s37, s[22:23], 0xc
	s_add_u32 s22, s22, 12
	s_addc_u32 s23, s23, 0
	s_waitcnt lgkmcnt(0)
	v_mul_hi_u32 v8, s39, v7
	s_load_b32 s39, s[20:21], 0x0
	s_add_u32 s20, s20, 4
	s_addc_u32 s21, s21, 0
	s_add_i32 s36, s36, -1
	s_delay_alu instid0(SALU_CYCLE_1) | instskip(NEXT) | instid1(VALU_DEP_1)
	s_cmp_lg_u32 s36, 0
	v_add_nc_u32_e32 v8, v7, v8
	s_delay_alu instid0(VALU_DEP_1) | instskip(NEXT) | instid1(VALU_DEP_1)
	v_lshrrev_b32_e32 v10, s37, v8
	v_mul_lo_u32 v8, v10, s38
	s_delay_alu instid0(VALU_DEP_1) | instskip(SKIP_1) | instid1(VALU_DEP_1)
	v_sub_nc_u32_e32 v7, v7, v8
	s_waitcnt lgkmcnt(0)
	v_mad_u64_u32 v[8:9], null, v7, s39, v[1:2]
	v_mov_b32_e32 v7, v10
	s_delay_alu instid0(VALU_DEP_2)
	v_mov_b32_e32 v1, v8
	s_cbranch_scc1 .LBB91_59
.LBB91_60:                              ;   in Loop: Header=BB91_9 Depth=1
	s_cbranch_execnz .LBB91_63
.LBB91_61:                              ;   in Loop: Header=BB91_9 Depth=1
	v_mul_hi_u32 v1, v0, s6
	s_and_not1_b32 vcc_lo, exec_lo, s4
	s_delay_alu instid0(VALU_DEP_1) | instskip(NEXT) | instid1(VALU_DEP_1)
	v_add_nc_u32_e32 v1, v1, v0
	v_lshrrev_b32_e32 v7, s7, v1
	s_delay_alu instid0(VALU_DEP_1) | instskip(NEXT) | instid1(VALU_DEP_1)
	v_mul_lo_u32 v1, v7, s5
	v_sub_nc_u32_e32 v0, v0, v1
	s_delay_alu instid0(VALU_DEP_1)
	v_mul_lo_u32 v1, v0, s14
	s_cbranch_vccnz .LBB91_63
; %bb.62:                               ;   in Loop: Header=BB91_9 Depth=1
	v_mul_hi_u32 v0, s9, v7
	s_delay_alu instid0(VALU_DEP_1) | instskip(NEXT) | instid1(VALU_DEP_1)
	v_add_nc_u32_e32 v0, v7, v0
	v_lshrrev_b32_e32 v0, s10, v0
	s_delay_alu instid0(VALU_DEP_1) | instskip(NEXT) | instid1(VALU_DEP_1)
	v_mul_lo_u32 v0, v0, s8
	v_sub_nc_u32_e32 v0, v7, v0
	s_delay_alu instid0(VALU_DEP_1) | instskip(NEXT) | instid1(VALU_DEP_1)
	v_mad_u64_u32 v[7:8], null, v0, s15, v[1:2]
	v_mov_b32_e32 v1, v7
.LBB91_63:                              ;   in Loop: Header=BB91_9 Depth=1
	v_cvt_f64_u32_e32 v[7:8], v2
	global_store_b64 v1, v[7:8], s[18:19]
.LBB91_64:                              ;   in Loop: Header=BB91_9 Depth=1
	s_or_b32 exec_lo, exec_lo, s35
	v_add_co_u32 v0, vcc_lo, v13, s33
	v_add_co_ci_u32_e32 v1, vcc_lo, 0, v14, vcc_lo
	s_mov_b32 s35, exec_lo
	s_delay_alu instid0(VALU_DEP_1)
	v_cmpx_gt_i64_e64 s[16:17], v[0:1]
	s_cbranch_execz .LBB91_8
; %bb.65:                               ;   in Loop: Header=BB91_9 Depth=1
	s_and_not1_b32 vcc_lo, exec_lo, s11
	s_cbranch_vccnz .LBB91_71
; %bb.66:                               ;   in Loop: Header=BB91_9 Depth=1
	v_mov_b32_e32 v1, 0
	s_and_not1_b32 vcc_lo, exec_lo, s27
	s_cbranch_vccnz .LBB91_75
; %bb.67:                               ;   in Loop: Header=BB91_9 Depth=1
	s_and_not1_b32 vcc_lo, exec_lo, s30
	s_mov_b32 s20, 0
	s_cbranch_vccnz .LBB91_72
; %bb.68:                               ;   in Loop: Header=BB91_9 Depth=1
	v_dual_mov_b32 v1, 0 :: v_dual_mov_b32 v2, v0
	s_mov_b32 s36, 0
	s_mov_b64 s[20:21], s[12:13]
	s_mov_b64 s[22:23], s[0:1]
.LBB91_69:                              ;   Parent Loop BB91_9 Depth=1
                                        ; =>  This Inner Loop Header: Depth=2
	s_clause 0x1
	s_load_b256 s[40:47], s[20:21], 0x4
	s_load_b128 s[48:51], s[20:21], 0x24
	s_load_b128 s[52:55], s[22:23], 0x0
	s_add_u32 s20, s20, 48
	s_addc_u32 s21, s21, 0
	s_add_i32 s36, s36, 4
	s_add_u32 s22, s22, 16
	s_addc_u32 s23, s23, 0
	s_cmp_eq_u32 s31, s36
	s_waitcnt lgkmcnt(0)
	v_mul_hi_u32 v7, s41, v2
	s_delay_alu instid0(VALU_DEP_1) | instskip(NEXT) | instid1(VALU_DEP_1)
	v_add_nc_u32_e32 v7, v2, v7
	v_lshrrev_b32_e32 v7, s42, v7
	s_delay_alu instid0(VALU_DEP_1) | instskip(SKIP_1) | instid1(VALU_DEP_2)
	v_mul_hi_u32 v8, s44, v7
	v_mul_lo_u32 v16, v7, s40
	v_add_nc_u32_e32 v8, v7, v8
	s_delay_alu instid0(VALU_DEP_2) | instskip(NEXT) | instid1(VALU_DEP_2)
	v_sub_nc_u32_e32 v16, v2, v16
	v_lshrrev_b32_e32 v8, s45, v8
	s_delay_alu instid0(VALU_DEP_2) | instskip(NEXT) | instid1(VALU_DEP_2)
	v_mul_lo_u32 v16, v16, s52
	v_mul_hi_u32 v9, s47, v8
	v_mul_lo_u32 v40, v8, s43
	s_delay_alu instid0(VALU_DEP_2) | instskip(NEXT) | instid1(VALU_DEP_2)
	v_add_nc_u32_e32 v9, v8, v9
	v_sub_nc_u32_e32 v7, v7, v40
	s_delay_alu instid0(VALU_DEP_2) | instskip(NEXT) | instid1(VALU_DEP_2)
	v_lshrrev_b32_e32 v9, s48, v9
	v_mul_lo_u32 v7, v7, s53
	s_delay_alu instid0(VALU_DEP_2) | instskip(NEXT) | instid1(VALU_DEP_2)
	v_mul_hi_u32 v10, s50, v9
	v_add3_u32 v1, v16, v1, v7
	s_delay_alu instid0(VALU_DEP_2) | instskip(NEXT) | instid1(VALU_DEP_1)
	v_add_nc_u32_e32 v10, v9, v10
	v_lshrrev_b32_e32 v2, s51, v10
	v_mul_lo_u32 v10, v9, s46
	s_delay_alu instid0(VALU_DEP_2) | instskip(NEXT) | instid1(VALU_DEP_2)
	v_mul_lo_u32 v41, v2, s49
	v_sub_nc_u32_e32 v8, v8, v10
	s_delay_alu instid0(VALU_DEP_2) | instskip(NEXT) | instid1(VALU_DEP_2)
	v_sub_nc_u32_e32 v9, v9, v41
	v_mul_lo_u32 v8, v8, s54
	s_delay_alu instid0(VALU_DEP_2) | instskip(NEXT) | instid1(VALU_DEP_1)
	v_mul_lo_u32 v9, v9, s55
	v_add3_u32 v1, v8, v1, v9
	s_cbranch_scc0 .LBB91_69
; %bb.70:                               ;   in Loop: Header=BB91_9 Depth=1
	s_mov_b32 s20, s31
	s_and_not1_b32 vcc_lo, exec_lo, s34
	s_cbranch_vccz .LBB91_73
	s_branch .LBB91_75
.LBB91_71:                              ;   in Loop: Header=BB91_9 Depth=1
                                        ; implicit-def: $vgpr1
	s_branch .LBB91_76
.LBB91_72:                              ;   in Loop: Header=BB91_9 Depth=1
	v_mov_b32_e32 v2, v0
	s_and_not1_b32 vcc_lo, exec_lo, s34
	s_cbranch_vccnz .LBB91_75
.LBB91_73:                              ;   in Loop: Header=BB91_9 Depth=1
	s_lshl_b32 s21, s20, 2
	s_mul_i32 s22, s20, 12
	s_add_u32 s20, s0, s21
	s_addc_u32 s21, s1, 0
	s_add_u32 s22, s12, s22
	s_addc_u32 s23, s13, 0
	s_mov_b32 s36, s29
	.p2align	6
.LBB91_74:                              ;   Parent Loop BB91_9 Depth=1
                                        ; =>  This Inner Loop Header: Depth=2
	s_clause 0x1
	s_load_b64 s[38:39], s[22:23], 0x4
	s_load_b32 s37, s[22:23], 0xc
	s_add_u32 s22, s22, 12
	s_addc_u32 s23, s23, 0
	s_waitcnt lgkmcnt(0)
	v_mul_hi_u32 v7, s39, v2
	s_load_b32 s39, s[20:21], 0x0
	s_add_u32 s20, s20, 4
	s_addc_u32 s21, s21, 0
	s_add_i32 s36, s36, -1
	s_delay_alu instid0(SALU_CYCLE_1) | instskip(NEXT) | instid1(VALU_DEP_1)
	s_cmp_lg_u32 s36, 0
	v_add_nc_u32_e32 v7, v2, v7
	s_delay_alu instid0(VALU_DEP_1) | instskip(NEXT) | instid1(VALU_DEP_1)
	v_lshrrev_b32_e32 v9, s37, v7
	v_mul_lo_u32 v7, v9, s38
	s_delay_alu instid0(VALU_DEP_1) | instskip(SKIP_1) | instid1(VALU_DEP_1)
	v_sub_nc_u32_e32 v2, v2, v7
	s_waitcnt lgkmcnt(0)
	v_mad_u64_u32 v[7:8], null, v2, s39, v[1:2]
	s_delay_alu instid0(VALU_DEP_1)
	v_dual_mov_b32 v2, v9 :: v_dual_mov_b32 v1, v7
	s_cbranch_scc1 .LBB91_74
.LBB91_75:                              ;   in Loop: Header=BB91_9 Depth=1
	s_cbranch_execnz .LBB91_7
.LBB91_76:                              ;   in Loop: Header=BB91_9 Depth=1
	v_mul_hi_u32 v1, v0, s6
	s_and_not1_b32 vcc_lo, exec_lo, s4
	s_delay_alu instid0(VALU_DEP_1) | instskip(NEXT) | instid1(VALU_DEP_1)
	v_add_nc_u32_e32 v1, v1, v0
	v_lshrrev_b32_e32 v2, s7, v1
	s_delay_alu instid0(VALU_DEP_1) | instskip(NEXT) | instid1(VALU_DEP_1)
	v_mul_lo_u32 v1, v2, s5
	v_sub_nc_u32_e32 v0, v0, v1
	s_delay_alu instid0(VALU_DEP_1)
	v_mul_lo_u32 v1, v0, s14
	s_cbranch_vccnz .LBB91_7
; %bb.77:                               ;   in Loop: Header=BB91_9 Depth=1
	v_mul_hi_u32 v0, s9, v2
	s_delay_alu instid0(VALU_DEP_1) | instskip(NEXT) | instid1(VALU_DEP_1)
	v_add_nc_u32_e32 v0, v2, v0
	v_lshrrev_b32_e32 v0, s10, v0
	s_delay_alu instid0(VALU_DEP_1) | instskip(NEXT) | instid1(VALU_DEP_1)
	v_mul_lo_u32 v0, v0, s8
	v_sub_nc_u32_e32 v0, v2, v0
	s_delay_alu instid0(VALU_DEP_1) | instskip(NEXT) | instid1(VALU_DEP_1)
	v_mad_u64_u32 v[7:8], null, v0, s15, v[1:2]
	v_mov_b32_e32 v1, v7
	s_branch .LBB91_7
.LBB91_78:
	s_endpgm
.LBB91_79:
                                        ; implicit-def: $sgpr2_sgpr3
	s_branch .LBB91_4
	.section	.rodata,"a",@progbits
	.p2align	6, 0x0
	.amdhsa_kernel _ZN2at6native12_GLOBAL__N_143distribution_elementwise_grid_stride_kernelIjLi4EZZZNS0_9templates4cuda13random_kernelIPNS_17CUDAGeneratorImplEEEvRNS_18TensorIteratorBaseET_ENKUlvE_clEvENKUlvE4_clEvEUlP25hiprandStatePhilox4_32_10E0_ZNS1_27distribution_nullary_kernelIdj15HIP_vector_typeIjLj4EES7_SF_ZZZNS5_IS7_EEvS9_SA_ENKSB_clEvENKSC_clEvEUljE_EEvS9_T2_RKT3_T4_EUlijE0_EEvlNS_15PhiloxCudaStateET1_SK_
		.amdhsa_group_segment_fixed_size 0
		.amdhsa_private_segment_fixed_size 0
		.amdhsa_kernarg_size 584
		.amdhsa_user_sgpr_count 15
		.amdhsa_user_sgpr_dispatch_ptr 0
		.amdhsa_user_sgpr_queue_ptr 0
		.amdhsa_user_sgpr_kernarg_segment_ptr 1
		.amdhsa_user_sgpr_dispatch_id 0
		.amdhsa_user_sgpr_private_segment_size 0
		.amdhsa_wavefront_size32 1
		.amdhsa_uses_dynamic_stack 0
		.amdhsa_enable_private_segment 0
		.amdhsa_system_sgpr_workgroup_id_x 1
		.amdhsa_system_sgpr_workgroup_id_y 0
		.amdhsa_system_sgpr_workgroup_id_z 0
		.amdhsa_system_sgpr_workgroup_info 0
		.amdhsa_system_vgpr_workitem_id 0
		.amdhsa_next_free_vgpr 44
		.amdhsa_next_free_sgpr 56
		.amdhsa_reserve_vcc 1
		.amdhsa_float_round_mode_32 0
		.amdhsa_float_round_mode_16_64 0
		.amdhsa_float_denorm_mode_32 3
		.amdhsa_float_denorm_mode_16_64 3
		.amdhsa_dx10_clamp 1
		.amdhsa_ieee_mode 1
		.amdhsa_fp16_overflow 0
		.amdhsa_workgroup_processor_mode 1
		.amdhsa_memory_ordered 1
		.amdhsa_forward_progress 0
		.amdhsa_shared_vgpr_count 0
		.amdhsa_exception_fp_ieee_invalid_op 0
		.amdhsa_exception_fp_denorm_src 0
		.amdhsa_exception_fp_ieee_div_zero 0
		.amdhsa_exception_fp_ieee_overflow 0
		.amdhsa_exception_fp_ieee_underflow 0
		.amdhsa_exception_fp_ieee_inexact 0
		.amdhsa_exception_int_div_zero 0
	.end_amdhsa_kernel
	.section	.text._ZN2at6native12_GLOBAL__N_143distribution_elementwise_grid_stride_kernelIjLi4EZZZNS0_9templates4cuda13random_kernelIPNS_17CUDAGeneratorImplEEEvRNS_18TensorIteratorBaseET_ENKUlvE_clEvENKUlvE4_clEvEUlP25hiprandStatePhilox4_32_10E0_ZNS1_27distribution_nullary_kernelIdj15HIP_vector_typeIjLj4EES7_SF_ZZZNS5_IS7_EEvS9_SA_ENKSB_clEvENKSC_clEvEUljE_EEvS9_T2_RKT3_T4_EUlijE0_EEvlNS_15PhiloxCudaStateET1_SK_,"axG",@progbits,_ZN2at6native12_GLOBAL__N_143distribution_elementwise_grid_stride_kernelIjLi4EZZZNS0_9templates4cuda13random_kernelIPNS_17CUDAGeneratorImplEEEvRNS_18TensorIteratorBaseET_ENKUlvE_clEvENKUlvE4_clEvEUlP25hiprandStatePhilox4_32_10E0_ZNS1_27distribution_nullary_kernelIdj15HIP_vector_typeIjLj4EES7_SF_ZZZNS5_IS7_EEvS9_SA_ENKSB_clEvENKSC_clEvEUljE_EEvS9_T2_RKT3_T4_EUlijE0_EEvlNS_15PhiloxCudaStateET1_SK_,comdat
.Lfunc_end91:
	.size	_ZN2at6native12_GLOBAL__N_143distribution_elementwise_grid_stride_kernelIjLi4EZZZNS0_9templates4cuda13random_kernelIPNS_17CUDAGeneratorImplEEEvRNS_18TensorIteratorBaseET_ENKUlvE_clEvENKUlvE4_clEvEUlP25hiprandStatePhilox4_32_10E0_ZNS1_27distribution_nullary_kernelIdj15HIP_vector_typeIjLj4EES7_SF_ZZZNS5_IS7_EEvS9_SA_ENKSB_clEvENKSC_clEvEUljE_EEvS9_T2_RKT3_T4_EUlijE0_EEvlNS_15PhiloxCudaStateET1_SK_, .Lfunc_end91-_ZN2at6native12_GLOBAL__N_143distribution_elementwise_grid_stride_kernelIjLi4EZZZNS0_9templates4cuda13random_kernelIPNS_17CUDAGeneratorImplEEEvRNS_18TensorIteratorBaseET_ENKUlvE_clEvENKUlvE4_clEvEUlP25hiprandStatePhilox4_32_10E0_ZNS1_27distribution_nullary_kernelIdj15HIP_vector_typeIjLj4EES7_SF_ZZZNS5_IS7_EEvS9_SA_ENKSB_clEvENKSC_clEvEUljE_EEvS9_T2_RKT3_T4_EUlijE0_EEvlNS_15PhiloxCudaStateET1_SK_
                                        ; -- End function
	.section	.AMDGPU.csdata,"",@progbits
; Kernel info:
; codeLenInByte = 5152
; NumSgprs: 58
; NumVgprs: 44
; ScratchSize: 0
; MemoryBound: 0
; FloatMode: 240
; IeeeMode: 1
; LDSByteSize: 0 bytes/workgroup (compile time only)
; SGPRBlocks: 7
; VGPRBlocks: 5
; NumSGPRsForWavesPerEU: 58
; NumVGPRsForWavesPerEU: 44
; Occupancy: 16
; WaveLimiterHint : 1
; COMPUTE_PGM_RSRC2:SCRATCH_EN: 0
; COMPUTE_PGM_RSRC2:USER_SGPR: 15
; COMPUTE_PGM_RSRC2:TRAP_HANDLER: 0
; COMPUTE_PGM_RSRC2:TGID_X_EN: 1
; COMPUTE_PGM_RSRC2:TGID_Y_EN: 0
; COMPUTE_PGM_RSRC2:TGID_Z_EN: 0
; COMPUTE_PGM_RSRC2:TIDIG_COMP_CNT: 0
	.section	.text._ZN2at6native12_GLOBAL__N_143distribution_elementwise_grid_stride_kernelImLi2EZZZNS0_9templates4cuda13random_kernelIPNS_17CUDAGeneratorImplEEEvRNS_18TensorIteratorBaseET_ENKUlvE_clEvENKUlvE5_clEvEUlP25hiprandStatePhilox4_32_10E_ZNS1_27distribution_nullary_kernelIfm15HIP_vector_typeIyLj2EES7_SF_ZZZNS5_IS7_EEvS9_SA_ENKSB_clEvENKSC_clEvEUlmE_EEvS9_T2_RKT3_T4_EUlimE_EEvlNS_15PhiloxCudaStateET1_SK_,"axG",@progbits,_ZN2at6native12_GLOBAL__N_143distribution_elementwise_grid_stride_kernelImLi2EZZZNS0_9templates4cuda13random_kernelIPNS_17CUDAGeneratorImplEEEvRNS_18TensorIteratorBaseET_ENKUlvE_clEvENKUlvE5_clEvEUlP25hiprandStatePhilox4_32_10E_ZNS1_27distribution_nullary_kernelIfm15HIP_vector_typeIyLj2EES7_SF_ZZZNS5_IS7_EEvS9_SA_ENKSB_clEvENKSC_clEvEUlmE_EEvS9_T2_RKT3_T4_EUlimE_EEvlNS_15PhiloxCudaStateET1_SK_,comdat
	.globl	_ZN2at6native12_GLOBAL__N_143distribution_elementwise_grid_stride_kernelImLi2EZZZNS0_9templates4cuda13random_kernelIPNS_17CUDAGeneratorImplEEEvRNS_18TensorIteratorBaseET_ENKUlvE_clEvENKUlvE5_clEvEUlP25hiprandStatePhilox4_32_10E_ZNS1_27distribution_nullary_kernelIfm15HIP_vector_typeIyLj2EES7_SF_ZZZNS5_IS7_EEvS9_SA_ENKSB_clEvENKSC_clEvEUlmE_EEvS9_T2_RKT3_T4_EUlimE_EEvlNS_15PhiloxCudaStateET1_SK_ ; -- Begin function _ZN2at6native12_GLOBAL__N_143distribution_elementwise_grid_stride_kernelImLi2EZZZNS0_9templates4cuda13random_kernelIPNS_17CUDAGeneratorImplEEEvRNS_18TensorIteratorBaseET_ENKUlvE_clEvENKUlvE5_clEvEUlP25hiprandStatePhilox4_32_10E_ZNS1_27distribution_nullary_kernelIfm15HIP_vector_typeIyLj2EES7_SF_ZZZNS5_IS7_EEvS9_SA_ENKSB_clEvENKSC_clEvEUlmE_EEvS9_T2_RKT3_T4_EUlimE_EEvlNS_15PhiloxCudaStateET1_SK_
	.p2align	8
	.type	_ZN2at6native12_GLOBAL__N_143distribution_elementwise_grid_stride_kernelImLi2EZZZNS0_9templates4cuda13random_kernelIPNS_17CUDAGeneratorImplEEEvRNS_18TensorIteratorBaseET_ENKUlvE_clEvENKUlvE5_clEvEUlP25hiprandStatePhilox4_32_10E_ZNS1_27distribution_nullary_kernelIfm15HIP_vector_typeIyLj2EES7_SF_ZZZNS5_IS7_EEvS9_SA_ENKSB_clEvENKSC_clEvEUlmE_EEvS9_T2_RKT3_T4_EUlimE_EEvlNS_15PhiloxCudaStateET1_SK_,@function
_ZN2at6native12_GLOBAL__N_143distribution_elementwise_grid_stride_kernelImLi2EZZZNS0_9templates4cuda13random_kernelIPNS_17CUDAGeneratorImplEEEvRNS_18TensorIteratorBaseET_ENKUlvE_clEvENKUlvE5_clEvEUlP25hiprandStatePhilox4_32_10E_ZNS1_27distribution_nullary_kernelIfm15HIP_vector_typeIyLj2EES7_SF_ZZZNS5_IS7_EEvS9_SA_ENKSB_clEvENKSC_clEvEUlmE_EEvS9_T2_RKT3_T4_EUlimE_EEvlNS_15PhiloxCudaStateET1_SK_: ; @_ZN2at6native12_GLOBAL__N_143distribution_elementwise_grid_stride_kernelImLi2EZZZNS0_9templates4cuda13random_kernelIPNS_17CUDAGeneratorImplEEEvRNS_18TensorIteratorBaseET_ENKUlvE_clEvENKUlvE5_clEvEUlP25hiprandStatePhilox4_32_10E_ZNS1_27distribution_nullary_kernelIfm15HIP_vector_typeIyLj2EES7_SF_ZZZNS5_IS7_EEvS9_SA_ENKSB_clEvENKSC_clEvEUlmE_EEvS9_T2_RKT3_T4_EUlimE_EEvlNS_15PhiloxCudaStateET1_SK_
; %bb.0:
	s_clause 0x2
	s_load_b64 s[8:9], s[0:1], 0x10
	s_load_b128 s[4:7], s[0:1], 0x0
	s_load_b32 s2, s[0:1], 0x20
	s_waitcnt lgkmcnt(0)
	v_dual_mov_b32 v2, s8 :: v_dual_mov_b32 v3, s9
	v_dual_mov_b32 v12, s7 :: v_dual_mov_b32 v11, s6
	s_bitcmp0_b32 s2, 0
	s_mov_b32 s2, 0
	s_cbranch_scc1 .LBB92_2
; %bb.1:
	v_dual_mov_b32 v1, s8 :: v_dual_mov_b32 v2, s9
	v_dual_mov_b32 v4, s6 :: v_dual_mov_b32 v5, s7
	s_load_b64 s[6:7], s[0:1], 0x18
	flat_load_b64 v[2:3], v[1:2]
	flat_load_b64 v[11:12], v[4:5]
	s_waitcnt vmcnt(1) lgkmcnt(0)
	v_add_co_u32 v2, vcc_lo, v2, s6
	v_add_co_ci_u32_e32 v3, vcc_lo, s7, v3, vcc_lo
.LBB92_2:
	s_clause 0x1
	s_load_b32 s3, s[0:1], 0x4c
	s_load_b32 s11, s[0:1], 0x40
	s_waitcnt lgkmcnt(0)
	s_and_b32 s10, s3, 0xffff
	s_add_u32 s6, s4, -1
	s_mul_i32 s8, s11, s10
	s_addc_u32 s3, s5, -1
	s_lshl_b32 s9, s8, 1
	s_cmp_lg_u64 s[2:3], 0
	s_cbranch_scc0 .LBB92_23
; %bb.3:
	v_cvt_f32_ubyte0_e32 v1, 0
	v_cvt_f32_u32_e32 v4, s9
	s_sub_u32 s12, 0, s9
	s_subb_u32 s13, 0, 0
	s_delay_alu instid0(VALU_DEP_1) | instskip(NEXT) | instid1(VALU_DEP_1)
	v_fmamk_f32 v1, v1, 0x4f800000, v4
	v_rcp_f32_e32 v1, v1
	s_waitcnt_depctr 0xfff
	v_mul_f32_e32 v1, 0x5f7ffffc, v1
	s_delay_alu instid0(VALU_DEP_1) | instskip(NEXT) | instid1(VALU_DEP_1)
	v_mul_f32_e32 v4, 0x2f800000, v1
	v_trunc_f32_e32 v4, v4
	s_delay_alu instid0(VALU_DEP_1) | instskip(SKIP_1) | instid1(VALU_DEP_2)
	v_fmamk_f32 v1, v4, 0xcf800000, v1
	v_cvt_u32_f32_e32 v4, v4
	v_cvt_u32_f32_e32 v1, v1
	s_delay_alu instid0(VALU_DEP_2) | instskip(NEXT) | instid1(VALU_DEP_2)
	v_readfirstlane_b32 s2, v4
	v_readfirstlane_b32 s7, v1
	s_delay_alu instid0(VALU_DEP_2) | instskip(NEXT) | instid1(VALU_DEP_1)
	s_mul_i32 s14, s12, s2
	s_mul_hi_u32 s17, s12, s7
	s_mul_i32 s16, s13, s7
	s_add_i32 s14, s17, s14
	s_mul_i32 s18, s12, s7
	s_add_i32 s14, s14, s16
	s_mul_hi_u32 s17, s7, s18
	s_mul_hi_u32 s19, s2, s18
	s_mul_i32 s16, s2, s18
	s_mul_hi_u32 s18, s7, s14
	s_mul_i32 s7, s7, s14
	s_mul_hi_u32 s20, s2, s14
	s_add_u32 s7, s17, s7
	s_addc_u32 s17, 0, s18
	s_add_u32 s7, s7, s16
	s_mul_i32 s14, s2, s14
	s_addc_u32 s7, s17, s19
	s_addc_u32 s16, s20, 0
	s_add_u32 s7, s7, s14
	s_addc_u32 s14, 0, s16
	v_add_co_u32 v1, s7, v1, s7
	s_delay_alu instid0(VALU_DEP_1) | instskip(SKIP_1) | instid1(VALU_DEP_1)
	s_cmp_lg_u32 s7, 0
	s_addc_u32 s2, s2, s14
	v_readfirstlane_b32 s7, v1
	s_mul_i32 s14, s12, s2
	s_delay_alu instid0(VALU_DEP_1)
	s_mul_hi_u32 s16, s12, s7
	s_mul_i32 s13, s13, s7
	s_add_i32 s14, s16, s14
	s_mul_i32 s12, s12, s7
	s_add_i32 s14, s14, s13
	s_mul_hi_u32 s16, s2, s12
	s_mul_i32 s17, s2, s12
	s_mul_hi_u32 s12, s7, s12
	s_mul_hi_u32 s18, s7, s14
	s_mul_i32 s7, s7, s14
	s_mul_hi_u32 s13, s2, s14
	s_add_u32 s7, s12, s7
	s_addc_u32 s12, 0, s18
	s_add_u32 s7, s7, s17
	s_mul_i32 s14, s2, s14
	s_addc_u32 s7, s12, s16
	s_addc_u32 s12, s13, 0
	s_add_u32 s7, s7, s14
	s_addc_u32 s12, 0, s12
	v_add_co_u32 v1, s7, v1, s7
	s_delay_alu instid0(VALU_DEP_1) | instskip(SKIP_2) | instid1(VALU_DEP_1)
	s_cmp_lg_u32 s7, 0
	s_addc_u32 s7, s2, s12
	s_ashr_i32 s12, s3, 31
	v_readfirstlane_b32 s14, v1
	s_add_u32 s2, s6, s12
	s_mov_b32 s13, s12
	s_addc_u32 s3, s3, s12
	s_delay_alu instid0(SALU_CYCLE_1) | instskip(NEXT) | instid1(SALU_CYCLE_1)
	s_xor_b64 s[2:3], s[2:3], s[12:13]
	s_mul_i32 s17, s2, s7
	s_mul_hi_u32 s18, s2, s14
	s_mul_hi_u32 s16, s2, s7
	;; [unrolled: 1-line block ×3, first 2 shown]
	s_mul_i32 s14, s3, s14
	s_add_u32 s17, s18, s17
	s_addc_u32 s16, 0, s16
	s_mul_hi_u32 s19, s3, s7
	s_add_u32 s14, s17, s14
	s_mul_i32 s7, s3, s7
	s_addc_u32 s14, s16, s20
	s_addc_u32 s16, s19, 0
	s_add_u32 s7, s14, s7
	s_addc_u32 s14, 0, s16
	s_mul_i32 s17, s9, s7
	s_add_u32 s16, s7, 1
	v_sub_co_u32 v1, s2, s2, s17
	s_mul_hi_u32 s17, s9, s7
	s_addc_u32 s18, s14, 0
	s_mul_i32 s19, s9, s14
	s_delay_alu instid0(VALU_DEP_1)
	v_sub_co_u32 v4, s20, v1, s9
	s_add_u32 s21, s7, 2
	s_addc_u32 s22, s14, 0
	s_add_i32 s17, s17, s19
	s_cmp_lg_u32 s2, 0
	v_readfirstlane_b32 s2, v4
	s_subb_u32 s3, s3, s17
	s_cmp_lg_u32 s20, 0
	s_subb_u32 s17, s3, 0
	s_delay_alu instid0(VALU_DEP_1) | instskip(SKIP_4) | instid1(SALU_CYCLE_1)
	s_cmp_ge_u32 s2, s9
	s_cselect_b32 s2, -1, 0
	s_cmp_eq_u32 s17, 0
	v_readfirstlane_b32 s17, v1
	s_cselect_b32 s2, s2, -1
	s_cmp_lg_u32 s2, 0
	s_cselect_b32 s2, s21, s16
	s_cselect_b32 s16, s22, s18
	s_cmp_ge_u32 s17, s9
	s_cselect_b32 s17, -1, 0
	s_cmp_eq_u32 s3, 0
	s_cselect_b32 s3, s17, -1
	s_delay_alu instid0(SALU_CYCLE_1) | instskip(SKIP_2) | instid1(SALU_CYCLE_1)
	s_cmp_lg_u32 s3, 0
	s_cselect_b32 s3, s16, s14
	s_cselect_b32 s2, s2, s7
	s_xor_b64 s[2:3], s[2:3], s[12:13]
	s_delay_alu instid0(SALU_CYCLE_1)
	s_sub_u32 s2, s2, s12
	s_subb_u32 s3, s3, s12
	s_cbranch_execnz .LBB92_5
.LBB92_4:
	v_cvt_f32_u32_e32 v1, s9
	s_sub_i32 s3, 0, s9
	s_delay_alu instid0(VALU_DEP_1) | instskip(SKIP_2) | instid1(VALU_DEP_1)
	v_rcp_iflag_f32_e32 v1, v1
	s_waitcnt_depctr 0xfff
	v_mul_f32_e32 v1, 0x4f7ffffe, v1
	v_cvt_u32_f32_e32 v1, v1
	s_delay_alu instid0(VALU_DEP_1) | instskip(NEXT) | instid1(VALU_DEP_1)
	v_readfirstlane_b32 s2, v1
	s_mul_i32 s3, s3, s2
	s_delay_alu instid0(SALU_CYCLE_1) | instskip(NEXT) | instid1(SALU_CYCLE_1)
	s_mul_hi_u32 s3, s2, s3
	s_add_i32 s2, s2, s3
	s_delay_alu instid0(SALU_CYCLE_1) | instskip(NEXT) | instid1(SALU_CYCLE_1)
	s_mul_hi_u32 s2, s6, s2
	s_mul_i32 s3, s2, s9
	s_delay_alu instid0(SALU_CYCLE_1)
	s_sub_i32 s3, s6, s3
	s_add_i32 s6, s2, 1
	s_sub_i32 s7, s3, s9
	s_cmp_ge_u32 s3, s9
	s_cselect_b32 s2, s6, s2
	s_cselect_b32 s3, s7, s3
	s_add_i32 s6, s2, 1
	s_cmp_ge_u32 s3, s9
	s_mov_b32 s3, 0
	s_cselect_b32 s2, s6, s2
.LBB92_5:
	v_mov_b32_e32 v1, 0
	s_add_u32 s2, s2, 1
	s_addc_u32 s3, s3, 0
	s_mul_hi_u32 s6, s8, s2
	s_mul_i32 s3, s8, s3
	v_mad_u64_u32 v[13:14], null, s10, s15, v[0:1]
	s_mul_hi_u32 s7, s11, s10
	s_add_i32 s3, s6, s3
	s_mul_i32 s7, s7, s2
	s_mul_i32 s2, s8, s2
	s_add_i32 s3, s3, s7
	s_mov_b32 s6, exec_lo
	s_lshl_b64 s[2:3], s[2:3], 1
	s_delay_alu instid0(SALU_CYCLE_1)
	v_cmpx_gt_i64_e64 s[2:3], v[13:14]
	s_cbranch_execz .LBB92_22
; %bb.6:
	v_alignbit_b32 v17, v3, v2, 2
	v_mad_u64_u32 v[6:7], null, 0xcd9e8d57, v13, 0
	v_lshrrev_b32_e32 v18, 2, v3
	s_waitcnt vmcnt(0)
	v_dual_mov_b32 v15, v12 :: v_dual_add_nc_u32 v34, 0x8ff34781, v11
	v_mad_u64_u32 v[4:5], null, 0xd2511f53, v17, 0
	v_add_co_u32 v20, null, 0x9e3779b9, v11
	v_xor3_b32 v3, v11, v7, v18
	s_delay_alu instid0(VALU_DEP_4) | instskip(SKIP_2) | instid1(VALU_DEP_4)
	v_add_co_u32 v19, null, 0xbb67ae85, v15
	v_add_co_u32 v21, null, 0x3c6ef372, v11
	v_xor_b32_e32 v1, v5, v12
	v_mad_u64_u32 v[7:8], null, 0xd2511f53, v3, 0
	v_add_co_u32 v22, null, 0x76cf5d0a, v15
	s_delay_alu instid0(VALU_DEP_3) | instskip(SKIP_2) | instid1(VALU_DEP_3)
	v_xor_b32_e32 v1, v1, v14
	v_add_co_u32 v23, null, 0x32370b8f, v15
	v_add_co_u32 v24, null, 0xdaa66d2b, v11
	v_mad_u64_u32 v[9:10], null, 0xcd9e8d57, v1, 0
	v_xor3_b32 v1, v19, v8, v4
	v_add_co_u32 v25, null, 0x78dde6e4, v11
	v_add_co_u32 v26, null, 0xed9eba14, v15
	s_delay_alu instid0(VALU_DEP_3) | instskip(SKIP_3) | instid1(VALU_DEP_3)
	v_mad_u64_u32 v[3:4], null, 0xcd9e8d57, v1, 0
	v_xor3_b32 v8, v20, v10, v6
	v_add_co_u32 v27, null, 0xa9066899, v15
	v_add_co_u32 v28, null, 0x1715609d, v11
	v_mad_u64_u32 v[5:6], null, 0xd2511f53, v8, 0
	v_xor3_b32 v1, v21, v4, v9
	v_add_co_u32 v29, null, 0xb54cda56, v11
	v_add_co_u32 v30, null, 0x646e171e, v15
	;; [unrolled: 1-line block ×3, first 2 shown]
	v_xor3_b32 v4, v22, v6, v7
	v_mad_u64_u32 v[6:7], null, 0xd2511f53, v1, 0
	v_add_co_u32 v32, null, 0x5384540f, v11
	s_delay_alu instid0(VALU_DEP_3) | instskip(SKIP_1) | instid1(VALU_DEP_4)
	v_mad_u64_u32 v[8:9], null, 0xcd9e8d57, v4, 0
	v_dual_mov_b32 v38, v13 :: v_dual_and_b32 v33, 3, v2
	v_xor3_b32 v1, v23, v7, v5
	s_clause 0x1
	s_load_b64 s[6:7], s[0:1], 0x30
	s_load_b32 s0, s[0:1], 0x38
	v_add_co_u32 v35, null, 0xf1bbcdc8, v11
	s_delay_alu instid0(VALU_DEP_4) | instskip(SKIP_2) | instid1(VALU_DEP_3)
	v_xor3_b32 v5, v24, v9, v3
	v_mad_u64_u32 v[3:4], null, 0xcd9e8d57, v1, 0
	v_add_co_u32 v36, null, 0xdb3d7428, v15
	v_mad_u64_u32 v[9:10], null, 0xd2511f53, v5, 0
	v_add_nc_u32_e32 v37, 0x96a522ad, v12
	v_mov_b32_e32 v41, v14
	v_xor3_b32 v1, v25, v4, v8
	s_mov_b32 s1, 0
	s_mov_b32 s12, 0
	s_delay_alu instid0(VALU_DEP_4) | instskip(NEXT) | instid1(VALU_DEP_2)
	v_xor3_b32 v8, v26, v10, v6
	v_mad_u64_u32 v[4:5], null, 0xd2511f53, v1, 0
	s_delay_alu instid0(VALU_DEP_2) | instskip(NEXT) | instid1(VALU_DEP_2)
	v_mad_u64_u32 v[6:7], null, 0xcd9e8d57, v8, 0
	v_xor3_b32 v1, v27, v5, v9
	s_delay_alu instid0(VALU_DEP_2) | instskip(NEXT) | instid1(VALU_DEP_2)
	v_xor3_b32 v3, v28, v7, v3
	v_mad_u64_u32 v[7:8], null, 0xcd9e8d57, v1, 0
	s_delay_alu instid0(VALU_DEP_2) | instskip(NEXT) | instid1(VALU_DEP_2)
	v_mad_u64_u32 v[9:10], null, 0xd2511f53, v3, 0
	v_xor3_b32 v1, v29, v8, v6
	s_delay_alu instid0(VALU_DEP_2) | instskip(NEXT) | instid1(VALU_DEP_2)
	;; [unrolled: 6-line block ×3, first 2 shown]
	v_xor3_b32 v2, v32, v6, v7
	v_mad_u64_u32 v[6:7], null, 0xcd9e8d57, v1, 0
	v_mad_u64_u32 v[15:16], null, s15, s10, v[0:1]
	s_delay_alu instid0(VALU_DEP_3) | instskip(SKIP_3) | instid1(VALU_DEP_3)
	v_mad_u64_u32 v[8:9], null, 0xd2511f53, v2, 0
	s_add_i32 s15, s15, s11
	s_waitcnt lgkmcnt(0)
	s_mul_i32 s11, s11, s0
	v_xor3_b32 v1, v35, v7, v5
	s_mul_i32 s11, s11, s10
	s_delay_alu instid0(VALU_DEP_3) | instskip(NEXT) | instid1(VALU_DEP_3)
	v_mul_lo_u32 v39, s0, v15
	v_xor3_b32 v7, v36, v9, v3
	s_delay_alu instid0(VALU_DEP_3) | instskip(SKIP_1) | instid1(VALU_DEP_3)
	v_mad_u64_u32 v[3:4], null, s15, s10, v[0:1]
	v_mad_u64_u32 v[4:5], null, 0xd2511f53, v1, 0
	;; [unrolled: 1-line block ×3, first 2 shown]
	s_lshl_b32 s10, s11, 1
	s_mov_b32 s11, 0x2fd00
	s_delay_alu instid0(VALU_DEP_3) | instskip(NEXT) | instid1(VALU_DEP_3)
	v_mul_lo_u32 v40, s0, v3
	v_mov_b32_e32 v3, v4
	s_delay_alu instid0(VALU_DEP_3)
	v_xor3_b32 v0, v2, v6, v34
	v_xor3_b32 v2, v5, v8, v37
	s_branch .LBB92_8
.LBB92_7:                               ;   in Loop: Header=BB92_8 Depth=1
	s_or_b32 exec_lo, exec_lo, s13
	v_add_co_u32 v13, vcc_lo, v13, s9
	v_add_co_ci_u32_e32 v14, vcc_lo, 0, v14, vcc_lo
	v_mov_b32_e32 v7, v15
	v_dual_mov_b32 v0, v4 :: v_dual_mov_b32 v1, v5
	s_delay_alu instid0(VALU_DEP_3) | instskip(NEXT) | instid1(VALU_DEP_3)
	v_cmp_le_i64_e32 vcc_lo, s[2:3], v[13:14]
	v_dual_mov_b32 v2, v6 :: v_dual_mov_b32 v3, v7
	s_add_i32 s12, s12, s10
	s_waitcnt_vscnt null, 0x0
	s_barrier
	s_or_b32 s1, vcc_lo, s1
	buffer_gl0_inv
	s_and_not1_b32 exec_lo, exec_lo, s1
	s_cbranch_execz .LBB92_22
.LBB92_8:                               ; =>This Inner Loop Header: Depth=1
	v_add_co_u32 v17, vcc_lo, v17, 1
	s_delay_alu instid0(VALU_DEP_1) | instskip(SKIP_2) | instid1(VALU_DEP_1)
	v_cndmask_b32_e64 v4, 0, 1, vcc_lo
	v_add_co_ci_u32_e32 v18, vcc_lo, 0, v18, vcc_lo
	s_mov_b32 s0, exec_lo
	v_cmp_eq_u32_e32 vcc_lo, 0, v18
	s_delay_alu instid0(VALU_DEP_3) | instskip(NEXT) | instid1(VALU_DEP_1)
	v_cndmask_b32_e32 v4, 0, v4, vcc_lo
	v_add_nc_u32_e32 v38, v4, v38
	s_delay_alu instid0(VALU_DEP_1) | instskip(SKIP_2) | instid1(VALU_DEP_2)
	v_cmp_eq_u32_e32 vcc_lo, 0, v38
	v_mad_u64_u32 v[6:7], null, 0xcd9e8d57, v38, 0
	v_cndmask_b32_e32 v4, 0, v4, vcc_lo
	v_xor3_b32 v9, v7, v11, v18
	s_delay_alu instid0(VALU_DEP_2) | instskip(SKIP_1) | instid1(VALU_DEP_3)
	v_add_nc_u32_e32 v41, v4, v41
	v_mad_u64_u32 v[4:5], null, 0xd2511f53, v17, 0
	v_mad_u64_u32 v[7:8], null, 0xd2511f53, v9, 0
	s_delay_alu instid0(VALU_DEP_2) | instskip(NEXT) | instid1(VALU_DEP_2)
	v_xor_b32_e32 v5, v5, v12
	v_xor3_b32 v8, v19, v8, v4
	s_delay_alu instid0(VALU_DEP_2) | instskip(NEXT) | instid1(VALU_DEP_1)
	v_xor_b32_e32 v5, v41, v5
	v_mad_u64_u32 v[9:10], null, 0xcd9e8d57, v5, 0
	s_delay_alu instid0(VALU_DEP_3) | instskip(NEXT) | instid1(VALU_DEP_2)
	v_mad_u64_u32 v[4:5], null, 0xcd9e8d57, v8, 0
	v_xor3_b32 v6, v20, v10, v6
	s_delay_alu instid0(VALU_DEP_2) | instskip(NEXT) | instid1(VALU_DEP_2)
	v_xor3_b32 v8, v21, v5, v9
	v_mad_u64_u32 v[15:16], null, 0xd2511f53, v6, 0
	s_delay_alu instid0(VALU_DEP_2) | instskip(NEXT) | instid1(VALU_DEP_2)
	v_mad_u64_u32 v[5:6], null, 0xd2511f53, v8, 0
	v_xor3_b32 v9, v22, v16, v7
	s_delay_alu instid0(VALU_DEP_2) | instskip(NEXT) | instid1(VALU_DEP_2)
	v_xor3_b32 v6, v23, v6, v15
	v_mad_u64_u32 v[7:8], null, 0xcd9e8d57, v9, 0
	s_delay_alu instid0(VALU_DEP_1) | instskip(NEXT) | instid1(VALU_DEP_3)
	v_xor3_b32 v4, v24, v8, v4
	v_mad_u64_u32 v[8:9], null, 0xcd9e8d57, v6, 0
	s_delay_alu instid0(VALU_DEP_2) | instskip(NEXT) | instid1(VALU_DEP_2)
	v_mad_u64_u32 v[15:16], null, 0xd2511f53, v4, 0
	v_xor3_b32 v6, v25, v9, v7
	s_delay_alu instid0(VALU_DEP_2) | instskip(NEXT) | instid1(VALU_DEP_2)
	v_xor3_b32 v9, v26, v16, v5
	v_mad_u64_u32 v[4:5], null, 0xd2511f53, v6, 0
	s_delay_alu instid0(VALU_DEP_2) | instskip(NEXT) | instid1(VALU_DEP_2)
	v_mad_u64_u32 v[6:7], null, 0xcd9e8d57, v9, 0
	v_xor3_b32 v5, v27, v5, v15
	s_delay_alu instid0(VALU_DEP_2) | instskip(NEXT) | instid1(VALU_DEP_2)
	;; [unrolled: 6-line block ×6, first 2 shown]
	v_xor3_b32 v4, v6, v7, v34
	v_mov_b32_e32 v6, v10
	v_cmpx_lt_i32_e32 1, v33
	s_xor_b32 s0, exec_lo, s0
	s_cbranch_execnz .LBB92_14
; %bb.9:                                ;   in Loop: Header=BB92_8 Depth=1
	s_and_not1_saveexec_b32 s0, s0
	s_cbranch_execnz .LBB92_19
.LBB92_10:                              ;   in Loop: Header=BB92_8 Depth=1
	s_or_b32 exec_lo, exec_lo, s0
	s_delay_alu instid0(SALU_CYCLE_1)
	s_mov_b32 s13, exec_lo
	v_cmpx_gt_i64_e64 s[4:5], v[13:14]
	s_cbranch_execz .LBB92_12
.LBB92_11:                              ;   in Loop: Header=BB92_8 Depth=1
	s_add_u32 s0, 0x2ff, s11
	s_addc_u32 s14, 0, 0
	v_add_co_u32 v7, s0, 0xfffc0000, s0
	s_delay_alu instid0(VALU_DEP_1) | instskip(SKIP_1) | instid1(VALU_DEP_1)
	s_cmp_lg_u32 s0, 0
	s_addc_u32 s14, s14, 0xff
	v_readfirstlane_b32 s0, v7
	s_mul_i32 s15, s14, 0xfeffffff
	s_delay_alu instid0(VALU_DEP_1)
	s_mul_hi_u32 s16, s0, 0xfeffffff
	s_mul_i32 s17, s0, 0xfeffffff
	s_sub_i32 s16, s16, s0
	s_mul_hi_u32 s18, s0, s17
	s_add_i32 s16, s16, s15
	s_mul_hi_u32 s19, s14, s17
	s_mul_i32 s15, s14, s17
	s_mul_hi_u32 s17, s0, s16
	s_mul_i32 s0, s0, s16
	s_mul_hi_u32 s20, s14, s16
	s_add_u32 s0, s18, s0
	s_addc_u32 s17, 0, s17
	s_add_u32 s0, s0, s15
	s_mul_i32 s16, s14, s16
	s_addc_u32 s0, s17, s19
	s_addc_u32 s15, s20, 0
	s_add_u32 s0, s0, s16
	s_addc_u32 s15, 0, s15
	v_add_co_u32 v16, s0, v7, s0
	s_delay_alu instid0(VALU_DEP_1) | instskip(SKIP_1) | instid1(VALU_DEP_1)
	s_cmp_lg_u32 s0, 0
	s_addc_u32 s0, s14, s15
	v_mul_hi_u32 v44, v1, v16
	v_mad_u64_u32 v[7:8], null, v1, s0, 0
	v_mad_u64_u32 v[9:10], null, v0, v16, 0
	;; [unrolled: 1-line block ×3, first 2 shown]
	s_delay_alu instid0(VALU_DEP_3) | instskip(NEXT) | instid1(VALU_DEP_4)
	v_add_co_u32 v7, vcc_lo, v44, v7
	v_add_co_ci_u32_e32 v8, vcc_lo, 0, v8, vcc_lo
	s_delay_alu instid0(VALU_DEP_2) | instskip(NEXT) | instid1(VALU_DEP_2)
	v_add_co_u32 v7, vcc_lo, v7, v9
	v_add_co_ci_u32_e32 v7, vcc_lo, v8, v10, vcc_lo
	v_add_co_ci_u32_e32 v8, vcc_lo, 0, v43, vcc_lo
	s_delay_alu instid0(VALU_DEP_2) | instskip(NEXT) | instid1(VALU_DEP_2)
	v_add_co_u32 v9, vcc_lo, v7, v42
	v_add_co_ci_u32_e32 v16, vcc_lo, 0, v8, vcc_lo
	s_delay_alu instid0(VALU_DEP_2) | instskip(NEXT) | instid1(VALU_DEP_1)
	v_mad_u64_u32 v[7:8], null, 0x1000001, v9, 0
	v_mad_u64_u32 v[9:10], null, 0x1000001, v16, v[8:9]
	s_delay_alu instid0(VALU_DEP_2) | instskip(NEXT) | instid1(VALU_DEP_2)
	v_sub_co_u32 v7, vcc_lo, v1, v7
	v_sub_co_ci_u32_e32 v0, vcc_lo, v0, v9, vcc_lo
	s_delay_alu instid0(VALU_DEP_2) | instskip(NEXT) | instid1(VALU_DEP_2)
	v_subrev_co_u32 v8, vcc_lo, 0x1000001, v7
	v_subrev_co_ci_u32_e32 v1, vcc_lo, 0, v0, vcc_lo
	s_delay_alu instid0(VALU_DEP_2) | instskip(SKIP_4) | instid1(VALU_DEP_4)
	v_cmp_lt_u32_e32 vcc_lo, 0x1000000, v8
	v_cndmask_b32_e64 v9, 0, -1, vcc_lo
	v_cmp_lt_u32_e32 vcc_lo, 0x1000000, v7
	v_cndmask_b32_e64 v10, 0, -1, vcc_lo
	v_cmp_eq_u32_e32 vcc_lo, 0, v1
	v_cndmask_b32_e32 v9, -1, v9, vcc_lo
	v_subrev_co_u32 v16, vcc_lo, 0x1000001, v8
	v_subrev_co_ci_u32_e32 v42, vcc_lo, 0, v1, vcc_lo
	v_cmp_eq_u32_e32 vcc_lo, 0, v0
	v_cndmask_b32_e32 v10, -1, v10, vcc_lo
	v_cmp_ne_u32_e32 vcc_lo, 0, v9
	s_delay_alu instid0(VALU_DEP_2) | instskip(SKIP_1) | instid1(VALU_DEP_1)
	v_cmp_ne_u32_e64 s0, 0, v10
	v_cndmask_b32_e32 v1, v1, v42, vcc_lo
	v_cndmask_b32_e64 v1, v0, v1, s0
	v_cndmask_b32_e32 v0, v8, v16, vcc_lo
	s_delay_alu instid0(VALU_DEP_2) | instskip(NEXT) | instid1(VALU_DEP_2)
	v_clz_i32_u32_e32 v8, v1
	v_cndmask_b32_e64 v0, v7, v0, s0
	s_delay_alu instid0(VALU_DEP_2) | instskip(SKIP_1) | instid1(VALU_DEP_2)
	v_min_u32_e32 v7, 32, v8
	v_add_nc_u32_e32 v8, s12, v39
	v_lshlrev_b64 v[0:1], v7, v[0:1]
	v_sub_nc_u32_e32 v7, 32, v7
	s_delay_alu instid0(VALU_DEP_2) | instskip(NEXT) | instid1(VALU_DEP_1)
	v_min_u32_e32 v0, 1, v0
	v_or_b32_e32 v0, v1, v0
	v_ashrrev_i32_e32 v1, 31, v8
	s_delay_alu instid0(VALU_DEP_2) | instskip(SKIP_1) | instid1(VALU_DEP_3)
	v_cvt_f32_u32_e32 v9, v0
	v_add_co_u32 v0, vcc_lo, s6, v8
	v_add_co_ci_u32_e32 v1, vcc_lo, s7, v1, vcc_lo
	s_delay_alu instid0(VALU_DEP_3)
	v_ldexp_f32 v7, v9, v7
	global_store_b32 v[0:1], v7, off
.LBB92_12:                              ;   in Loop: Header=BB92_8 Depth=1
	s_or_b32 exec_lo, exec_lo, s13
	v_add_co_u32 v0, vcc_lo, s8, v13
	v_add_co_ci_u32_e32 v1, vcc_lo, 0, v14, vcc_lo
	s_mov_b32 s13, exec_lo
	s_delay_alu instid0(VALU_DEP_1)
	v_cmpx_gt_i64_e64 s[4:5], v[0:1]
	s_cbranch_execz .LBB92_7
; %bb.13:                               ;   in Loop: Header=BB92_8 Depth=1
	s_add_u32 s0, 0x2ff, s11
	s_addc_u32 s14, 0, 0
	v_add_co_u32 v0, s0, 0xfffc0000, s0
	s_delay_alu instid0(VALU_DEP_1) | instskip(SKIP_1) | instid1(VALU_DEP_1)
	s_cmp_lg_u32 s0, 0
	s_addc_u32 s14, s14, 0xff
	v_readfirstlane_b32 s0, v0
	s_mul_i32 s15, s14, 0xfeffffff
	s_delay_alu instid0(VALU_DEP_1)
	s_mul_hi_u32 s16, s0, 0xfeffffff
	s_mul_i32 s17, s0, 0xfeffffff
	s_sub_i32 s16, s16, s0
	s_mul_hi_u32 s18, s0, s17
	s_add_i32 s16, s16, s15
	s_mul_hi_u32 s19, s14, s17
	s_mul_i32 s15, s14, s17
	s_mul_hi_u32 s17, s0, s16
	s_mul_i32 s0, s0, s16
	s_mul_hi_u32 s20, s14, s16
	s_add_u32 s0, s18, s0
	s_addc_u32 s17, 0, s17
	s_add_u32 s0, s0, s15
	s_mul_i32 s16, s14, s16
	s_addc_u32 s0, s17, s19
	s_addc_u32 s15, s20, 0
	s_add_u32 s0, s0, s16
	s_addc_u32 s15, 0, s15
	v_add_co_u32 v9, s0, v0, s0
	s_delay_alu instid0(VALU_DEP_1) | instskip(SKIP_1) | instid1(VALU_DEP_1)
	s_cmp_lg_u32 s0, 0
	s_addc_u32 s0, s14, s15
	v_mul_hi_u32 v16, v3, v9
	v_mad_u64_u32 v[0:1], null, v3, s0, 0
	v_mad_u64_u32 v[7:8], null, v2, v9, 0
	;; [unrolled: 1-line block ×3, first 2 shown]
	s_delay_alu instid0(VALU_DEP_3) | instskip(NEXT) | instid1(VALU_DEP_4)
	v_add_co_u32 v0, vcc_lo, v16, v0
	v_add_co_ci_u32_e32 v1, vcc_lo, 0, v1, vcc_lo
	s_delay_alu instid0(VALU_DEP_2) | instskip(NEXT) | instid1(VALU_DEP_2)
	v_add_co_u32 v0, vcc_lo, v0, v7
	v_add_co_ci_u32_e32 v0, vcc_lo, v1, v8, vcc_lo
	v_add_co_ci_u32_e32 v1, vcc_lo, 0, v10, vcc_lo
	s_delay_alu instid0(VALU_DEP_2) | instskip(NEXT) | instid1(VALU_DEP_2)
	v_add_co_u32 v7, vcc_lo, v0, v9
	v_add_co_ci_u32_e32 v9, vcc_lo, 0, v1, vcc_lo
	s_delay_alu instid0(VALU_DEP_2) | instskip(NEXT) | instid1(VALU_DEP_1)
	v_mad_u64_u32 v[0:1], null, 0x1000001, v7, 0
	v_mad_u64_u32 v[7:8], null, 0x1000001, v9, v[1:2]
	s_delay_alu instid0(VALU_DEP_2) | instskip(NEXT) | instid1(VALU_DEP_2)
	v_sub_co_u32 v0, vcc_lo, v3, v0
	v_sub_co_ci_u32_e32 v1, vcc_lo, v2, v7, vcc_lo
	s_delay_alu instid0(VALU_DEP_2) | instskip(NEXT) | instid1(VALU_DEP_2)
	v_subrev_co_u32 v2, vcc_lo, 0x1000001, v0
	v_subrev_co_ci_u32_e32 v3, vcc_lo, 0, v1, vcc_lo
	s_delay_alu instid0(VALU_DEP_2) | instskip(SKIP_4) | instid1(VALU_DEP_4)
	v_cmp_lt_u32_e32 vcc_lo, 0x1000000, v2
	v_cndmask_b32_e64 v7, 0, -1, vcc_lo
	v_cmp_lt_u32_e32 vcc_lo, 0x1000000, v0
	v_cndmask_b32_e64 v8, 0, -1, vcc_lo
	v_cmp_eq_u32_e32 vcc_lo, 0, v3
	v_cndmask_b32_e32 v7, -1, v7, vcc_lo
	v_subrev_co_u32 v9, vcc_lo, 0x1000001, v2
	v_subrev_co_ci_u32_e32 v10, vcc_lo, 0, v3, vcc_lo
	v_cmp_eq_u32_e32 vcc_lo, 0, v1
	v_cndmask_b32_e32 v8, -1, v8, vcc_lo
	v_cmp_ne_u32_e32 vcc_lo, 0, v7
	s_delay_alu instid0(VALU_DEP_2) | instskip(SKIP_1) | instid1(VALU_DEP_1)
	v_cmp_ne_u32_e64 s0, 0, v8
	v_dual_cndmask_b32 v3, v3, v10 :: v_dual_cndmask_b32 v2, v2, v9
	v_cndmask_b32_e64 v1, v1, v3, s0
	s_delay_alu instid0(VALU_DEP_2) | instskip(NEXT) | instid1(VALU_DEP_2)
	v_cndmask_b32_e64 v0, v0, v2, s0
	v_clz_i32_u32_e32 v3, v1
	s_delay_alu instid0(VALU_DEP_1) | instskip(SKIP_1) | instid1(VALU_DEP_2)
	v_min_u32_e32 v2, 32, v3
	v_add_nc_u32_e32 v3, s12, v40
	v_lshlrev_b64 v[0:1], v2, v[0:1]
	v_sub_nc_u32_e32 v2, 32, v2
	s_delay_alu instid0(VALU_DEP_2) | instskip(NEXT) | instid1(VALU_DEP_1)
	v_min_u32_e32 v0, 1, v0
	v_or_b32_e32 v0, v1, v0
	v_ashrrev_i32_e32 v1, 31, v3
	s_delay_alu instid0(VALU_DEP_2) | instskip(SKIP_1) | instid1(VALU_DEP_3)
	v_cvt_f32_u32_e32 v7, v0
	v_add_co_u32 v0, vcc_lo, s6, v3
	v_add_co_ci_u32_e32 v1, vcc_lo, s7, v1, vcc_lo
	s_delay_alu instid0(VALU_DEP_3)
	v_ldexp_f32 v2, v7, v2
	global_store_b32 v[0:1], v2, off
	s_branch .LBB92_7
.LBB92_14:                              ;   in Loop: Header=BB92_8 Depth=1
	s_mov_b32 s13, exec_lo
	v_cmpx_lt_i32_e32 2, v33
	s_xor_b32 s13, exec_lo, s13
; %bb.15:                               ;   in Loop: Header=BB92_8 Depth=1
	v_dual_mov_b32 v7, v3 :: v_dual_mov_b32 v8, v4
	v_mov_b32_e32 v9, v5
	s_delay_alu instid0(VALU_DEP_2) | instskip(NEXT) | instid1(VALU_DEP_2)
	v_dual_mov_b32 v0, v7 :: v_dual_mov_b32 v1, v8
	v_dual_mov_b32 v2, v9 :: v_dual_mov_b32 v3, v10
; %bb.16:                               ;   in Loop: Header=BB92_8 Depth=1
	s_and_not1_saveexec_b32 s13, s13
; %bb.17:                               ;   in Loop: Header=BB92_8 Depth=1
	s_delay_alu instid0(VALU_DEP_1)
	v_dual_mov_b32 v0, v2 :: v_dual_mov_b32 v1, v3
	v_dual_mov_b32 v2, v4 :: v_dual_mov_b32 v3, v5
; %bb.18:                               ;   in Loop: Header=BB92_8 Depth=1
	s_or_b32 exec_lo, exec_lo, s13
	s_and_not1_saveexec_b32 s0, s0
	s_cbranch_execz .LBB92_10
.LBB92_19:                              ;   in Loop: Header=BB92_8 Depth=1
	s_mov_b32 s13, exec_lo
	v_cmpx_eq_u32_e32 1, v33
; %bb.20:                               ;   in Loop: Header=BB92_8 Depth=1
	v_dual_mov_b32 v0, v1 :: v_dual_mov_b32 v1, v2
	v_dual_mov_b32 v2, v3 :: v_dual_mov_b32 v3, v4
; %bb.21:                               ;   in Loop: Header=BB92_8 Depth=1
	s_or_b32 exec_lo, exec_lo, s13
	s_delay_alu instid0(SALU_CYCLE_1) | instskip(NEXT) | instid1(SALU_CYCLE_1)
	s_or_b32 exec_lo, exec_lo, s0
	s_mov_b32 s13, exec_lo
	v_cmpx_gt_i64_e64 s[4:5], v[13:14]
	s_cbranch_execnz .LBB92_11
	s_branch .LBB92_12
.LBB92_22:
	s_endpgm
.LBB92_23:
                                        ; implicit-def: $sgpr2_sgpr3
	s_branch .LBB92_4
	.section	.rodata,"a",@progbits
	.p2align	6, 0x0
	.amdhsa_kernel _ZN2at6native12_GLOBAL__N_143distribution_elementwise_grid_stride_kernelImLi2EZZZNS0_9templates4cuda13random_kernelIPNS_17CUDAGeneratorImplEEEvRNS_18TensorIteratorBaseET_ENKUlvE_clEvENKUlvE5_clEvEUlP25hiprandStatePhilox4_32_10E_ZNS1_27distribution_nullary_kernelIfm15HIP_vector_typeIyLj2EES7_SF_ZZZNS5_IS7_EEvS9_SA_ENKSB_clEvENKSC_clEvEUlmE_EEvS9_T2_RKT3_T4_EUlimE_EEvlNS_15PhiloxCudaStateET1_SK_
		.amdhsa_group_segment_fixed_size 0
		.amdhsa_private_segment_fixed_size 0
		.amdhsa_kernarg_size 320
		.amdhsa_user_sgpr_count 15
		.amdhsa_user_sgpr_dispatch_ptr 0
		.amdhsa_user_sgpr_queue_ptr 0
		.amdhsa_user_sgpr_kernarg_segment_ptr 1
		.amdhsa_user_sgpr_dispatch_id 0
		.amdhsa_user_sgpr_private_segment_size 0
		.amdhsa_wavefront_size32 1
		.amdhsa_uses_dynamic_stack 0
		.amdhsa_enable_private_segment 0
		.amdhsa_system_sgpr_workgroup_id_x 1
		.amdhsa_system_sgpr_workgroup_id_y 0
		.amdhsa_system_sgpr_workgroup_id_z 0
		.amdhsa_system_sgpr_workgroup_info 0
		.amdhsa_system_vgpr_workitem_id 0
		.amdhsa_next_free_vgpr 45
		.amdhsa_next_free_sgpr 23
		.amdhsa_reserve_vcc 1
		.amdhsa_float_round_mode_32 0
		.amdhsa_float_round_mode_16_64 0
		.amdhsa_float_denorm_mode_32 3
		.amdhsa_float_denorm_mode_16_64 3
		.amdhsa_dx10_clamp 1
		.amdhsa_ieee_mode 1
		.amdhsa_fp16_overflow 0
		.amdhsa_workgroup_processor_mode 1
		.amdhsa_memory_ordered 1
		.amdhsa_forward_progress 0
		.amdhsa_shared_vgpr_count 0
		.amdhsa_exception_fp_ieee_invalid_op 0
		.amdhsa_exception_fp_denorm_src 0
		.amdhsa_exception_fp_ieee_div_zero 0
		.amdhsa_exception_fp_ieee_overflow 0
		.amdhsa_exception_fp_ieee_underflow 0
		.amdhsa_exception_fp_ieee_inexact 0
		.amdhsa_exception_int_div_zero 0
	.end_amdhsa_kernel
	.section	.text._ZN2at6native12_GLOBAL__N_143distribution_elementwise_grid_stride_kernelImLi2EZZZNS0_9templates4cuda13random_kernelIPNS_17CUDAGeneratorImplEEEvRNS_18TensorIteratorBaseET_ENKUlvE_clEvENKUlvE5_clEvEUlP25hiprandStatePhilox4_32_10E_ZNS1_27distribution_nullary_kernelIfm15HIP_vector_typeIyLj2EES7_SF_ZZZNS5_IS7_EEvS9_SA_ENKSB_clEvENKSC_clEvEUlmE_EEvS9_T2_RKT3_T4_EUlimE_EEvlNS_15PhiloxCudaStateET1_SK_,"axG",@progbits,_ZN2at6native12_GLOBAL__N_143distribution_elementwise_grid_stride_kernelImLi2EZZZNS0_9templates4cuda13random_kernelIPNS_17CUDAGeneratorImplEEEvRNS_18TensorIteratorBaseET_ENKUlvE_clEvENKUlvE5_clEvEUlP25hiprandStatePhilox4_32_10E_ZNS1_27distribution_nullary_kernelIfm15HIP_vector_typeIyLj2EES7_SF_ZZZNS5_IS7_EEvS9_SA_ENKSB_clEvENKSC_clEvEUlmE_EEvS9_T2_RKT3_T4_EUlimE_EEvlNS_15PhiloxCudaStateET1_SK_,comdat
.Lfunc_end92:
	.size	_ZN2at6native12_GLOBAL__N_143distribution_elementwise_grid_stride_kernelImLi2EZZZNS0_9templates4cuda13random_kernelIPNS_17CUDAGeneratorImplEEEvRNS_18TensorIteratorBaseET_ENKUlvE_clEvENKUlvE5_clEvEUlP25hiprandStatePhilox4_32_10E_ZNS1_27distribution_nullary_kernelIfm15HIP_vector_typeIyLj2EES7_SF_ZZZNS5_IS7_EEvS9_SA_ENKSB_clEvENKSC_clEvEUlmE_EEvS9_T2_RKT3_T4_EUlimE_EEvlNS_15PhiloxCudaStateET1_SK_, .Lfunc_end92-_ZN2at6native12_GLOBAL__N_143distribution_elementwise_grid_stride_kernelImLi2EZZZNS0_9templates4cuda13random_kernelIPNS_17CUDAGeneratorImplEEEvRNS_18TensorIteratorBaseET_ENKUlvE_clEvENKUlvE5_clEvEUlP25hiprandStatePhilox4_32_10E_ZNS1_27distribution_nullary_kernelIfm15HIP_vector_typeIyLj2EES7_SF_ZZZNS5_IS7_EEvS9_SA_ENKSB_clEvENKSC_clEvEUlmE_EEvS9_T2_RKT3_T4_EUlimE_EEvlNS_15PhiloxCudaStateET1_SK_
                                        ; -- End function
	.section	.AMDGPU.csdata,"",@progbits
; Kernel info:
; codeLenInByte = 3556
; NumSgprs: 25
; NumVgprs: 45
; ScratchSize: 0
; MemoryBound: 0
; FloatMode: 240
; IeeeMode: 1
; LDSByteSize: 0 bytes/workgroup (compile time only)
; SGPRBlocks: 3
; VGPRBlocks: 5
; NumSGPRsForWavesPerEU: 25
; NumVGPRsForWavesPerEU: 45
; Occupancy: 16
; WaveLimiterHint : 0
; COMPUTE_PGM_RSRC2:SCRATCH_EN: 0
; COMPUTE_PGM_RSRC2:USER_SGPR: 15
; COMPUTE_PGM_RSRC2:TRAP_HANDLER: 0
; COMPUTE_PGM_RSRC2:TGID_X_EN: 1
; COMPUTE_PGM_RSRC2:TGID_Y_EN: 0
; COMPUTE_PGM_RSRC2:TGID_Z_EN: 0
; COMPUTE_PGM_RSRC2:TIDIG_COMP_CNT: 0
	.section	.text._ZN2at6native12_GLOBAL__N_143distribution_elementwise_grid_stride_kernelImLi2EZZZNS0_9templates4cuda13random_kernelIPNS_17CUDAGeneratorImplEEEvRNS_18TensorIteratorBaseET_ENKUlvE_clEvENKUlvE5_clEvEUlP25hiprandStatePhilox4_32_10E_ZNS1_27distribution_nullary_kernelIfm15HIP_vector_typeIyLj2EES7_SF_ZZZNS5_IS7_EEvS9_SA_ENKSB_clEvENKSC_clEvEUlmE_EEvS9_T2_RKT3_T4_EUlimE0_EEvlNS_15PhiloxCudaStateET1_SK_,"axG",@progbits,_ZN2at6native12_GLOBAL__N_143distribution_elementwise_grid_stride_kernelImLi2EZZZNS0_9templates4cuda13random_kernelIPNS_17CUDAGeneratorImplEEEvRNS_18TensorIteratorBaseET_ENKUlvE_clEvENKUlvE5_clEvEUlP25hiprandStatePhilox4_32_10E_ZNS1_27distribution_nullary_kernelIfm15HIP_vector_typeIyLj2EES7_SF_ZZZNS5_IS7_EEvS9_SA_ENKSB_clEvENKSC_clEvEUlmE_EEvS9_T2_RKT3_T4_EUlimE0_EEvlNS_15PhiloxCudaStateET1_SK_,comdat
	.globl	_ZN2at6native12_GLOBAL__N_143distribution_elementwise_grid_stride_kernelImLi2EZZZNS0_9templates4cuda13random_kernelIPNS_17CUDAGeneratorImplEEEvRNS_18TensorIteratorBaseET_ENKUlvE_clEvENKUlvE5_clEvEUlP25hiprandStatePhilox4_32_10E_ZNS1_27distribution_nullary_kernelIfm15HIP_vector_typeIyLj2EES7_SF_ZZZNS5_IS7_EEvS9_SA_ENKSB_clEvENKSC_clEvEUlmE_EEvS9_T2_RKT3_T4_EUlimE0_EEvlNS_15PhiloxCudaStateET1_SK_ ; -- Begin function _ZN2at6native12_GLOBAL__N_143distribution_elementwise_grid_stride_kernelImLi2EZZZNS0_9templates4cuda13random_kernelIPNS_17CUDAGeneratorImplEEEvRNS_18TensorIteratorBaseET_ENKUlvE_clEvENKUlvE5_clEvEUlP25hiprandStatePhilox4_32_10E_ZNS1_27distribution_nullary_kernelIfm15HIP_vector_typeIyLj2EES7_SF_ZZZNS5_IS7_EEvS9_SA_ENKSB_clEvENKSC_clEvEUlmE_EEvS9_T2_RKT3_T4_EUlimE0_EEvlNS_15PhiloxCudaStateET1_SK_
	.p2align	8
	.type	_ZN2at6native12_GLOBAL__N_143distribution_elementwise_grid_stride_kernelImLi2EZZZNS0_9templates4cuda13random_kernelIPNS_17CUDAGeneratorImplEEEvRNS_18TensorIteratorBaseET_ENKUlvE_clEvENKUlvE5_clEvEUlP25hiprandStatePhilox4_32_10E_ZNS1_27distribution_nullary_kernelIfm15HIP_vector_typeIyLj2EES7_SF_ZZZNS5_IS7_EEvS9_SA_ENKSB_clEvENKSC_clEvEUlmE_EEvS9_T2_RKT3_T4_EUlimE0_EEvlNS_15PhiloxCudaStateET1_SK_,@function
_ZN2at6native12_GLOBAL__N_143distribution_elementwise_grid_stride_kernelImLi2EZZZNS0_9templates4cuda13random_kernelIPNS_17CUDAGeneratorImplEEEvRNS_18TensorIteratorBaseET_ENKUlvE_clEvENKUlvE5_clEvEUlP25hiprandStatePhilox4_32_10E_ZNS1_27distribution_nullary_kernelIfm15HIP_vector_typeIyLj2EES7_SF_ZZZNS5_IS7_EEvS9_SA_ENKSB_clEvENKSC_clEvEUlmE_EEvS9_T2_RKT3_T4_EUlimE0_EEvlNS_15PhiloxCudaStateET1_SK_: ; @_ZN2at6native12_GLOBAL__N_143distribution_elementwise_grid_stride_kernelImLi2EZZZNS0_9templates4cuda13random_kernelIPNS_17CUDAGeneratorImplEEEvRNS_18TensorIteratorBaseET_ENKUlvE_clEvENKUlvE5_clEvEUlP25hiprandStatePhilox4_32_10E_ZNS1_27distribution_nullary_kernelIfm15HIP_vector_typeIyLj2EES7_SF_ZZZNS5_IS7_EEvS9_SA_ENKSB_clEvENKSC_clEvEUlmE_EEvS9_T2_RKT3_T4_EUlimE0_EEvlNS_15PhiloxCudaStateET1_SK_
; %bb.0:
	s_clause 0x2
	s_load_b64 s[4:5], s[0:1], 0x10
	s_load_b128 s[16:19], s[0:1], 0x0
	s_load_b32 s2, s[0:1], 0x20
	s_waitcnt lgkmcnt(0)
	v_dual_mov_b32 v2, s4 :: v_dual_mov_b32 v3, s5
	v_dual_mov_b32 v11, s18 :: v_dual_mov_b32 v12, s19
	s_bitcmp0_b32 s2, 0
	s_mov_b32 s2, 0
	s_cbranch_scc1 .LBB93_2
; %bb.1:
	v_dual_mov_b32 v1, s4 :: v_dual_mov_b32 v2, s5
	v_dual_mov_b32 v4, s18 :: v_dual_mov_b32 v5, s19
	s_load_b64 s[4:5], s[0:1], 0x18
	flat_load_b64 v[2:3], v[1:2]
	flat_load_b64 v[11:12], v[4:5]
	s_waitcnt vmcnt(1) lgkmcnt(0)
	v_add_co_u32 v2, vcc_lo, v2, s4
	v_add_co_ci_u32_e32 v3, vcc_lo, s5, v3, vcc_lo
.LBB93_2:
	s_clause 0x1
	s_load_b32 s3, s[0:1], 0x154
	s_load_b32 s4, s[0:1], 0x148
	s_waitcnt lgkmcnt(0)
	s_and_b32 s5, s3, 0xffff
	s_add_u32 s6, s16, -1
	s_mul_i32 s24, s4, s5
	s_addc_u32 s3, s17, -1
	s_lshl_b32 s25, s24, 1
	s_cmp_lg_u64 s[2:3], 0
	s_cbranch_scc0 .LBB93_49
; %bb.3:
	v_cvt_f32_ubyte0_e32 v1, 0
	v_cvt_f32_u32_e32 v4, s25
	s_sub_u32 s8, 0, s25
	s_subb_u32 s9, 0, 0
	s_delay_alu instid0(VALU_DEP_1) | instskip(NEXT) | instid1(VALU_DEP_1)
	v_fmamk_f32 v1, v1, 0x4f800000, v4
	v_rcp_f32_e32 v1, v1
	s_waitcnt_depctr 0xfff
	v_mul_f32_e32 v1, 0x5f7ffffc, v1
	s_delay_alu instid0(VALU_DEP_1) | instskip(NEXT) | instid1(VALU_DEP_1)
	v_mul_f32_e32 v4, 0x2f800000, v1
	v_trunc_f32_e32 v4, v4
	s_delay_alu instid0(VALU_DEP_1) | instskip(SKIP_1) | instid1(VALU_DEP_2)
	v_fmamk_f32 v1, v4, 0xcf800000, v1
	v_cvt_u32_f32_e32 v4, v4
	v_cvt_u32_f32_e32 v1, v1
	s_delay_alu instid0(VALU_DEP_2) | instskip(NEXT) | instid1(VALU_DEP_2)
	v_readfirstlane_b32 s2, v4
	v_readfirstlane_b32 s7, v1
	s_delay_alu instid0(VALU_DEP_2) | instskip(NEXT) | instid1(VALU_DEP_1)
	s_mul_i32 s10, s8, s2
	s_mul_hi_u32 s12, s8, s7
	s_mul_i32 s11, s9, s7
	s_add_i32 s10, s12, s10
	s_mul_i32 s13, s8, s7
	s_add_i32 s10, s10, s11
	s_mul_hi_u32 s12, s7, s13
	s_mul_hi_u32 s14, s2, s13
	s_mul_i32 s11, s2, s13
	s_mul_hi_u32 s13, s7, s10
	s_mul_i32 s7, s7, s10
	s_mul_hi_u32 s18, s2, s10
	s_add_u32 s7, s12, s7
	s_addc_u32 s12, 0, s13
	s_add_u32 s7, s7, s11
	s_mul_i32 s10, s2, s10
	s_addc_u32 s7, s12, s14
	s_addc_u32 s11, s18, 0
	s_add_u32 s7, s7, s10
	s_addc_u32 s10, 0, s11
	v_add_co_u32 v1, s7, v1, s7
	s_delay_alu instid0(VALU_DEP_1) | instskip(SKIP_1) | instid1(VALU_DEP_1)
	s_cmp_lg_u32 s7, 0
	s_addc_u32 s2, s2, s10
	v_readfirstlane_b32 s7, v1
	s_mul_i32 s10, s8, s2
	s_delay_alu instid0(VALU_DEP_1)
	s_mul_hi_u32 s11, s8, s7
	s_mul_i32 s9, s9, s7
	s_add_i32 s10, s11, s10
	s_mul_i32 s8, s8, s7
	s_add_i32 s10, s10, s9
	s_mul_hi_u32 s11, s2, s8
	s_mul_i32 s12, s2, s8
	s_mul_hi_u32 s8, s7, s8
	s_mul_hi_u32 s13, s7, s10
	s_mul_i32 s7, s7, s10
	s_mul_hi_u32 s9, s2, s10
	s_add_u32 s7, s8, s7
	s_addc_u32 s8, 0, s13
	s_add_u32 s7, s7, s12
	s_mul_i32 s10, s2, s10
	s_addc_u32 s7, s8, s11
	s_addc_u32 s8, s9, 0
	s_add_u32 s7, s7, s10
	s_addc_u32 s8, 0, s8
	v_add_co_u32 v1, s7, v1, s7
	s_delay_alu instid0(VALU_DEP_1) | instskip(SKIP_2) | instid1(VALU_DEP_1)
	s_cmp_lg_u32 s7, 0
	s_addc_u32 s7, s2, s8
	s_ashr_i32 s8, s3, 31
	v_readfirstlane_b32 s10, v1
	s_add_u32 s2, s6, s8
	s_mov_b32 s9, s8
	s_addc_u32 s3, s3, s8
	s_delay_alu instid0(SALU_CYCLE_1) | instskip(NEXT) | instid1(SALU_CYCLE_1)
	s_xor_b64 s[2:3], s[2:3], s[8:9]
	s_mul_i32 s12, s2, s7
	s_mul_hi_u32 s13, s2, s10
	s_mul_hi_u32 s11, s2, s7
	s_mul_hi_u32 s18, s3, s10
	s_mul_i32 s10, s3, s10
	s_add_u32 s12, s13, s12
	s_addc_u32 s11, 0, s11
	s_mul_hi_u32 s14, s3, s7
	s_add_u32 s10, s12, s10
	s_mul_i32 s7, s3, s7
	s_addc_u32 s10, s11, s18
	s_addc_u32 s11, s14, 0
	s_add_u32 s7, s10, s7
	s_addc_u32 s10, 0, s11
	s_mul_i32 s12, s25, s7
	s_add_u32 s11, s7, 1
	v_sub_co_u32 v1, s2, s2, s12
	s_mul_hi_u32 s12, s25, s7
	s_addc_u32 s13, s10, 0
	s_mul_i32 s14, s25, s10
	s_delay_alu instid0(VALU_DEP_1)
	v_sub_co_u32 v4, s18, v1, s25
	s_add_u32 s19, s7, 2
	s_addc_u32 s20, s10, 0
	s_add_i32 s12, s12, s14
	s_cmp_lg_u32 s2, 0
	v_readfirstlane_b32 s2, v4
	s_subb_u32 s3, s3, s12
	s_cmp_lg_u32 s18, 0
	s_subb_u32 s12, s3, 0
	s_delay_alu instid0(VALU_DEP_1) | instskip(SKIP_4) | instid1(SALU_CYCLE_1)
	s_cmp_ge_u32 s2, s25
	s_cselect_b32 s2, -1, 0
	s_cmp_eq_u32 s12, 0
	v_readfirstlane_b32 s12, v1
	s_cselect_b32 s2, s2, -1
	s_cmp_lg_u32 s2, 0
	s_cselect_b32 s2, s19, s11
	s_cselect_b32 s11, s20, s13
	s_cmp_ge_u32 s12, s25
	s_cselect_b32 s12, -1, 0
	s_cmp_eq_u32 s3, 0
	s_cselect_b32 s3, s12, -1
	s_delay_alu instid0(SALU_CYCLE_1) | instskip(SKIP_2) | instid1(SALU_CYCLE_1)
	s_cmp_lg_u32 s3, 0
	s_cselect_b32 s3, s11, s10
	s_cselect_b32 s2, s2, s7
	s_xor_b64 s[2:3], s[2:3], s[8:9]
	s_delay_alu instid0(SALU_CYCLE_1)
	s_sub_u32 s2, s2, s8
	s_subb_u32 s3, s3, s8
	s_cbranch_execnz .LBB93_5
.LBB93_4:
	v_cvt_f32_u32_e32 v1, s25
	s_sub_i32 s3, 0, s25
	s_delay_alu instid0(VALU_DEP_1) | instskip(SKIP_2) | instid1(VALU_DEP_1)
	v_rcp_iflag_f32_e32 v1, v1
	s_waitcnt_depctr 0xfff
	v_mul_f32_e32 v1, 0x4f7ffffe, v1
	v_cvt_u32_f32_e32 v1, v1
	s_delay_alu instid0(VALU_DEP_1) | instskip(NEXT) | instid1(VALU_DEP_1)
	v_readfirstlane_b32 s2, v1
	s_mul_i32 s3, s3, s2
	s_delay_alu instid0(SALU_CYCLE_1) | instskip(NEXT) | instid1(SALU_CYCLE_1)
	s_mul_hi_u32 s3, s2, s3
	s_add_i32 s2, s2, s3
	s_delay_alu instid0(SALU_CYCLE_1) | instskip(NEXT) | instid1(SALU_CYCLE_1)
	s_mul_hi_u32 s2, s6, s2
	s_mul_i32 s3, s2, s25
	s_delay_alu instid0(SALU_CYCLE_1)
	s_sub_i32 s3, s6, s3
	s_add_i32 s6, s2, 1
	s_sub_i32 s7, s3, s25
	s_cmp_ge_u32 s3, s25
	s_cselect_b32 s2, s6, s2
	s_cselect_b32 s3, s7, s3
	s_add_i32 s6, s2, 1
	s_cmp_ge_u32 s3, s25
	s_mov_b32 s3, 0
	s_cselect_b32 s2, s6, s2
.LBB93_5:
	v_mov_b32_e32 v1, 0
	s_add_u32 s2, s2, 1
	s_addc_u32 s3, s3, 0
	s_mul_hi_u32 s6, s24, s2
	s_mul_i32 s3, s24, s3
	v_mad_u64_u32 v[13:14], null, s5, s15, v[0:1]
	s_mul_hi_u32 s4, s4, s5
	s_add_i32 s3, s6, s3
	s_mul_i32 s4, s4, s2
	s_mul_i32 s2, s24, s2
	s_add_i32 s3, s3, s4
	s_mov_b32 s4, exec_lo
	s_lshl_b64 s[2:3], s[2:3], 1
	s_delay_alu instid0(SALU_CYCLE_1)
	v_cmpx_gt_i64_e64 s[2:3], v[13:14]
	s_cbranch_execz .LBB93_48
; %bb.6:
	v_alignbit_b32 v17, v3, v2, 2
	v_mad_u64_u32 v[4:5], null, 0xcd9e8d57, v13, 0
	v_lshrrev_b32_e32 v18, 2, v3
	s_waitcnt vmcnt(0)
	v_dual_mov_b32 v9, v12 :: v_dual_add_nc_u32 v28, 0x8ff34781, v11
	v_mad_u64_u32 v[0:1], null, 0xd2511f53, v17, 0
	v_add_co_u32 v20, null, 0x9e3779b9, v11
	v_xor3_b32 v3, v11, v5, v18
	s_delay_alu instid0(VALU_DEP_4) | instskip(SKIP_2) | instid1(VALU_DEP_4)
	v_add_co_u32 v19, null, 0xbb67ae85, v9
	v_add_co_u32 v21, null, 0x3c6ef372, v11
	v_xor_b32_e32 v1, v1, v12
	v_mad_u64_u32 v[5:6], null, 0xd2511f53, v3, 0
	v_add_co_u32 v22, null, 0x76cf5d0a, v9
	s_delay_alu instid0(VALU_DEP_3) | instskip(SKIP_2) | instid1(VALU_DEP_3)
	v_xor_b32_e32 v1, v1, v14
	v_add_co_u32 v23, null, 0x32370b8f, v9
	v_add_co_u32 v24, null, 0xdaa66d2b, v11
	v_mad_u64_u32 v[7:8], null, 0xcd9e8d57, v1, 0
	v_xor3_b32 v3, v19, v6, v0
	v_add_co_u32 v25, null, 0x78dde6e4, v11
	v_add_co_u32 v26, null, 0xed9eba14, v9
	s_delay_alu instid0(VALU_DEP_3) | instskip(SKIP_3) | instid1(VALU_DEP_3)
	v_mad_u64_u32 v[0:1], null, 0xcd9e8d57, v3, 0
	v_xor3_b32 v6, v20, v8, v4
	v_dual_mov_b32 v38, v13 :: v_dual_and_b32 v27, 3, v2
	v_add_co_u32 v30, null, 0xa9066899, v9
	v_mad_u64_u32 v[3:4], null, 0xd2511f53, v6, 0
	v_xor3_b32 v1, v21, v1, v7
	v_add_co_u32 v31, null, 0x1715609d, v11
	v_add_co_u32 v33, null, 0xb54cda56, v11
	;; [unrolled: 1-line block ×3, first 2 shown]
	v_xor3_b32 v8, v22, v4, v5
	v_mad_u64_u32 v[4:5], null, 0xd2511f53, v1, 0
	s_load_b256 s[4:11], s[0:1], 0x30
	v_add_co_u32 v32, null, 0x5384540f, v11
	s_delay_alu instid0(VALU_DEP_3) | instskip(SKIP_1) | instid1(VALU_DEP_4)
	v_mad_u64_u32 v[6:7], null, 0xcd9e8d57, v8, 0
	v_add_co_u32 v36, null, 0x1fd5c5a3, v9
	v_xor3_b32 v3, v23, v5, v3
	v_add_co_u32 v35, null, 0xf1bbcdc8, v11
	v_add_co_u32 v37, null, 0xdb3d7428, v9
	v_xor3_b32 v5, v24, v7, v0
	s_delay_alu instid0(VALU_DEP_4)
	v_mad_u64_u32 v[0:1], null, 0xcd9e8d57, v3, 0
	s_add_u32 s12, s0, 48
	s_clause 0x1
	s_load_b64 s[14:15], s[0:1], 0xf4
	s_load_b64 s[18:19], s[0:1], 0x138
	v_mad_u64_u32 v[7:8], null, 0xd2511f53, v5, 0
	s_addc_u32 s13, s1, 0
	s_waitcnt lgkmcnt(0)
	s_add_i32 s22, s4, -1
	v_xor3_b32 v3, v25, v1, v6
	s_cmp_gt_u32 s22, 1
	v_add_nc_u32_e32 v29, 0x96a522ad, v12
	s_cselect_b32 s11, -1, 0
	v_xor3_b32 v5, v26, v8, v4
	v_mad_u64_u32 v[1:2], null, 0xd2511f53, v3, 0
	s_cmp_lg_u32 s4, 0
	v_mov_b32_e32 v39, v14
	s_delay_alu instid0(VALU_DEP_3) | instskip(SKIP_2) | instid1(VALU_DEP_3)
	v_mad_u64_u32 v[3:4], null, 0xcd9e8d57, v5, 0
	s_cselect_b32 s27, -1, 0
	s_add_u32 s20, s0, 0xf4
	v_xor3_b32 v2, v30, v2, v7
	s_addc_u32 s21, s1, 0
	s_min_u32 s0, s22, 15
	s_cmp_gt_u32 s4, 1
	s_delay_alu instid0(VALU_DEP_2) | instskip(SKIP_3) | instid1(VALU_DEP_2)
	v_xor3_b32 v0, v31, v4, v0
	v_mad_u64_u32 v[4:5], null, 0xcd9e8d57, v2, 0
	s_cselect_b32 s4, -1, 0
	s_add_i32 s0, s0, 1
	v_mad_u64_u32 v[6:7], null, 0xd2511f53, v0, 0
	s_and_b32 s28, s0, 3
	s_cmp_lg_u32 s22, 2
	s_delay_alu instid0(VALU_DEP_2) | instskip(SKIP_3) | instid1(VALU_DEP_2)
	v_xor3_b32 v2, v33, v5, v3
	s_cselect_b32 s29, -1, 0
	s_and_b32 s30, s0, 28
	s_cmp_lg_u32 s28, 0
	v_xor3_b32 v5, v34, v7, v1
	v_mad_u64_u32 v[0:1], null, 0xd2511f53, v2, 0
	s_mov_b32 s26, 0
	s_cselect_b32 s31, -1, 0
	s_delay_alu instid0(VALU_DEP_2) | instskip(SKIP_1) | instid1(VALU_DEP_2)
	v_mad_u64_u32 v[2:3], null, 0xcd9e8d57, v5, 0
	s_mov_b32 s33, 0x2fd00
	v_xor3_b32 v1, v36, v1, v6
	s_delay_alu instid0(VALU_DEP_2) | instskip(NEXT) | instid1(VALU_DEP_2)
	v_xor3_b32 v3, v32, v3, v4
	v_mad_u64_u32 v[4:5], null, 0xcd9e8d57, v1, 0
	s_delay_alu instid0(VALU_DEP_2) | instskip(NEXT) | instid1(VALU_DEP_2)
	v_mad_u64_u32 v[6:7], null, 0xd2511f53, v3, 0
	v_xor3_b32 v1, v35, v5, v2
	s_delay_alu instid0(VALU_DEP_2) | instskip(NEXT) | instid1(VALU_DEP_2)
	v_xor3_b32 v0, v37, v7, v0
	v_mad_u64_u32 v[7:8], null, 0xd2511f53, v1, 0
	s_delay_alu instid0(VALU_DEP_2) | instskip(NEXT) | instid1(VALU_DEP_2)
	v_mad_u64_u32 v[1:2], null, 0xcd9e8d57, v0, 0
	v_mov_b32_e32 v3, v7
	s_delay_alu instid0(VALU_DEP_2) | instskip(NEXT) | instid1(VALU_DEP_4)
	v_xor3_b32 v0, v2, v4, v28
	v_xor3_b32 v2, v8, v6, v29
	s_branch .LBB93_9
.LBB93_7:                               ;   in Loop: Header=BB93_9 Depth=1
	s_add_u32 s0, 0x2ff, s33
	s_addc_u32 s1, 0, 0
	v_add_co_u32 v1, s0, 0xfffc0000, s0
	s_delay_alu instid0(VALU_DEP_1) | instskip(SKIP_1) | instid1(VALU_DEP_1)
	s_cmp_lg_u32 s0, 0
	s_addc_u32 s1, s1, 0xff
	v_readfirstlane_b32 s0, v1
	s_mul_i32 s22, s1, 0xfeffffff
	s_delay_alu instid0(VALU_DEP_1)
	s_mul_hi_u32 s23, s0, 0xfeffffff
	s_mul_i32 s35, s0, 0xfeffffff
	s_sub_i32 s23, s23, s0
	s_mul_hi_u32 s36, s0, s35
	s_add_i32 s23, s23, s22
	s_mul_hi_u32 s37, s1, s35
	s_mul_i32 s22, s1, s35
	s_mul_hi_u32 s35, s0, s23
	s_mul_i32 s0, s0, s23
	s_mul_hi_u32 s38, s1, s23
	s_add_u32 s0, s36, s0
	s_addc_u32 s35, 0, s35
	s_add_u32 s0, s0, s22
	s_mul_i32 s23, s1, s23
	s_addc_u32 s0, s35, s37
	s_addc_u32 s22, s38, 0
	s_add_u32 s0, s0, s23
	s_addc_u32 s22, 0, s22
	v_add_co_u32 v1, s0, v1, s0
	s_delay_alu instid0(VALU_DEP_1) | instskip(SKIP_1) | instid1(VALU_DEP_1)
	s_cmp_lg_u32 s0, 0
	s_addc_u32 s0, s1, s22
	v_mul_hi_u32 v16, v3, v1
	v_mad_u64_u32 v[7:8], null, v3, s0, 0
	v_mad_u64_u32 v[9:10], null, v2, v1, 0
	;; [unrolled: 1-line block ×3, first 2 shown]
	s_delay_alu instid0(VALU_DEP_3) | instskip(NEXT) | instid1(VALU_DEP_4)
	v_add_co_u32 v1, vcc_lo, v16, v7
	v_add_co_ci_u32_e32 v7, vcc_lo, 0, v8, vcc_lo
	s_delay_alu instid0(VALU_DEP_2) | instskip(NEXT) | instid1(VALU_DEP_2)
	v_add_co_u32 v1, vcc_lo, v1, v9
	v_add_co_ci_u32_e32 v1, vcc_lo, v7, v10, vcc_lo
	v_add_co_ci_u32_e32 v7, vcc_lo, 0, v41, vcc_lo
	s_delay_alu instid0(VALU_DEP_2) | instskip(NEXT) | instid1(VALU_DEP_2)
	v_add_co_u32 v1, vcc_lo, v1, v40
	v_add_co_ci_u32_e32 v10, vcc_lo, 0, v7, vcc_lo
	s_delay_alu instid0(VALU_DEP_2) | instskip(NEXT) | instid1(VALU_DEP_1)
	v_mad_u64_u32 v[7:8], null, 0x1000001, v1, 0
	v_mov_b32_e32 v1, v8
	s_delay_alu instid0(VALU_DEP_1) | instskip(NEXT) | instid1(VALU_DEP_3)
	v_mad_u64_u32 v[8:9], null, 0x1000001, v10, v[1:2]
	v_sub_co_u32 v1, vcc_lo, v3, v7
	s_delay_alu instid0(VALU_DEP_2) | instskip(NEXT) | instid1(VALU_DEP_2)
	v_sub_co_ci_u32_e32 v2, vcc_lo, v2, v8, vcc_lo
	v_subrev_co_u32 v3, vcc_lo, 0x1000001, v1
	s_delay_alu instid0(VALU_DEP_2) | instskip(NEXT) | instid1(VALU_DEP_2)
	v_subrev_co_ci_u32_e32 v7, vcc_lo, 0, v2, vcc_lo
	v_cmp_lt_u32_e32 vcc_lo, 0x1000000, v3
	v_cndmask_b32_e64 v8, 0, -1, vcc_lo
	v_cmp_lt_u32_e32 vcc_lo, 0x1000000, v1
	v_cndmask_b32_e64 v9, 0, -1, vcc_lo
	v_cmp_eq_u32_e32 vcc_lo, 0, v7
	s_delay_alu instid0(VALU_DEP_4)
	v_cndmask_b32_e32 v8, -1, v8, vcc_lo
	v_subrev_co_u32 v10, vcc_lo, 0x1000001, v3
	v_subrev_co_ci_u32_e32 v16, vcc_lo, 0, v7, vcc_lo
	v_cmp_eq_u32_e32 vcc_lo, 0, v2
	v_cndmask_b32_e32 v9, -1, v9, vcc_lo
	v_cmp_ne_u32_e32 vcc_lo, 0, v8
	s_delay_alu instid0(VALU_DEP_2) | instskip(SKIP_2) | instid1(VALU_DEP_2)
	v_cmp_ne_u32_e64 s0, 0, v9
	v_cndmask_b32_e32 v7, v7, v16, vcc_lo
	v_cndmask_b32_e32 v3, v3, v10, vcc_lo
	v_cndmask_b32_e64 v2, v2, v7, s0
	s_delay_alu instid0(VALU_DEP_2) | instskip(NEXT) | instid1(VALU_DEP_2)
	v_cndmask_b32_e64 v1, v1, v3, s0
	v_clz_i32_u32_e32 v7, v2
	s_delay_alu instid0(VALU_DEP_1) | instskip(NEXT) | instid1(VALU_DEP_1)
	v_min_u32_e32 v3, 32, v7
	v_lshlrev_b64 v[1:2], v3, v[1:2]
	s_delay_alu instid0(VALU_DEP_1) | instskip(NEXT) | instid1(VALU_DEP_1)
	v_min_u32_e32 v1, 1, v1
	v_or_b32_e32 v1, v2, v1
	v_sub_nc_u32_e32 v2, 32, v3
	s_delay_alu instid0(VALU_DEP_2) | instskip(NEXT) | instid1(VALU_DEP_1)
	v_cvt_f32_u32_e32 v1, v1
	v_ldexp_f32 v1, v1, v2
	global_store_b32 v0, v1, s[18:19]
.LBB93_8:                               ;   in Loop: Header=BB93_9 Depth=1
	s_or_b32 exec_lo, exec_lo, s34
	v_add_co_u32 v13, vcc_lo, v13, s25
	v_add_co_ci_u32_e32 v14, vcc_lo, 0, v14, vcc_lo
	v_mov_b32_e32 v7, v15
	v_dual_mov_b32 v0, v4 :: v_dual_mov_b32 v1, v5
	s_delay_alu instid0(VALU_DEP_3) | instskip(NEXT) | instid1(VALU_DEP_3)
	v_cmp_le_i64_e32 vcc_lo, s[2:3], v[13:14]
	v_dual_mov_b32 v2, v6 :: v_dual_mov_b32 v3, v7
	s_waitcnt_vscnt null, 0x0
	s_barrier
	buffer_gl0_inv
	s_or_b32 s26, vcc_lo, s26
	s_delay_alu instid0(SALU_CYCLE_1)
	s_and_not1_b32 exec_lo, exec_lo, s26
	s_cbranch_execz .LBB93_48
.LBB93_9:                               ; =>This Loop Header: Depth=1
                                        ;     Child Loop BB93_24 Depth 2
                                        ;     Child Loop BB93_29 Depth 2
	;; [unrolled: 1-line block ×4, first 2 shown]
	v_add_co_u32 v17, vcc_lo, v17, 1
	s_delay_alu instid0(VALU_DEP_1) | instskip(SKIP_2) | instid1(VALU_DEP_1)
	v_cndmask_b32_e64 v4, 0, 1, vcc_lo
	v_add_co_ci_u32_e32 v18, vcc_lo, 0, v18, vcc_lo
	s_mov_b32 s0, exec_lo
	v_cmp_eq_u32_e32 vcc_lo, 0, v18
	s_delay_alu instid0(VALU_DEP_3) | instskip(NEXT) | instid1(VALU_DEP_1)
	v_cndmask_b32_e32 v4, 0, v4, vcc_lo
	v_add_nc_u32_e32 v38, v4, v38
	s_delay_alu instid0(VALU_DEP_1) | instskip(SKIP_2) | instid1(VALU_DEP_2)
	v_cmp_eq_u32_e32 vcc_lo, 0, v38
	v_mad_u64_u32 v[6:7], null, 0xcd9e8d57, v38, 0
	v_cndmask_b32_e32 v4, 0, v4, vcc_lo
	v_xor3_b32 v9, v7, v11, v18
	s_delay_alu instid0(VALU_DEP_2) | instskip(SKIP_1) | instid1(VALU_DEP_3)
	v_add_nc_u32_e32 v39, v4, v39
	v_mad_u64_u32 v[4:5], null, 0xd2511f53, v17, 0
	v_mad_u64_u32 v[7:8], null, 0xd2511f53, v9, 0
	s_delay_alu instid0(VALU_DEP_2) | instskip(NEXT) | instid1(VALU_DEP_2)
	v_xor_b32_e32 v5, v5, v12
	v_xor3_b32 v8, v19, v8, v4
	s_delay_alu instid0(VALU_DEP_2) | instskip(NEXT) | instid1(VALU_DEP_1)
	v_xor_b32_e32 v5, v39, v5
	v_mad_u64_u32 v[9:10], null, 0xcd9e8d57, v5, 0
	s_delay_alu instid0(VALU_DEP_3) | instskip(NEXT) | instid1(VALU_DEP_2)
	v_mad_u64_u32 v[4:5], null, 0xcd9e8d57, v8, 0
	v_xor3_b32 v6, v20, v10, v6
	s_delay_alu instid0(VALU_DEP_2) | instskip(NEXT) | instid1(VALU_DEP_2)
	v_xor3_b32 v8, v21, v5, v9
	v_mad_u64_u32 v[15:16], null, 0xd2511f53, v6, 0
	s_delay_alu instid0(VALU_DEP_2) | instskip(NEXT) | instid1(VALU_DEP_2)
	v_mad_u64_u32 v[5:6], null, 0xd2511f53, v8, 0
	v_xor3_b32 v9, v22, v16, v7
	s_delay_alu instid0(VALU_DEP_2) | instskip(NEXT) | instid1(VALU_DEP_2)
	v_xor3_b32 v6, v23, v6, v15
	v_mad_u64_u32 v[7:8], null, 0xcd9e8d57, v9, 0
	s_delay_alu instid0(VALU_DEP_1) | instskip(NEXT) | instid1(VALU_DEP_3)
	v_xor3_b32 v4, v24, v8, v4
	v_mad_u64_u32 v[8:9], null, 0xcd9e8d57, v6, 0
	s_delay_alu instid0(VALU_DEP_2) | instskip(NEXT) | instid1(VALU_DEP_2)
	v_mad_u64_u32 v[15:16], null, 0xd2511f53, v4, 0
	v_xor3_b32 v6, v25, v9, v7
	s_delay_alu instid0(VALU_DEP_2) | instskip(NEXT) | instid1(VALU_DEP_2)
	v_xor3_b32 v9, v26, v16, v5
	v_mad_u64_u32 v[4:5], null, 0xd2511f53, v6, 0
	s_delay_alu instid0(VALU_DEP_2) | instskip(NEXT) | instid1(VALU_DEP_2)
	v_mad_u64_u32 v[6:7], null, 0xcd9e8d57, v9, 0
	v_xor3_b32 v5, v30, v5, v15
	s_delay_alu instid0(VALU_DEP_2) | instskip(NEXT) | instid1(VALU_DEP_2)
	;; [unrolled: 6-line block ×6, first 2 shown]
	v_xor3_b32 v4, v6, v7, v28
	v_mov_b32_e32 v6, v10
	v_cmpx_lt_i32_e32 1, v27
	s_xor_b32 s0, exec_lo, s0
	s_cbranch_execnz .LBB93_12
; %bb.10:                               ;   in Loop: Header=BB93_9 Depth=1
	s_and_not1_saveexec_b32 s0, s0
	s_cbranch_execnz .LBB93_17
.LBB93_11:                              ;   in Loop: Header=BB93_9 Depth=1
	s_or_b32 exec_lo, exec_lo, s0
	s_delay_alu instid0(SALU_CYCLE_1)
	s_mov_b32 s34, exec_lo
	v_cmpx_gt_i64_e64 s[16:17], v[13:14]
	s_cbranch_execnz .LBB93_20
	s_branch .LBB93_34
.LBB93_12:                              ;   in Loop: Header=BB93_9 Depth=1
	s_mov_b32 s1, exec_lo
	v_cmpx_lt_i32_e32 2, v27
	s_xor_b32 s1, exec_lo, s1
; %bb.13:                               ;   in Loop: Header=BB93_9 Depth=1
	v_dual_mov_b32 v7, v3 :: v_dual_mov_b32 v8, v4
	v_mov_b32_e32 v9, v5
	s_delay_alu instid0(VALU_DEP_2) | instskip(NEXT) | instid1(VALU_DEP_2)
	v_dual_mov_b32 v0, v7 :: v_dual_mov_b32 v1, v8
	v_dual_mov_b32 v2, v9 :: v_dual_mov_b32 v3, v10
; %bb.14:                               ;   in Loop: Header=BB93_9 Depth=1
	s_and_not1_saveexec_b32 s1, s1
; %bb.15:                               ;   in Loop: Header=BB93_9 Depth=1
	s_delay_alu instid0(VALU_DEP_1)
	v_dual_mov_b32 v0, v2 :: v_dual_mov_b32 v1, v3
	v_dual_mov_b32 v2, v4 :: v_dual_mov_b32 v3, v5
; %bb.16:                               ;   in Loop: Header=BB93_9 Depth=1
	s_or_b32 exec_lo, exec_lo, s1
	s_and_not1_saveexec_b32 s0, s0
	s_cbranch_execz .LBB93_11
.LBB93_17:                              ;   in Loop: Header=BB93_9 Depth=1
	s_mov_b32 s1, exec_lo
	v_cmpx_eq_u32_e32 1, v27
; %bb.18:                               ;   in Loop: Header=BB93_9 Depth=1
	v_dual_mov_b32 v0, v1 :: v_dual_mov_b32 v1, v2
	v_dual_mov_b32 v2, v3 :: v_dual_mov_b32 v3, v4
; %bb.19:                               ;   in Loop: Header=BB93_9 Depth=1
	s_or_b32 exec_lo, exec_lo, s1
	s_delay_alu instid0(SALU_CYCLE_1) | instskip(NEXT) | instid1(SALU_CYCLE_1)
	s_or_b32 exec_lo, exec_lo, s0
	s_mov_b32 s34, exec_lo
	v_cmpx_gt_i64_e64 s[16:17], v[13:14]
	s_cbranch_execz .LBB93_34
.LBB93_20:                              ;   in Loop: Header=BB93_9 Depth=1
	s_and_not1_b32 vcc_lo, exec_lo, s11
	s_cbranch_vccnz .LBB93_26
; %bb.21:                               ;   in Loop: Header=BB93_9 Depth=1
	v_mov_b32_e32 v7, 0
	s_and_not1_b32 vcc_lo, exec_lo, s27
	s_cbranch_vccnz .LBB93_30
; %bb.22:                               ;   in Loop: Header=BB93_9 Depth=1
	s_and_not1_b32 vcc_lo, exec_lo, s29
	s_mov_b32 s0, 0
	s_cbranch_vccnz .LBB93_27
; %bb.23:                               ;   in Loop: Header=BB93_9 Depth=1
	v_dual_mov_b32 v7, 0 :: v_dual_mov_b32 v8, v13
	s_mov_b32 s35, 0
	s_mov_b64 s[0:1], s[12:13]
	s_mov_b64 s[22:23], s[20:21]
.LBB93_24:                              ;   Parent Loop BB93_9 Depth=1
                                        ; =>  This Inner Loop Header: Depth=2
	s_clause 0x1
	s_load_b256 s[36:43], s[0:1], 0x4
	s_load_b128 s[44:47], s[0:1], 0x24
	s_load_b128 s[48:51], s[22:23], 0x0
	s_add_u32 s0, s0, 48
	s_addc_u32 s1, s1, 0
	s_add_i32 s35, s35, 4
	s_add_u32 s22, s22, 16
	s_addc_u32 s23, s23, 0
	s_cmp_lg_u32 s30, s35
	s_waitcnt lgkmcnt(0)
	v_mul_hi_u32 v9, s37, v8
	s_delay_alu instid0(VALU_DEP_1) | instskip(NEXT) | instid1(VALU_DEP_1)
	v_add_nc_u32_e32 v9, v8, v9
	v_lshrrev_b32_e32 v9, s38, v9
	s_delay_alu instid0(VALU_DEP_1) | instskip(SKIP_1) | instid1(VALU_DEP_2)
	v_mul_hi_u32 v10, s40, v9
	v_mul_lo_u32 v41, v9, s36
	v_add_nc_u32_e32 v10, v9, v10
	s_delay_alu instid0(VALU_DEP_2) | instskip(NEXT) | instid1(VALU_DEP_2)
	v_sub_nc_u32_e32 v41, v8, v41
	v_lshrrev_b32_e32 v10, s41, v10
	s_delay_alu instid0(VALU_DEP_2) | instskip(NEXT) | instid1(VALU_DEP_2)
	v_mul_lo_u32 v41, v41, s48
	v_mul_hi_u32 v16, s43, v10
	v_mul_lo_u32 v42, v10, s39
	s_delay_alu instid0(VALU_DEP_2) | instskip(NEXT) | instid1(VALU_DEP_2)
	v_add_nc_u32_e32 v16, v10, v16
	v_sub_nc_u32_e32 v9, v9, v42
	s_delay_alu instid0(VALU_DEP_2) | instskip(NEXT) | instid1(VALU_DEP_2)
	v_lshrrev_b32_e32 v16, s44, v16
	v_mul_lo_u32 v9, v9, s49
	s_delay_alu instid0(VALU_DEP_2) | instskip(NEXT) | instid1(VALU_DEP_2)
	v_mul_hi_u32 v40, s46, v16
	v_add3_u32 v7, v41, v7, v9
	s_delay_alu instid0(VALU_DEP_2) | instskip(NEXT) | instid1(VALU_DEP_1)
	v_add_nc_u32_e32 v40, v16, v40
	v_lshrrev_b32_e32 v8, s47, v40
	v_mul_lo_u32 v40, v16, s42
	s_delay_alu instid0(VALU_DEP_2) | instskip(NEXT) | instid1(VALU_DEP_2)
	v_mul_lo_u32 v43, v8, s45
	v_sub_nc_u32_e32 v10, v10, v40
	s_delay_alu instid0(VALU_DEP_2) | instskip(NEXT) | instid1(VALU_DEP_2)
	v_sub_nc_u32_e32 v16, v16, v43
	v_mul_lo_u32 v10, v10, s50
	s_delay_alu instid0(VALU_DEP_2) | instskip(NEXT) | instid1(VALU_DEP_1)
	v_mul_lo_u32 v16, v16, s51
	v_add3_u32 v7, v10, v7, v16
	s_cbranch_scc1 .LBB93_24
; %bb.25:                               ;   in Loop: Header=BB93_9 Depth=1
	s_mov_b32 s0, s30
	s_and_not1_b32 vcc_lo, exec_lo, s31
	s_cbranch_vccz .LBB93_28
	s_branch .LBB93_30
.LBB93_26:                              ;   in Loop: Header=BB93_9 Depth=1
                                        ; implicit-def: $vgpr7
	s_branch .LBB93_31
.LBB93_27:                              ;   in Loop: Header=BB93_9 Depth=1
	v_mov_b32_e32 v8, v13
	s_and_not1_b32 vcc_lo, exec_lo, s31
	s_cbranch_vccnz .LBB93_30
.LBB93_28:                              ;   in Loop: Header=BB93_9 Depth=1
	s_lshl_b32 s1, s0, 2
	s_mul_i32 s22, s0, 12
	s_add_u32 s0, s20, s1
	s_addc_u32 s1, s21, 0
	s_add_u32 s22, s12, s22
	s_addc_u32 s23, s13, 0
	s_mov_b32 s35, s28
	.p2align	6
.LBB93_29:                              ;   Parent Loop BB93_9 Depth=1
                                        ; =>  This Inner Loop Header: Depth=2
	s_clause 0x1
	s_load_b64 s[36:37], s[22:23], 0x4
	s_load_b32 s38, s[22:23], 0xc
	s_add_u32 s22, s22, 12
	s_addc_u32 s23, s23, 0
	s_waitcnt lgkmcnt(0)
	v_mul_hi_u32 v9, s37, v8
	s_load_b32 s37, s[0:1], 0x0
	s_add_u32 s0, s0, 4
	s_addc_u32 s1, s1, 0
	s_add_i32 s35, s35, -1
	s_delay_alu instid0(SALU_CYCLE_1) | instskip(NEXT) | instid1(VALU_DEP_1)
	s_cmp_lg_u32 s35, 0
	v_add_nc_u32_e32 v9, v8, v9
	s_delay_alu instid0(VALU_DEP_1) | instskip(NEXT) | instid1(VALU_DEP_1)
	v_lshrrev_b32_e32 v16, s38, v9
	v_mul_lo_u32 v9, v16, s36
	s_delay_alu instid0(VALU_DEP_1) | instskip(SKIP_1) | instid1(VALU_DEP_1)
	v_sub_nc_u32_e32 v8, v8, v9
	s_waitcnt lgkmcnt(0)
	v_mad_u64_u32 v[9:10], null, v8, s37, v[7:8]
	s_delay_alu instid0(VALU_DEP_1)
	v_dual_mov_b32 v8, v16 :: v_dual_mov_b32 v7, v9
	s_cbranch_scc1 .LBB93_29
.LBB93_30:                              ;   in Loop: Header=BB93_9 Depth=1
	s_cbranch_execnz .LBB93_33
.LBB93_31:                              ;   in Loop: Header=BB93_9 Depth=1
	v_mul_hi_u32 v7, v13, s6
	s_and_not1_b32 vcc_lo, exec_lo, s4
	s_delay_alu instid0(VALU_DEP_1) | instskip(NEXT) | instid1(VALU_DEP_1)
	v_add_nc_u32_e32 v7, v7, v13
	v_lshrrev_b32_e32 v8, s7, v7
	s_delay_alu instid0(VALU_DEP_1) | instskip(NEXT) | instid1(VALU_DEP_1)
	v_mul_lo_u32 v7, v8, s5
	v_sub_nc_u32_e32 v7, v13, v7
	s_delay_alu instid0(VALU_DEP_1)
	v_mul_lo_u32 v7, v7, s14
	s_cbranch_vccnz .LBB93_33
; %bb.32:                               ;   in Loop: Header=BB93_9 Depth=1
	v_mul_hi_u32 v9, s9, v8
	s_delay_alu instid0(VALU_DEP_1) | instskip(NEXT) | instid1(VALU_DEP_1)
	v_add_nc_u32_e32 v9, v8, v9
	v_lshrrev_b32_e32 v9, s10, v9
	s_delay_alu instid0(VALU_DEP_1) | instskip(NEXT) | instid1(VALU_DEP_1)
	v_mul_lo_u32 v9, v9, s8
	v_sub_nc_u32_e32 v10, v8, v9
	s_delay_alu instid0(VALU_DEP_1) | instskip(NEXT) | instid1(VALU_DEP_1)
	v_mad_u64_u32 v[8:9], null, v10, s15, v[7:8]
	v_mov_b32_e32 v7, v8
.LBB93_33:                              ;   in Loop: Header=BB93_9 Depth=1
	s_add_u32 s0, 0x2ff, s33
	s_addc_u32 s1, 0, 0
	v_add_co_u32 v8, s0, 0xfffc0000, s0
	s_delay_alu instid0(VALU_DEP_1) | instskip(SKIP_1) | instid1(VALU_DEP_1)
	s_cmp_lg_u32 s0, 0
	s_addc_u32 s1, s1, 0xff
	v_readfirstlane_b32 s0, v8
	s_mul_i32 s22, s1, 0xfeffffff
	s_delay_alu instid0(VALU_DEP_1)
	s_mul_hi_u32 s23, s0, 0xfeffffff
	s_mul_i32 s35, s0, 0xfeffffff
	s_sub_i32 s23, s23, s0
	s_mul_hi_u32 s36, s0, s35
	s_add_i32 s23, s23, s22
	s_mul_hi_u32 s37, s1, s35
	s_mul_i32 s22, s1, s35
	s_mul_hi_u32 s35, s0, s23
	s_mul_i32 s0, s0, s23
	s_mul_hi_u32 s38, s1, s23
	s_add_u32 s0, s36, s0
	s_addc_u32 s35, 0, s35
	s_add_u32 s0, s0, s22
	s_mul_i32 s23, s1, s23
	s_addc_u32 s0, s35, s37
	s_addc_u32 s22, s38, 0
	s_add_u32 s0, s0, s23
	s_addc_u32 s22, 0, s22
	v_add_co_u32 v10, s0, v8, s0
	s_delay_alu instid0(VALU_DEP_1) | instskip(SKIP_1) | instid1(VALU_DEP_1)
	s_cmp_lg_u32 s0, 0
	s_addc_u32 s0, s1, s22
	v_mul_hi_u32 v16, v1, v10
	v_mad_u64_u32 v[8:9], null, v1, s0, 0
	v_mad_u64_u32 v[40:41], null, v0, v10, 0
	;; [unrolled: 1-line block ×3, first 2 shown]
	s_delay_alu instid0(VALU_DEP_3) | instskip(NEXT) | instid1(VALU_DEP_4)
	v_add_co_u32 v8, vcc_lo, v16, v8
	v_add_co_ci_u32_e32 v9, vcc_lo, 0, v9, vcc_lo
	s_delay_alu instid0(VALU_DEP_2) | instskip(NEXT) | instid1(VALU_DEP_2)
	v_add_co_u32 v8, vcc_lo, v8, v40
	v_add_co_ci_u32_e32 v8, vcc_lo, v9, v41, vcc_lo
	v_add_co_ci_u32_e32 v9, vcc_lo, 0, v43, vcc_lo
	s_delay_alu instid0(VALU_DEP_2) | instskip(NEXT) | instid1(VALU_DEP_2)
	v_add_co_u32 v10, vcc_lo, v8, v42
	v_add_co_ci_u32_e32 v16, vcc_lo, 0, v9, vcc_lo
	s_delay_alu instid0(VALU_DEP_2) | instskip(NEXT) | instid1(VALU_DEP_1)
	v_mad_u64_u32 v[8:9], null, 0x1000001, v10, 0
	v_mad_u64_u32 v[40:41], null, 0x1000001, v16, v[9:10]
	s_delay_alu instid0(VALU_DEP_2) | instskip(NEXT) | instid1(VALU_DEP_2)
	v_sub_co_u32 v8, vcc_lo, v1, v8
	v_sub_co_ci_u32_e32 v0, vcc_lo, v0, v40, vcc_lo
	s_delay_alu instid0(VALU_DEP_2) | instskip(NEXT) | instid1(VALU_DEP_2)
	v_subrev_co_u32 v9, vcc_lo, 0x1000001, v8
	v_subrev_co_ci_u32_e32 v1, vcc_lo, 0, v0, vcc_lo
	s_delay_alu instid0(VALU_DEP_2) | instskip(SKIP_4) | instid1(VALU_DEP_4)
	v_cmp_lt_u32_e32 vcc_lo, 0x1000000, v9
	v_cndmask_b32_e64 v10, 0, -1, vcc_lo
	v_cmp_lt_u32_e32 vcc_lo, 0x1000000, v8
	v_cndmask_b32_e64 v16, 0, -1, vcc_lo
	v_cmp_eq_u32_e32 vcc_lo, 0, v1
	v_cndmask_b32_e32 v10, -1, v10, vcc_lo
	v_subrev_co_u32 v40, vcc_lo, 0x1000001, v9
	v_subrev_co_ci_u32_e32 v41, vcc_lo, 0, v1, vcc_lo
	v_cmp_eq_u32_e32 vcc_lo, 0, v0
	v_cndmask_b32_e32 v16, -1, v16, vcc_lo
	v_cmp_ne_u32_e32 vcc_lo, 0, v10
	s_delay_alu instid0(VALU_DEP_2) | instskip(SKIP_1) | instid1(VALU_DEP_1)
	v_cmp_ne_u32_e64 s0, 0, v16
	v_cndmask_b32_e32 v1, v1, v41, vcc_lo
	v_cndmask_b32_e64 v1, v0, v1, s0
	v_cndmask_b32_e32 v0, v9, v40, vcc_lo
	s_delay_alu instid0(VALU_DEP_2) | instskip(NEXT) | instid1(VALU_DEP_2)
	v_clz_i32_u32_e32 v9, v1
	v_cndmask_b32_e64 v0, v8, v0, s0
	s_delay_alu instid0(VALU_DEP_2) | instskip(NEXT) | instid1(VALU_DEP_1)
	v_min_u32_e32 v8, 32, v9
	v_lshlrev_b64 v[0:1], v8, v[0:1]
	s_delay_alu instid0(VALU_DEP_1) | instskip(NEXT) | instid1(VALU_DEP_1)
	v_min_u32_e32 v0, 1, v0
	v_or_b32_e32 v0, v1, v0
	v_sub_nc_u32_e32 v1, 32, v8
	s_delay_alu instid0(VALU_DEP_2) | instskip(NEXT) | instid1(VALU_DEP_1)
	v_cvt_f32_u32_e32 v0, v0
	v_ldexp_f32 v0, v0, v1
	global_store_b32 v7, v0, s[18:19]
.LBB93_34:                              ;   in Loop: Header=BB93_9 Depth=1
	s_or_b32 exec_lo, exec_lo, s34
	v_add_co_u32 v7, vcc_lo, v13, s24
	v_add_co_ci_u32_e32 v8, vcc_lo, 0, v14, vcc_lo
	s_mov_b32 s34, exec_lo
	s_delay_alu instid0(VALU_DEP_1)
	v_cmpx_gt_i64_e64 s[16:17], v[7:8]
	s_cbranch_execz .LBB93_8
; %bb.35:                               ;   in Loop: Header=BB93_9 Depth=1
	s_and_not1_b32 vcc_lo, exec_lo, s11
	s_cbranch_vccnz .LBB93_41
; %bb.36:                               ;   in Loop: Header=BB93_9 Depth=1
	v_mov_b32_e32 v0, 0
	s_and_not1_b32 vcc_lo, exec_lo, s27
	s_cbranch_vccnz .LBB93_45
; %bb.37:                               ;   in Loop: Header=BB93_9 Depth=1
	s_and_not1_b32 vcc_lo, exec_lo, s29
	s_mov_b32 s0, 0
	s_cbranch_vccnz .LBB93_42
; %bb.38:                               ;   in Loop: Header=BB93_9 Depth=1
	v_dual_mov_b32 v0, 0 :: v_dual_mov_b32 v1, v7
	s_mov_b32 s35, 0
	s_mov_b64 s[0:1], s[12:13]
	s_mov_b64 s[22:23], s[20:21]
.LBB93_39:                              ;   Parent Loop BB93_9 Depth=1
                                        ; =>  This Inner Loop Header: Depth=2
	s_clause 0x1
	s_load_b256 s[36:43], s[0:1], 0x4
	s_load_b128 s[44:47], s[0:1], 0x24
	s_load_b128 s[48:51], s[22:23], 0x0
	s_add_u32 s0, s0, 48
	s_addc_u32 s1, s1, 0
	s_add_i32 s35, s35, 4
	s_add_u32 s22, s22, 16
	s_addc_u32 s23, s23, 0
	s_cmp_eq_u32 s30, s35
	s_waitcnt lgkmcnt(0)
	v_mul_hi_u32 v8, s37, v1
	s_delay_alu instid0(VALU_DEP_1) | instskip(NEXT) | instid1(VALU_DEP_1)
	v_add_nc_u32_e32 v8, v1, v8
	v_lshrrev_b32_e32 v8, s38, v8
	s_delay_alu instid0(VALU_DEP_1) | instskip(SKIP_1) | instid1(VALU_DEP_2)
	v_mul_hi_u32 v9, s40, v8
	v_mul_lo_u32 v40, v8, s36
	v_add_nc_u32_e32 v9, v8, v9
	s_delay_alu instid0(VALU_DEP_2) | instskip(NEXT) | instid1(VALU_DEP_2)
	v_sub_nc_u32_e32 v40, v1, v40
	v_lshrrev_b32_e32 v9, s41, v9
	s_delay_alu instid0(VALU_DEP_2) | instskip(NEXT) | instid1(VALU_DEP_2)
	v_mul_lo_u32 v40, v40, s48
	v_mul_hi_u32 v10, s43, v9
	v_mul_lo_u32 v41, v9, s39
	s_delay_alu instid0(VALU_DEP_2) | instskip(NEXT) | instid1(VALU_DEP_2)
	v_add_nc_u32_e32 v10, v9, v10
	v_sub_nc_u32_e32 v8, v8, v41
	s_delay_alu instid0(VALU_DEP_2) | instskip(NEXT) | instid1(VALU_DEP_2)
	v_lshrrev_b32_e32 v10, s44, v10
	v_mul_lo_u32 v8, v8, s49
	s_delay_alu instid0(VALU_DEP_2) | instskip(NEXT) | instid1(VALU_DEP_2)
	v_mul_hi_u32 v16, s46, v10
	v_add3_u32 v0, v40, v0, v8
	s_delay_alu instid0(VALU_DEP_2) | instskip(NEXT) | instid1(VALU_DEP_1)
	v_add_nc_u32_e32 v16, v10, v16
	v_lshrrev_b32_e32 v1, s47, v16
	v_mul_lo_u32 v16, v10, s42
	s_delay_alu instid0(VALU_DEP_2) | instskip(NEXT) | instid1(VALU_DEP_2)
	v_mul_lo_u32 v42, v1, s45
	v_sub_nc_u32_e32 v9, v9, v16
	s_delay_alu instid0(VALU_DEP_2) | instskip(NEXT) | instid1(VALU_DEP_2)
	v_sub_nc_u32_e32 v10, v10, v42
	v_mul_lo_u32 v9, v9, s50
	s_delay_alu instid0(VALU_DEP_2) | instskip(NEXT) | instid1(VALU_DEP_1)
	v_mul_lo_u32 v10, v10, s51
	v_add3_u32 v0, v9, v0, v10
	s_cbranch_scc0 .LBB93_39
; %bb.40:                               ;   in Loop: Header=BB93_9 Depth=1
	s_mov_b32 s0, s30
	s_and_not1_b32 vcc_lo, exec_lo, s31
	s_cbranch_vccz .LBB93_43
	s_branch .LBB93_45
.LBB93_41:                              ;   in Loop: Header=BB93_9 Depth=1
                                        ; implicit-def: $vgpr0
	s_branch .LBB93_46
.LBB93_42:                              ;   in Loop: Header=BB93_9 Depth=1
	v_mov_b32_e32 v1, v7
	s_and_not1_b32 vcc_lo, exec_lo, s31
	s_cbranch_vccnz .LBB93_45
.LBB93_43:                              ;   in Loop: Header=BB93_9 Depth=1
	s_lshl_b32 s1, s0, 2
	s_mul_i32 s22, s0, 12
	s_add_u32 s0, s20, s1
	s_addc_u32 s1, s21, 0
	s_add_u32 s22, s12, s22
	s_addc_u32 s23, s13, 0
	s_mov_b32 s35, s28
	.p2align	6
.LBB93_44:                              ;   Parent Loop BB93_9 Depth=1
                                        ; =>  This Inner Loop Header: Depth=2
	s_clause 0x1
	s_load_b64 s[36:37], s[22:23], 0x4
	s_load_b32 s38, s[22:23], 0xc
	s_add_u32 s22, s22, 12
	s_addc_u32 s23, s23, 0
	s_waitcnt lgkmcnt(0)
	v_mul_hi_u32 v8, s37, v1
	s_load_b32 s37, s[0:1], 0x0
	s_add_u32 s0, s0, 4
	s_addc_u32 s1, s1, 0
	s_add_i32 s35, s35, -1
	s_delay_alu instid0(SALU_CYCLE_1) | instskip(NEXT) | instid1(VALU_DEP_1)
	s_cmp_lg_u32 s35, 0
	v_add_nc_u32_e32 v8, v1, v8
	s_delay_alu instid0(VALU_DEP_1) | instskip(NEXT) | instid1(VALU_DEP_1)
	v_lshrrev_b32_e32 v10, s38, v8
	v_mul_lo_u32 v8, v10, s36
	s_delay_alu instid0(VALU_DEP_1) | instskip(SKIP_1) | instid1(VALU_DEP_1)
	v_sub_nc_u32_e32 v1, v1, v8
	s_waitcnt lgkmcnt(0)
	v_mad_u64_u32 v[8:9], null, v1, s37, v[0:1]
	s_delay_alu instid0(VALU_DEP_1)
	v_dual_mov_b32 v1, v10 :: v_dual_mov_b32 v0, v8
	s_cbranch_scc1 .LBB93_44
.LBB93_45:                              ;   in Loop: Header=BB93_9 Depth=1
	s_cbranch_execnz .LBB93_7
.LBB93_46:                              ;   in Loop: Header=BB93_9 Depth=1
	v_mul_hi_u32 v0, v7, s6
	s_and_not1_b32 vcc_lo, exec_lo, s4
	s_delay_alu instid0(VALU_DEP_1) | instskip(NEXT) | instid1(VALU_DEP_1)
	v_add_nc_u32_e32 v0, v0, v7
	v_lshrrev_b32_e32 v1, s7, v0
	s_delay_alu instid0(VALU_DEP_1) | instskip(NEXT) | instid1(VALU_DEP_1)
	v_mul_lo_u32 v0, v1, s5
	v_sub_nc_u32_e32 v0, v7, v0
	s_delay_alu instid0(VALU_DEP_1)
	v_mul_lo_u32 v0, v0, s14
	s_cbranch_vccnz .LBB93_7
; %bb.47:                               ;   in Loop: Header=BB93_9 Depth=1
	v_mul_hi_u32 v7, s9, v1
	s_delay_alu instid0(VALU_DEP_1) | instskip(NEXT) | instid1(VALU_DEP_1)
	v_add_nc_u32_e32 v7, v1, v7
	v_lshrrev_b32_e32 v7, s10, v7
	s_delay_alu instid0(VALU_DEP_1) | instskip(NEXT) | instid1(VALU_DEP_1)
	v_mul_lo_u32 v7, v7, s8
	v_sub_nc_u32_e32 v1, v1, v7
	s_delay_alu instid0(VALU_DEP_1) | instskip(NEXT) | instid1(VALU_DEP_1)
	v_mad_u64_u32 v[7:8], null, v1, s15, v[0:1]
	v_mov_b32_e32 v0, v7
	s_branch .LBB93_7
.LBB93_48:
	s_endpgm
.LBB93_49:
                                        ; implicit-def: $sgpr2_sgpr3
	s_branch .LBB93_4
	.section	.rodata,"a",@progbits
	.p2align	6, 0x0
	.amdhsa_kernel _ZN2at6native12_GLOBAL__N_143distribution_elementwise_grid_stride_kernelImLi2EZZZNS0_9templates4cuda13random_kernelIPNS_17CUDAGeneratorImplEEEvRNS_18TensorIteratorBaseET_ENKUlvE_clEvENKUlvE5_clEvEUlP25hiprandStatePhilox4_32_10E_ZNS1_27distribution_nullary_kernelIfm15HIP_vector_typeIyLj2EES7_SF_ZZZNS5_IS7_EEvS9_SA_ENKSB_clEvENKSC_clEvEUlmE_EEvS9_T2_RKT3_T4_EUlimE0_EEvlNS_15PhiloxCudaStateET1_SK_
		.amdhsa_group_segment_fixed_size 0
		.amdhsa_private_segment_fixed_size 0
		.amdhsa_kernarg_size 584
		.amdhsa_user_sgpr_count 15
		.amdhsa_user_sgpr_dispatch_ptr 0
		.amdhsa_user_sgpr_queue_ptr 0
		.amdhsa_user_sgpr_kernarg_segment_ptr 1
		.amdhsa_user_sgpr_dispatch_id 0
		.amdhsa_user_sgpr_private_segment_size 0
		.amdhsa_wavefront_size32 1
		.amdhsa_uses_dynamic_stack 0
		.amdhsa_enable_private_segment 0
		.amdhsa_system_sgpr_workgroup_id_x 1
		.amdhsa_system_sgpr_workgroup_id_y 0
		.amdhsa_system_sgpr_workgroup_id_z 0
		.amdhsa_system_sgpr_workgroup_info 0
		.amdhsa_system_vgpr_workitem_id 0
		.amdhsa_next_free_vgpr 44
		.amdhsa_next_free_sgpr 52
		.amdhsa_reserve_vcc 1
		.amdhsa_float_round_mode_32 0
		.amdhsa_float_round_mode_16_64 0
		.amdhsa_float_denorm_mode_32 3
		.amdhsa_float_denorm_mode_16_64 3
		.amdhsa_dx10_clamp 1
		.amdhsa_ieee_mode 1
		.amdhsa_fp16_overflow 0
		.amdhsa_workgroup_processor_mode 1
		.amdhsa_memory_ordered 1
		.amdhsa_forward_progress 0
		.amdhsa_shared_vgpr_count 0
		.amdhsa_exception_fp_ieee_invalid_op 0
		.amdhsa_exception_fp_denorm_src 0
		.amdhsa_exception_fp_ieee_div_zero 0
		.amdhsa_exception_fp_ieee_overflow 0
		.amdhsa_exception_fp_ieee_underflow 0
		.amdhsa_exception_fp_ieee_inexact 0
		.amdhsa_exception_int_div_zero 0
	.end_amdhsa_kernel
	.section	.text._ZN2at6native12_GLOBAL__N_143distribution_elementwise_grid_stride_kernelImLi2EZZZNS0_9templates4cuda13random_kernelIPNS_17CUDAGeneratorImplEEEvRNS_18TensorIteratorBaseET_ENKUlvE_clEvENKUlvE5_clEvEUlP25hiprandStatePhilox4_32_10E_ZNS1_27distribution_nullary_kernelIfm15HIP_vector_typeIyLj2EES7_SF_ZZZNS5_IS7_EEvS9_SA_ENKSB_clEvENKSC_clEvEUlmE_EEvS9_T2_RKT3_T4_EUlimE0_EEvlNS_15PhiloxCudaStateET1_SK_,"axG",@progbits,_ZN2at6native12_GLOBAL__N_143distribution_elementwise_grid_stride_kernelImLi2EZZZNS0_9templates4cuda13random_kernelIPNS_17CUDAGeneratorImplEEEvRNS_18TensorIteratorBaseET_ENKUlvE_clEvENKUlvE5_clEvEUlP25hiprandStatePhilox4_32_10E_ZNS1_27distribution_nullary_kernelIfm15HIP_vector_typeIyLj2EES7_SF_ZZZNS5_IS7_EEvS9_SA_ENKSB_clEvENKSC_clEvEUlmE_EEvS9_T2_RKT3_T4_EUlimE0_EEvlNS_15PhiloxCudaStateET1_SK_,comdat
.Lfunc_end93:
	.size	_ZN2at6native12_GLOBAL__N_143distribution_elementwise_grid_stride_kernelImLi2EZZZNS0_9templates4cuda13random_kernelIPNS_17CUDAGeneratorImplEEEvRNS_18TensorIteratorBaseET_ENKUlvE_clEvENKUlvE5_clEvEUlP25hiprandStatePhilox4_32_10E_ZNS1_27distribution_nullary_kernelIfm15HIP_vector_typeIyLj2EES7_SF_ZZZNS5_IS7_EEvS9_SA_ENKSB_clEvENKSC_clEvEUlmE_EEvS9_T2_RKT3_T4_EUlimE0_EEvlNS_15PhiloxCudaStateET1_SK_, .Lfunc_end93-_ZN2at6native12_GLOBAL__N_143distribution_elementwise_grid_stride_kernelImLi2EZZZNS0_9templates4cuda13random_kernelIPNS_17CUDAGeneratorImplEEEvRNS_18TensorIteratorBaseET_ENKUlvE_clEvENKUlvE5_clEvEUlP25hiprandStatePhilox4_32_10E_ZNS1_27distribution_nullary_kernelIfm15HIP_vector_typeIyLj2EES7_SF_ZZZNS5_IS7_EEvS9_SA_ENKSB_clEvENKSC_clEvEUlmE_EEvS9_T2_RKT3_T4_EUlimE0_EEvlNS_15PhiloxCudaStateET1_SK_
                                        ; -- End function
	.section	.AMDGPU.csdata,"",@progbits
; Kernel info:
; codeLenInByte = 4764
; NumSgprs: 54
; NumVgprs: 44
; ScratchSize: 0
; MemoryBound: 0
; FloatMode: 240
; IeeeMode: 1
; LDSByteSize: 0 bytes/workgroup (compile time only)
; SGPRBlocks: 6
; VGPRBlocks: 5
; NumSGPRsForWavesPerEU: 54
; NumVGPRsForWavesPerEU: 44
; Occupancy: 16
; WaveLimiterHint : 1
; COMPUTE_PGM_RSRC2:SCRATCH_EN: 0
; COMPUTE_PGM_RSRC2:USER_SGPR: 15
; COMPUTE_PGM_RSRC2:TRAP_HANDLER: 0
; COMPUTE_PGM_RSRC2:TGID_X_EN: 1
; COMPUTE_PGM_RSRC2:TGID_Y_EN: 0
; COMPUTE_PGM_RSRC2:TGID_Z_EN: 0
; COMPUTE_PGM_RSRC2:TIDIG_COMP_CNT: 0
	.section	.text._ZN2at6native12_GLOBAL__N_143distribution_elementwise_grid_stride_kernelIjLi4EZZZNS0_9templates4cuda13random_kernelIPNS_17CUDAGeneratorImplEEEvRNS_18TensorIteratorBaseET_ENKUlvE_clEvENKUlvE5_clEvEUlP25hiprandStatePhilox4_32_10E0_ZNS1_27distribution_nullary_kernelIfj15HIP_vector_typeIjLj4EES7_SF_ZZZNS5_IS7_EEvS9_SA_ENKSB_clEvENKSC_clEvEUljE_EEvS9_T2_RKT3_T4_EUlijE_EEvlNS_15PhiloxCudaStateET1_SK_,"axG",@progbits,_ZN2at6native12_GLOBAL__N_143distribution_elementwise_grid_stride_kernelIjLi4EZZZNS0_9templates4cuda13random_kernelIPNS_17CUDAGeneratorImplEEEvRNS_18TensorIteratorBaseET_ENKUlvE_clEvENKUlvE5_clEvEUlP25hiprandStatePhilox4_32_10E0_ZNS1_27distribution_nullary_kernelIfj15HIP_vector_typeIjLj4EES7_SF_ZZZNS5_IS7_EEvS9_SA_ENKSB_clEvENKSC_clEvEUljE_EEvS9_T2_RKT3_T4_EUlijE_EEvlNS_15PhiloxCudaStateET1_SK_,comdat
	.globl	_ZN2at6native12_GLOBAL__N_143distribution_elementwise_grid_stride_kernelIjLi4EZZZNS0_9templates4cuda13random_kernelIPNS_17CUDAGeneratorImplEEEvRNS_18TensorIteratorBaseET_ENKUlvE_clEvENKUlvE5_clEvEUlP25hiprandStatePhilox4_32_10E0_ZNS1_27distribution_nullary_kernelIfj15HIP_vector_typeIjLj4EES7_SF_ZZZNS5_IS7_EEvS9_SA_ENKSB_clEvENKSC_clEvEUljE_EEvS9_T2_RKT3_T4_EUlijE_EEvlNS_15PhiloxCudaStateET1_SK_ ; -- Begin function _ZN2at6native12_GLOBAL__N_143distribution_elementwise_grid_stride_kernelIjLi4EZZZNS0_9templates4cuda13random_kernelIPNS_17CUDAGeneratorImplEEEvRNS_18TensorIteratorBaseET_ENKUlvE_clEvENKUlvE5_clEvEUlP25hiprandStatePhilox4_32_10E0_ZNS1_27distribution_nullary_kernelIfj15HIP_vector_typeIjLj4EES7_SF_ZZZNS5_IS7_EEvS9_SA_ENKSB_clEvENKSC_clEvEUljE_EEvS9_T2_RKT3_T4_EUlijE_EEvlNS_15PhiloxCudaStateET1_SK_
	.p2align	8
	.type	_ZN2at6native12_GLOBAL__N_143distribution_elementwise_grid_stride_kernelIjLi4EZZZNS0_9templates4cuda13random_kernelIPNS_17CUDAGeneratorImplEEEvRNS_18TensorIteratorBaseET_ENKUlvE_clEvENKUlvE5_clEvEUlP25hiprandStatePhilox4_32_10E0_ZNS1_27distribution_nullary_kernelIfj15HIP_vector_typeIjLj4EES7_SF_ZZZNS5_IS7_EEvS9_SA_ENKSB_clEvENKSC_clEvEUljE_EEvS9_T2_RKT3_T4_EUlijE_EEvlNS_15PhiloxCudaStateET1_SK_,@function
_ZN2at6native12_GLOBAL__N_143distribution_elementwise_grid_stride_kernelIjLi4EZZZNS0_9templates4cuda13random_kernelIPNS_17CUDAGeneratorImplEEEvRNS_18TensorIteratorBaseET_ENKUlvE_clEvENKUlvE5_clEvEUlP25hiprandStatePhilox4_32_10E0_ZNS1_27distribution_nullary_kernelIfj15HIP_vector_typeIjLj4EES7_SF_ZZZNS5_IS7_EEvS9_SA_ENKSB_clEvENKSC_clEvEUljE_EEvS9_T2_RKT3_T4_EUlijE_EEvlNS_15PhiloxCudaStateET1_SK_: ; @_ZN2at6native12_GLOBAL__N_143distribution_elementwise_grid_stride_kernelIjLi4EZZZNS0_9templates4cuda13random_kernelIPNS_17CUDAGeneratorImplEEEvRNS_18TensorIteratorBaseET_ENKUlvE_clEvENKUlvE5_clEvEUlP25hiprandStatePhilox4_32_10E0_ZNS1_27distribution_nullary_kernelIfj15HIP_vector_typeIjLj4EES7_SF_ZZZNS5_IS7_EEvS9_SA_ENKSB_clEvENKSC_clEvEUljE_EEvS9_T2_RKT3_T4_EUlijE_EEvlNS_15PhiloxCudaStateET1_SK_
; %bb.0:
	s_clause 0x2
	s_load_b64 s[8:9], s[0:1], 0x10
	s_load_b128 s[4:7], s[0:1], 0x0
	s_load_b32 s2, s[0:1], 0x20
	s_waitcnt lgkmcnt(0)
	v_dual_mov_b32 v2, s8 :: v_dual_mov_b32 v3, s9
	v_dual_mov_b32 v12, s7 :: v_dual_mov_b32 v11, s6
	s_bitcmp0_b32 s2, 0
	s_mov_b32 s2, 0
	s_cbranch_scc1 .LBB94_2
; %bb.1:
	v_dual_mov_b32 v1, s8 :: v_dual_mov_b32 v2, s9
	v_dual_mov_b32 v4, s6 :: v_dual_mov_b32 v5, s7
	s_load_b64 s[6:7], s[0:1], 0x18
	flat_load_b64 v[2:3], v[1:2]
	flat_load_b64 v[11:12], v[4:5]
	s_waitcnt vmcnt(1) lgkmcnt(0)
	v_add_co_u32 v2, vcc_lo, v2, s6
	v_add_co_ci_u32_e32 v3, vcc_lo, s7, v3, vcc_lo
.LBB94_2:
	s_clause 0x1
	s_load_b32 s3, s[0:1], 0x4c
	s_load_b32 s11, s[0:1], 0x40
	s_waitcnt lgkmcnt(0)
	s_and_b32 s10, s3, 0xffff
	s_add_u32 s6, s4, -1
	s_mul_i32 s8, s11, s10
	s_addc_u32 s3, s5, -1
	s_lshl_b32 s9, s8, 2
	s_cmp_lg_u64 s[2:3], 0
	s_cbranch_scc0 .LBB94_27
; %bb.3:
	v_cvt_f32_ubyte0_e32 v1, 0
	v_cvt_f32_u32_e32 v4, s9
	s_sub_u32 s12, 0, s9
	s_subb_u32 s13, 0, 0
	s_delay_alu instid0(VALU_DEP_1) | instskip(NEXT) | instid1(VALU_DEP_1)
	v_fmamk_f32 v1, v1, 0x4f800000, v4
	v_rcp_f32_e32 v1, v1
	s_waitcnt_depctr 0xfff
	v_mul_f32_e32 v1, 0x5f7ffffc, v1
	s_delay_alu instid0(VALU_DEP_1) | instskip(NEXT) | instid1(VALU_DEP_1)
	v_mul_f32_e32 v4, 0x2f800000, v1
	v_trunc_f32_e32 v4, v4
	s_delay_alu instid0(VALU_DEP_1) | instskip(SKIP_1) | instid1(VALU_DEP_2)
	v_fmamk_f32 v1, v4, 0xcf800000, v1
	v_cvt_u32_f32_e32 v4, v4
	v_cvt_u32_f32_e32 v1, v1
	s_delay_alu instid0(VALU_DEP_2) | instskip(NEXT) | instid1(VALU_DEP_2)
	v_readfirstlane_b32 s2, v4
	v_readfirstlane_b32 s7, v1
	s_delay_alu instid0(VALU_DEP_2) | instskip(NEXT) | instid1(VALU_DEP_1)
	s_mul_i32 s14, s12, s2
	s_mul_hi_u32 s17, s12, s7
	s_mul_i32 s16, s13, s7
	s_add_i32 s14, s17, s14
	s_mul_i32 s18, s12, s7
	s_add_i32 s14, s14, s16
	s_mul_hi_u32 s17, s7, s18
	s_mul_hi_u32 s19, s2, s18
	s_mul_i32 s16, s2, s18
	s_mul_hi_u32 s18, s7, s14
	s_mul_i32 s7, s7, s14
	s_mul_hi_u32 s20, s2, s14
	s_add_u32 s7, s17, s7
	s_addc_u32 s17, 0, s18
	s_add_u32 s7, s7, s16
	s_mul_i32 s14, s2, s14
	s_addc_u32 s7, s17, s19
	s_addc_u32 s16, s20, 0
	s_add_u32 s7, s7, s14
	s_addc_u32 s14, 0, s16
	v_add_co_u32 v1, s7, v1, s7
	s_delay_alu instid0(VALU_DEP_1) | instskip(SKIP_1) | instid1(VALU_DEP_1)
	s_cmp_lg_u32 s7, 0
	s_addc_u32 s2, s2, s14
	v_readfirstlane_b32 s7, v1
	s_mul_i32 s14, s12, s2
	s_delay_alu instid0(VALU_DEP_1)
	s_mul_hi_u32 s16, s12, s7
	s_mul_i32 s13, s13, s7
	s_add_i32 s14, s16, s14
	s_mul_i32 s12, s12, s7
	s_add_i32 s14, s14, s13
	s_mul_hi_u32 s16, s2, s12
	s_mul_i32 s17, s2, s12
	s_mul_hi_u32 s12, s7, s12
	s_mul_hi_u32 s18, s7, s14
	s_mul_i32 s7, s7, s14
	s_mul_hi_u32 s13, s2, s14
	s_add_u32 s7, s12, s7
	s_addc_u32 s12, 0, s18
	s_add_u32 s7, s7, s17
	s_mul_i32 s14, s2, s14
	s_addc_u32 s7, s12, s16
	s_addc_u32 s12, s13, 0
	s_add_u32 s7, s7, s14
	s_addc_u32 s12, 0, s12
	v_add_co_u32 v1, s7, v1, s7
	s_delay_alu instid0(VALU_DEP_1) | instskip(SKIP_2) | instid1(VALU_DEP_1)
	s_cmp_lg_u32 s7, 0
	s_addc_u32 s7, s2, s12
	s_ashr_i32 s12, s3, 31
	v_readfirstlane_b32 s14, v1
	s_add_u32 s2, s6, s12
	s_mov_b32 s13, s12
	s_addc_u32 s3, s3, s12
	s_delay_alu instid0(SALU_CYCLE_1) | instskip(NEXT) | instid1(SALU_CYCLE_1)
	s_xor_b64 s[2:3], s[2:3], s[12:13]
	s_mul_i32 s17, s2, s7
	s_mul_hi_u32 s18, s2, s14
	s_mul_hi_u32 s16, s2, s7
	s_mul_hi_u32 s20, s3, s14
	s_mul_i32 s14, s3, s14
	s_add_u32 s17, s18, s17
	s_addc_u32 s16, 0, s16
	s_mul_hi_u32 s19, s3, s7
	s_add_u32 s14, s17, s14
	s_mul_i32 s7, s3, s7
	s_addc_u32 s14, s16, s20
	s_addc_u32 s16, s19, 0
	s_add_u32 s7, s14, s7
	s_addc_u32 s14, 0, s16
	s_mul_i32 s17, s9, s7
	s_add_u32 s16, s7, 1
	v_sub_co_u32 v1, s2, s2, s17
	s_mul_hi_u32 s17, s9, s7
	s_addc_u32 s18, s14, 0
	s_mul_i32 s19, s9, s14
	s_delay_alu instid0(VALU_DEP_1)
	v_sub_co_u32 v4, s20, v1, s9
	s_add_u32 s21, s7, 2
	s_addc_u32 s22, s14, 0
	s_add_i32 s17, s17, s19
	s_cmp_lg_u32 s2, 0
	v_readfirstlane_b32 s2, v4
	s_subb_u32 s3, s3, s17
	s_cmp_lg_u32 s20, 0
	s_subb_u32 s17, s3, 0
	s_delay_alu instid0(VALU_DEP_1) | instskip(SKIP_4) | instid1(SALU_CYCLE_1)
	s_cmp_ge_u32 s2, s9
	s_cselect_b32 s2, -1, 0
	s_cmp_eq_u32 s17, 0
	v_readfirstlane_b32 s17, v1
	s_cselect_b32 s2, s2, -1
	s_cmp_lg_u32 s2, 0
	s_cselect_b32 s2, s21, s16
	s_cselect_b32 s16, s22, s18
	s_cmp_ge_u32 s17, s9
	s_cselect_b32 s17, -1, 0
	s_cmp_eq_u32 s3, 0
	s_cselect_b32 s3, s17, -1
	s_delay_alu instid0(SALU_CYCLE_1) | instskip(SKIP_2) | instid1(SALU_CYCLE_1)
	s_cmp_lg_u32 s3, 0
	s_cselect_b32 s3, s16, s14
	s_cselect_b32 s2, s2, s7
	s_xor_b64 s[2:3], s[2:3], s[12:13]
	s_delay_alu instid0(SALU_CYCLE_1)
	s_sub_u32 s2, s2, s12
	s_subb_u32 s3, s3, s12
	s_cbranch_execnz .LBB94_5
.LBB94_4:
	v_cvt_f32_u32_e32 v1, s9
	s_sub_i32 s3, 0, s9
	s_delay_alu instid0(VALU_DEP_1) | instskip(SKIP_2) | instid1(VALU_DEP_1)
	v_rcp_iflag_f32_e32 v1, v1
	s_waitcnt_depctr 0xfff
	v_mul_f32_e32 v1, 0x4f7ffffe, v1
	v_cvt_u32_f32_e32 v1, v1
	s_delay_alu instid0(VALU_DEP_1) | instskip(NEXT) | instid1(VALU_DEP_1)
	v_readfirstlane_b32 s2, v1
	s_mul_i32 s3, s3, s2
	s_delay_alu instid0(SALU_CYCLE_1) | instskip(NEXT) | instid1(SALU_CYCLE_1)
	s_mul_hi_u32 s3, s2, s3
	s_add_i32 s2, s2, s3
	s_delay_alu instid0(SALU_CYCLE_1) | instskip(NEXT) | instid1(SALU_CYCLE_1)
	s_mul_hi_u32 s2, s6, s2
	s_mul_i32 s3, s2, s9
	s_delay_alu instid0(SALU_CYCLE_1)
	s_sub_i32 s3, s6, s3
	s_add_i32 s6, s2, 1
	s_sub_i32 s7, s3, s9
	s_cmp_ge_u32 s3, s9
	s_cselect_b32 s2, s6, s2
	s_cselect_b32 s3, s7, s3
	s_add_i32 s6, s2, 1
	s_cmp_ge_u32 s3, s9
	s_mov_b32 s3, 0
	s_cselect_b32 s2, s6, s2
.LBB94_5:
	v_mov_b32_e32 v1, 0
	s_add_u32 s2, s2, 1
	s_addc_u32 s3, s3, 0
	s_mul_hi_u32 s6, s8, s2
	s_mul_i32 s3, s8, s3
	v_mad_u64_u32 v[13:14], null, s10, s15, v[0:1]
	s_mul_hi_u32 s7, s11, s10
	s_add_i32 s3, s6, s3
	s_mul_i32 s7, s7, s2
	s_mul_i32 s2, s8, s2
	s_add_i32 s3, s3, s7
	s_mov_b32 s6, exec_lo
	s_lshl_b64 s[2:3], s[2:3], 2
	s_delay_alu instid0(SALU_CYCLE_1)
	v_cmpx_gt_i64_e64 s[2:3], v[13:14]
	s_cbranch_execz .LBB94_26
; %bb.6:
	v_alignbit_b32 v17, v3, v2, 2
	v_mad_u64_u32 v[6:7], null, 0xcd9e8d57, v13, 0
	v_lshrrev_b32_e32 v18, 2, v3
	s_waitcnt vmcnt(0)
	v_dual_mov_b32 v15, v12 :: v_dual_add_nc_u32 v30, 0x8ff34781, v11
	v_mad_u64_u32 v[4:5], null, 0xd2511f53, v17, 0
	v_add_co_u32 v20, null, 0x9e3779b9, v11
	v_xor3_b32 v3, v11, v7, v18
	s_delay_alu instid0(VALU_DEP_4) | instskip(SKIP_2) | instid1(VALU_DEP_4)
	v_add_co_u32 v19, null, 0xbb67ae85, v15
	v_add_co_u32 v21, null, 0x3c6ef372, v11
	v_xor_b32_e32 v1, v5, v12
	v_mad_u64_u32 v[7:8], null, 0xd2511f53, v3, 0
	v_add_co_u32 v22, null, 0x76cf5d0a, v15
	s_delay_alu instid0(VALU_DEP_3) | instskip(SKIP_2) | instid1(VALU_DEP_3)
	v_xor_b32_e32 v1, v1, v14
	v_add_co_u32 v23, null, 0x32370b8f, v15
	v_add_co_u32 v24, null, 0xdaa66d2b, v11
	v_mad_u64_u32 v[9:10], null, 0xcd9e8d57, v1, 0
	v_xor3_b32 v1, v19, v8, v4
	v_add_co_u32 v25, null, 0x78dde6e4, v11
	v_add_co_u32 v26, null, 0xed9eba14, v15
	s_delay_alu instid0(VALU_DEP_3) | instskip(SKIP_3) | instid1(VALU_DEP_3)
	v_mad_u64_u32 v[3:4], null, 0xcd9e8d57, v1, 0
	v_xor3_b32 v8, v20, v10, v6
	v_add_co_u32 v27, null, 0xa9066899, v15
	v_add_co_u32 v28, null, 0x1715609d, v11
	v_mad_u64_u32 v[5:6], null, 0xd2511f53, v8, 0
	v_xor3_b32 v1, v21, v4, v9
	v_and_b32_e32 v29, 3, v2
	v_add_co_u32 v33, null, 0xb54cda56, v11
	v_add_co_u32 v34, null, 0x646e171e, v15
	v_xor3_b32 v4, v22, v6, v7
	v_mad_u64_u32 v[6:7], null, 0xd2511f53, v1, 0
	v_add_co_u32 v36, null, 0x1fd5c5a3, v15
	s_delay_alu instid0(VALU_DEP_3) | instskip(SKIP_1) | instid1(VALU_DEP_4)
	v_mad_u64_u32 v[8:9], null, 0xcd9e8d57, v4, 0
	v_add_co_u32 v32, null, 0x5384540f, v11
	v_xor3_b32 v1, v23, v7, v5
	s_clause 0x1
	s_load_b64 s[6:7], s[0:1], 0x30
	s_load_b32 s12, s[0:1], 0x38
	v_add_co_u32 v35, null, 0xf1bbcdc8, v11
	s_delay_alu instid0(VALU_DEP_4) | instskip(SKIP_3) | instid1(VALU_DEP_2)
	v_xor3_b32 v5, v24, v9, v3
	v_mad_u64_u32 v[3:4], null, 0xcd9e8d57, v1, 0
	s_mul_i32 s13, s11, 3
	s_add_i32 s16, s15, s11
	v_mad_u64_u32 v[9:10], null, 0xd2511f53, v5, 0
	s_add_i32 s13, s15, s13
	v_add_co_u32 v38, null, 0xdb3d7428, v15
	s_delay_alu instid0(VALU_DEP_3) | instskip(SKIP_2) | instid1(VALU_DEP_4)
	v_xor3_b32 v1, v25, v4, v8
	s_lshl_b32 s14, s11, 1
	v_add_nc_u32_e32 v31, 0x96a522ad, v12
	v_xor3_b32 v8, v26, v10, v6
	v_mov_b32_e32 v37, v13
	v_mad_u64_u32 v[4:5], null, 0xd2511f53, v1, 0
	s_waitcnt lgkmcnt(0)
	s_mul_i32 s11, s11, s12
	v_mad_u64_u32 v[6:7], null, 0xcd9e8d57, v8, 0
	v_mov_b32_e32 v43, v14
	s_mul_i32 s11, s11, s10
	s_mov_b32 s0, 0
	s_delay_alu instid0(VALU_DEP_3) | instskip(SKIP_2) | instid1(VALU_DEP_3)
	v_xor3_b32 v5, v27, v5, v9
	s_lshl_b32 s1, s8, 1
	s_lshl_b32 s11, s11, 2
	v_xor3_b32 v3, v28, v7, v3
	s_delay_alu instid0(VALU_DEP_2) | instskip(NEXT) | instid1(VALU_DEP_2)
	v_mad_u64_u32 v[1:2], null, 0xcd9e8d57, v5, 0
	v_mad_u64_u32 v[7:8], null, 0xd2511f53, v3, 0
	s_delay_alu instid0(VALU_DEP_2) | instskip(NEXT) | instid1(VALU_DEP_2)
	v_xor3_b32 v2, v33, v2, v6
	v_xor3_b32 v6, v34, v8, v4
	s_delay_alu instid0(VALU_DEP_4) | instskip(NEXT) | instid1(VALU_DEP_3)
	v_mad_u64_u32 v[3:4], null, s15, s10, v[0:1]
	v_mad_u64_u32 v[4:5], null, 0xd2511f53, v2, 0
	s_delay_alu instid0(VALU_DEP_3) | instskip(SKIP_1) | instid1(VALU_DEP_3)
	v_mad_u64_u32 v[8:9], null, 0xcd9e8d57, v6, 0
	s_add_i32 s15, s15, s14
	v_mul_lo_u32 v39, s12, v3
	s_delay_alu instid0(VALU_DEP_3) | instskip(NEXT) | instid1(VALU_DEP_3)
	v_xor3_b32 v2, v36, v5, v7
	v_xor3_b32 v1, v32, v9, v1
	s_delay_alu instid0(VALU_DEP_2) | instskip(NEXT) | instid1(VALU_DEP_2)
	v_mad_u64_u32 v[5:6], null, 0xcd9e8d57, v2, 0
	v_mad_u64_u32 v[9:10], null, 0xd2511f53, v1, 0
	;; [unrolled: 1-line block ×4, first 2 shown]
	s_delay_alu instid0(VALU_DEP_4) | instskip(NEXT) | instid1(VALU_DEP_4)
	v_xor3_b32 v1, v35, v6, v8
	v_xor3_b32 v4, v38, v10, v4
	s_delay_alu instid0(VALU_DEP_4) | instskip(NEXT) | instid1(VALU_DEP_3)
	v_mul_lo_u32 v42, s12, v15
	v_mad_u64_u32 v[6:7], null, s15, s10, v[0:1]
	v_mad_u64_u32 v[7:8], null, 0xd2511f53, v1, 0
	s_delay_alu instid0(VALU_DEP_4) | instskip(SKIP_2) | instid1(VALU_DEP_4)
	v_mad_u64_u32 v[1:2], null, 0xcd9e8d57, v4, 0
	v_mul_lo_u32 v40, s12, v40
	s_mul_i32 s10, s8, 3
	v_mul_lo_u32 v41, s12, v6
	s_mov_b32 s12, 0
	s_delay_alu instid0(VALU_DEP_4) | instskip(NEXT) | instid1(VALU_DEP_4)
	v_mov_b32_e32 v3, v7
	v_xor3_b32 v0, v2, v5, v30
	v_xor3_b32 v2, v8, v9, v31
	s_branch .LBB94_8
.LBB94_7:                               ;   in Loop: Header=BB94_8 Depth=1
	s_or_b32 exec_lo, exec_lo, s13
	v_add_co_u32 v13, vcc_lo, v13, s9
	v_add_co_ci_u32_e32 v14, vcc_lo, 0, v14, vcc_lo
	v_mov_b32_e32 v7, v15
	v_dual_mov_b32 v0, v4 :: v_dual_mov_b32 v1, v5
	s_delay_alu instid0(VALU_DEP_3) | instskip(NEXT) | instid1(VALU_DEP_3)
	v_cmp_le_i64_e32 vcc_lo, s[2:3], v[13:14]
	v_dual_mov_b32 v2, v6 :: v_dual_mov_b32 v3, v7
	s_add_i32 s12, s12, s11
	s_waitcnt_vscnt null, 0x0
	s_barrier
	s_or_b32 s0, vcc_lo, s0
	buffer_gl0_inv
	s_and_not1_b32 exec_lo, exec_lo, s0
	s_cbranch_execz .LBB94_26
.LBB94_8:                               ; =>This Inner Loop Header: Depth=1
	v_add_co_u32 v17, vcc_lo, v17, 1
	s_delay_alu instid0(VALU_DEP_1) | instskip(SKIP_2) | instid1(VALU_DEP_1)
	v_cndmask_b32_e64 v4, 0, 1, vcc_lo
	v_add_co_ci_u32_e32 v18, vcc_lo, 0, v18, vcc_lo
	s_mov_b32 s13, exec_lo
	v_cmp_eq_u32_e32 vcc_lo, 0, v18
	s_delay_alu instid0(VALU_DEP_3) | instskip(NEXT) | instid1(VALU_DEP_1)
	v_cndmask_b32_e32 v4, 0, v4, vcc_lo
	v_add_nc_u32_e32 v37, v4, v37
	s_delay_alu instid0(VALU_DEP_1) | instskip(SKIP_2) | instid1(VALU_DEP_2)
	v_cmp_eq_u32_e32 vcc_lo, 0, v37
	v_cndmask_b32_e32 v4, 0, v4, vcc_lo
	v_mad_u64_u32 v[6:7], null, 0xcd9e8d57, v37, 0
	v_add_nc_u32_e32 v43, v4, v43
	v_mad_u64_u32 v[4:5], null, 0xd2511f53, v17, 0
	s_delay_alu instid0(VALU_DEP_3) | instskip(NEXT) | instid1(VALU_DEP_2)
	v_xor3_b32 v9, v7, v11, v18
	v_xor_b32_e32 v5, v5, v12
	s_delay_alu instid0(VALU_DEP_2) | instskip(NEXT) | instid1(VALU_DEP_2)
	v_mad_u64_u32 v[7:8], null, 0xd2511f53, v9, 0
	v_xor_b32_e32 v5, v43, v5
	s_delay_alu instid0(VALU_DEP_2) | instskip(NEXT) | instid1(VALU_DEP_2)
	v_xor3_b32 v8, v19, v8, v4
	v_mad_u64_u32 v[9:10], null, 0xcd9e8d57, v5, 0
	s_delay_alu instid0(VALU_DEP_2) | instskip(NEXT) | instid1(VALU_DEP_2)
	v_mad_u64_u32 v[4:5], null, 0xcd9e8d57, v8, 0
	v_xor3_b32 v6, v20, v10, v6
	s_delay_alu instid0(VALU_DEP_2) | instskip(NEXT) | instid1(VALU_DEP_2)
	v_xor3_b32 v8, v21, v5, v9
	v_mad_u64_u32 v[15:16], null, 0xd2511f53, v6, 0
	s_delay_alu instid0(VALU_DEP_2) | instskip(NEXT) | instid1(VALU_DEP_2)
	v_mad_u64_u32 v[5:6], null, 0xd2511f53, v8, 0
	v_xor3_b32 v9, v22, v16, v7
	s_delay_alu instid0(VALU_DEP_2) | instskip(NEXT) | instid1(VALU_DEP_2)
	v_xor3_b32 v6, v23, v6, v15
	v_mad_u64_u32 v[7:8], null, 0xcd9e8d57, v9, 0
	s_delay_alu instid0(VALU_DEP_1) | instskip(NEXT) | instid1(VALU_DEP_3)
	v_xor3_b32 v4, v24, v8, v4
	v_mad_u64_u32 v[8:9], null, 0xcd9e8d57, v6, 0
	s_delay_alu instid0(VALU_DEP_2) | instskip(NEXT) | instid1(VALU_DEP_2)
	v_mad_u64_u32 v[15:16], null, 0xd2511f53, v4, 0
	v_xor3_b32 v6, v25, v9, v7
	s_delay_alu instid0(VALU_DEP_2) | instskip(NEXT) | instid1(VALU_DEP_2)
	v_xor3_b32 v9, v26, v16, v5
	v_mad_u64_u32 v[4:5], null, 0xd2511f53, v6, 0
	s_delay_alu instid0(VALU_DEP_2) | instskip(NEXT) | instid1(VALU_DEP_2)
	v_mad_u64_u32 v[6:7], null, 0xcd9e8d57, v9, 0
	v_xor3_b32 v5, v27, v5, v15
	s_delay_alu instid0(VALU_DEP_2) | instskip(NEXT) | instid1(VALU_DEP_2)
	;; [unrolled: 6-line block ×6, first 2 shown]
	v_xor3_b32 v4, v6, v7, v30
	v_mov_b32_e32 v6, v10
	v_cmpx_lt_i32_e32 1, v29
	s_xor_b32 s13, exec_lo, s13
	s_cbranch_execnz .LBB94_18
; %bb.9:                                ;   in Loop: Header=BB94_8 Depth=1
	s_and_not1_saveexec_b32 s13, s13
	s_cbranch_execnz .LBB94_23
.LBB94_10:                              ;   in Loop: Header=BB94_8 Depth=1
	s_or_b32 exec_lo, exec_lo, s13
	s_delay_alu instid0(SALU_CYCLE_1)
	s_mov_b32 s13, exec_lo
	v_cmpx_gt_i64_e64 s[4:5], v[13:14]
	s_cbranch_execz .LBB94_12
.LBB94_11:                              ;   in Loop: Header=BB94_8 Depth=1
	v_mul_hi_u32 v7, 0xffffff01, v0
	v_add_nc_u32_e32 v8, s12, v39
	s_delay_alu instid0(VALU_DEP_1) | instskip(NEXT) | instid1(VALU_DEP_3)
	v_ashrrev_i32_e32 v9, 31, v8
	v_lshrrev_b32_e32 v7, 24, v7
	s_delay_alu instid0(VALU_DEP_1) | instskip(NEXT) | instid1(VALU_DEP_1)
	v_lshl_add_u32 v7, v7, 24, v7
	v_sub_nc_u32_e32 v0, v0, v7
	v_add_co_u32 v7, vcc_lo, s6, v8
	v_add_co_ci_u32_e32 v8, vcc_lo, s7, v9, vcc_lo
	s_delay_alu instid0(VALU_DEP_3)
	v_cvt_f32_u32_e32 v0, v0
	global_store_b32 v[7:8], v0, off
.LBB94_12:                              ;   in Loop: Header=BB94_8 Depth=1
	s_or_b32 exec_lo, exec_lo, s13
	v_add_co_u32 v7, vcc_lo, s8, v13
	v_add_co_ci_u32_e32 v8, vcc_lo, 0, v14, vcc_lo
	s_mov_b32 s13, exec_lo
	s_delay_alu instid0(VALU_DEP_1)
	v_cmpx_gt_i64_e64 s[4:5], v[7:8]
	s_cbranch_execz .LBB94_14
; %bb.13:                               ;   in Loop: Header=BB94_8 Depth=1
	v_mul_hi_u32 v0, 0xffffff01, v1
	v_add_nc_u32_e32 v7, s12, v42
	s_delay_alu instid0(VALU_DEP_1) | instskip(NEXT) | instid1(VALU_DEP_3)
	v_ashrrev_i32_e32 v8, 31, v7
	v_lshrrev_b32_e32 v0, 24, v0
	s_delay_alu instid0(VALU_DEP_1) | instskip(NEXT) | instid1(VALU_DEP_1)
	v_lshl_add_u32 v0, v0, 24, v0
	v_sub_nc_u32_e32 v9, v1, v0
	v_add_co_u32 v0, vcc_lo, s6, v7
	v_add_co_ci_u32_e32 v1, vcc_lo, s7, v8, vcc_lo
	s_delay_alu instid0(VALU_DEP_3)
	v_cvt_f32_u32_e32 v7, v9
	global_store_b32 v[0:1], v7, off
.LBB94_14:                              ;   in Loop: Header=BB94_8 Depth=1
	s_or_b32 exec_lo, exec_lo, s13
	v_add_co_u32 v0, vcc_lo, s1, v13
	v_add_co_ci_u32_e32 v1, vcc_lo, 0, v14, vcc_lo
	s_mov_b32 s13, exec_lo
	s_delay_alu instid0(VALU_DEP_1)
	v_cmpx_gt_i64_e64 s[4:5], v[0:1]
	s_cbranch_execz .LBB94_16
; %bb.15:                               ;   in Loop: Header=BB94_8 Depth=1
	v_mul_hi_u32 v0, 0xffffff01, v2
	v_add_nc_u32_e32 v1, s12, v41
	s_delay_alu instid0(VALU_DEP_1) | instskip(NEXT) | instid1(VALU_DEP_3)
	v_ashrrev_i32_e32 v7, 31, v1
	v_lshrrev_b32_e32 v0, 24, v0
	s_delay_alu instid0(VALU_DEP_1) | instskip(NEXT) | instid1(VALU_DEP_1)
	v_lshl_add_u32 v0, v0, 24, v0
	v_sub_nc_u32_e32 v2, v2, v0
	v_add_co_u32 v0, vcc_lo, s6, v1
	v_add_co_ci_u32_e32 v1, vcc_lo, s7, v7, vcc_lo
	s_delay_alu instid0(VALU_DEP_3)
	v_cvt_f32_u32_e32 v2, v2
	global_store_b32 v[0:1], v2, off
.LBB94_16:                              ;   in Loop: Header=BB94_8 Depth=1
	s_or_b32 exec_lo, exec_lo, s13
	v_add_co_u32 v0, vcc_lo, s10, v13
	v_add_co_ci_u32_e32 v1, vcc_lo, 0, v14, vcc_lo
	s_mov_b32 s13, exec_lo
	s_delay_alu instid0(VALU_DEP_1)
	v_cmpx_gt_i64_e64 s[4:5], v[0:1]
	s_cbranch_execz .LBB94_7
; %bb.17:                               ;   in Loop: Header=BB94_8 Depth=1
	v_mul_hi_u32 v0, 0xffffff01, v3
	v_add_nc_u32_e32 v1, s12, v40
	s_delay_alu instid0(VALU_DEP_1) | instskip(NEXT) | instid1(VALU_DEP_3)
	v_ashrrev_i32_e32 v2, 31, v1
	v_lshrrev_b32_e32 v0, 24, v0
	s_delay_alu instid0(VALU_DEP_1) | instskip(NEXT) | instid1(VALU_DEP_1)
	v_lshl_add_u32 v0, v0, 24, v0
	v_sub_nc_u32_e32 v3, v3, v0
	v_add_co_u32 v0, vcc_lo, s6, v1
	v_add_co_ci_u32_e32 v1, vcc_lo, s7, v2, vcc_lo
	s_delay_alu instid0(VALU_DEP_3)
	v_cvt_f32_u32_e32 v2, v3
	global_store_b32 v[0:1], v2, off
	s_branch .LBB94_7
.LBB94_18:                              ;   in Loop: Header=BB94_8 Depth=1
	s_mov_b32 s14, exec_lo
	v_cmpx_lt_i32_e32 2, v29
	s_xor_b32 s14, exec_lo, s14
; %bb.19:                               ;   in Loop: Header=BB94_8 Depth=1
	v_dual_mov_b32 v7, v3 :: v_dual_mov_b32 v8, v4
	v_mov_b32_e32 v9, v5
	s_delay_alu instid0(VALU_DEP_2) | instskip(NEXT) | instid1(VALU_DEP_2)
	v_dual_mov_b32 v0, v7 :: v_dual_mov_b32 v1, v8
	v_dual_mov_b32 v2, v9 :: v_dual_mov_b32 v3, v10
; %bb.20:                               ;   in Loop: Header=BB94_8 Depth=1
	s_and_not1_saveexec_b32 s14, s14
; %bb.21:                               ;   in Loop: Header=BB94_8 Depth=1
	s_delay_alu instid0(VALU_DEP_1)
	v_dual_mov_b32 v0, v2 :: v_dual_mov_b32 v1, v3
	v_dual_mov_b32 v2, v4 :: v_dual_mov_b32 v3, v5
; %bb.22:                               ;   in Loop: Header=BB94_8 Depth=1
	s_or_b32 exec_lo, exec_lo, s14
	s_and_not1_saveexec_b32 s13, s13
	s_cbranch_execz .LBB94_10
.LBB94_23:                              ;   in Loop: Header=BB94_8 Depth=1
	s_mov_b32 s14, exec_lo
	v_cmpx_eq_u32_e32 1, v29
; %bb.24:                               ;   in Loop: Header=BB94_8 Depth=1
	v_dual_mov_b32 v0, v1 :: v_dual_mov_b32 v1, v2
	v_dual_mov_b32 v2, v3 :: v_dual_mov_b32 v3, v4
; %bb.25:                               ;   in Loop: Header=BB94_8 Depth=1
	s_or_b32 exec_lo, exec_lo, s14
	s_delay_alu instid0(SALU_CYCLE_1) | instskip(NEXT) | instid1(SALU_CYCLE_1)
	s_or_b32 exec_lo, exec_lo, s13
	s_mov_b32 s13, exec_lo
	v_cmpx_gt_i64_e64 s[4:5], v[13:14]
	s_cbranch_execnz .LBB94_11
	s_branch .LBB94_12
.LBB94_26:
	s_endpgm
.LBB94_27:
                                        ; implicit-def: $sgpr2_sgpr3
	s_branch .LBB94_4
	.section	.rodata,"a",@progbits
	.p2align	6, 0x0
	.amdhsa_kernel _ZN2at6native12_GLOBAL__N_143distribution_elementwise_grid_stride_kernelIjLi4EZZZNS0_9templates4cuda13random_kernelIPNS_17CUDAGeneratorImplEEEvRNS_18TensorIteratorBaseET_ENKUlvE_clEvENKUlvE5_clEvEUlP25hiprandStatePhilox4_32_10E0_ZNS1_27distribution_nullary_kernelIfj15HIP_vector_typeIjLj4EES7_SF_ZZZNS5_IS7_EEvS9_SA_ENKSB_clEvENKSC_clEvEUljE_EEvS9_T2_RKT3_T4_EUlijE_EEvlNS_15PhiloxCudaStateET1_SK_
		.amdhsa_group_segment_fixed_size 0
		.amdhsa_private_segment_fixed_size 0
		.amdhsa_kernarg_size 320
		.amdhsa_user_sgpr_count 15
		.amdhsa_user_sgpr_dispatch_ptr 0
		.amdhsa_user_sgpr_queue_ptr 0
		.amdhsa_user_sgpr_kernarg_segment_ptr 1
		.amdhsa_user_sgpr_dispatch_id 0
		.amdhsa_user_sgpr_private_segment_size 0
		.amdhsa_wavefront_size32 1
		.amdhsa_uses_dynamic_stack 0
		.amdhsa_enable_private_segment 0
		.amdhsa_system_sgpr_workgroup_id_x 1
		.amdhsa_system_sgpr_workgroup_id_y 0
		.amdhsa_system_sgpr_workgroup_id_z 0
		.amdhsa_system_sgpr_workgroup_info 0
		.amdhsa_system_vgpr_workitem_id 0
		.amdhsa_next_free_vgpr 44
		.amdhsa_next_free_sgpr 23
		.amdhsa_reserve_vcc 1
		.amdhsa_float_round_mode_32 0
		.amdhsa_float_round_mode_16_64 0
		.amdhsa_float_denorm_mode_32 3
		.amdhsa_float_denorm_mode_16_64 3
		.amdhsa_dx10_clamp 1
		.amdhsa_ieee_mode 1
		.amdhsa_fp16_overflow 0
		.amdhsa_workgroup_processor_mode 1
		.amdhsa_memory_ordered 1
		.amdhsa_forward_progress 0
		.amdhsa_shared_vgpr_count 0
		.amdhsa_exception_fp_ieee_invalid_op 0
		.amdhsa_exception_fp_denorm_src 0
		.amdhsa_exception_fp_ieee_div_zero 0
		.amdhsa_exception_fp_ieee_overflow 0
		.amdhsa_exception_fp_ieee_underflow 0
		.amdhsa_exception_fp_ieee_inexact 0
		.amdhsa_exception_int_div_zero 0
	.end_amdhsa_kernel
	.section	.text._ZN2at6native12_GLOBAL__N_143distribution_elementwise_grid_stride_kernelIjLi4EZZZNS0_9templates4cuda13random_kernelIPNS_17CUDAGeneratorImplEEEvRNS_18TensorIteratorBaseET_ENKUlvE_clEvENKUlvE5_clEvEUlP25hiprandStatePhilox4_32_10E0_ZNS1_27distribution_nullary_kernelIfj15HIP_vector_typeIjLj4EES7_SF_ZZZNS5_IS7_EEvS9_SA_ENKSB_clEvENKSC_clEvEUljE_EEvS9_T2_RKT3_T4_EUlijE_EEvlNS_15PhiloxCudaStateET1_SK_,"axG",@progbits,_ZN2at6native12_GLOBAL__N_143distribution_elementwise_grid_stride_kernelIjLi4EZZZNS0_9templates4cuda13random_kernelIPNS_17CUDAGeneratorImplEEEvRNS_18TensorIteratorBaseET_ENKUlvE_clEvENKUlvE5_clEvEUlP25hiprandStatePhilox4_32_10E0_ZNS1_27distribution_nullary_kernelIfj15HIP_vector_typeIjLj4EES7_SF_ZZZNS5_IS7_EEvS9_SA_ENKSB_clEvENKSC_clEvEUljE_EEvS9_T2_RKT3_T4_EUlijE_EEvlNS_15PhiloxCudaStateET1_SK_,comdat
.Lfunc_end94:
	.size	_ZN2at6native12_GLOBAL__N_143distribution_elementwise_grid_stride_kernelIjLi4EZZZNS0_9templates4cuda13random_kernelIPNS_17CUDAGeneratorImplEEEvRNS_18TensorIteratorBaseET_ENKUlvE_clEvENKUlvE5_clEvEUlP25hiprandStatePhilox4_32_10E0_ZNS1_27distribution_nullary_kernelIfj15HIP_vector_typeIjLj4EES7_SF_ZZZNS5_IS7_EEvS9_SA_ENKSB_clEvENKSC_clEvEUljE_EEvS9_T2_RKT3_T4_EUlijE_EEvlNS_15PhiloxCudaStateET1_SK_, .Lfunc_end94-_ZN2at6native12_GLOBAL__N_143distribution_elementwise_grid_stride_kernelIjLi4EZZZNS0_9templates4cuda13random_kernelIPNS_17CUDAGeneratorImplEEEvRNS_18TensorIteratorBaseET_ENKUlvE_clEvENKUlvE5_clEvEUlP25hiprandStatePhilox4_32_10E0_ZNS1_27distribution_nullary_kernelIfj15HIP_vector_typeIjLj4EES7_SF_ZZZNS5_IS7_EEvS9_SA_ENKSB_clEvENKSC_clEvEUljE_EEvS9_T2_RKT3_T4_EUlijE_EEvlNS_15PhiloxCudaStateET1_SK_
                                        ; -- End function
	.section	.AMDGPU.csdata,"",@progbits
; Kernel info:
; codeLenInByte = 2964
; NumSgprs: 25
; NumVgprs: 44
; ScratchSize: 0
; MemoryBound: 0
; FloatMode: 240
; IeeeMode: 1
; LDSByteSize: 0 bytes/workgroup (compile time only)
; SGPRBlocks: 3
; VGPRBlocks: 5
; NumSGPRsForWavesPerEU: 25
; NumVGPRsForWavesPerEU: 44
; Occupancy: 16
; WaveLimiterHint : 0
; COMPUTE_PGM_RSRC2:SCRATCH_EN: 0
; COMPUTE_PGM_RSRC2:USER_SGPR: 15
; COMPUTE_PGM_RSRC2:TRAP_HANDLER: 0
; COMPUTE_PGM_RSRC2:TGID_X_EN: 1
; COMPUTE_PGM_RSRC2:TGID_Y_EN: 0
; COMPUTE_PGM_RSRC2:TGID_Z_EN: 0
; COMPUTE_PGM_RSRC2:TIDIG_COMP_CNT: 0
	.section	.text._ZN2at6native12_GLOBAL__N_143distribution_elementwise_grid_stride_kernelIjLi4EZZZNS0_9templates4cuda13random_kernelIPNS_17CUDAGeneratorImplEEEvRNS_18TensorIteratorBaseET_ENKUlvE_clEvENKUlvE5_clEvEUlP25hiprandStatePhilox4_32_10E0_ZNS1_27distribution_nullary_kernelIfj15HIP_vector_typeIjLj4EES7_SF_ZZZNS5_IS7_EEvS9_SA_ENKSB_clEvENKSC_clEvEUljE_EEvS9_T2_RKT3_T4_EUlijE0_EEvlNS_15PhiloxCudaStateET1_SK_,"axG",@progbits,_ZN2at6native12_GLOBAL__N_143distribution_elementwise_grid_stride_kernelIjLi4EZZZNS0_9templates4cuda13random_kernelIPNS_17CUDAGeneratorImplEEEvRNS_18TensorIteratorBaseET_ENKUlvE_clEvENKUlvE5_clEvEUlP25hiprandStatePhilox4_32_10E0_ZNS1_27distribution_nullary_kernelIfj15HIP_vector_typeIjLj4EES7_SF_ZZZNS5_IS7_EEvS9_SA_ENKSB_clEvENKSC_clEvEUljE_EEvS9_T2_RKT3_T4_EUlijE0_EEvlNS_15PhiloxCudaStateET1_SK_,comdat
	.globl	_ZN2at6native12_GLOBAL__N_143distribution_elementwise_grid_stride_kernelIjLi4EZZZNS0_9templates4cuda13random_kernelIPNS_17CUDAGeneratorImplEEEvRNS_18TensorIteratorBaseET_ENKUlvE_clEvENKUlvE5_clEvEUlP25hiprandStatePhilox4_32_10E0_ZNS1_27distribution_nullary_kernelIfj15HIP_vector_typeIjLj4EES7_SF_ZZZNS5_IS7_EEvS9_SA_ENKSB_clEvENKSC_clEvEUljE_EEvS9_T2_RKT3_T4_EUlijE0_EEvlNS_15PhiloxCudaStateET1_SK_ ; -- Begin function _ZN2at6native12_GLOBAL__N_143distribution_elementwise_grid_stride_kernelIjLi4EZZZNS0_9templates4cuda13random_kernelIPNS_17CUDAGeneratorImplEEEvRNS_18TensorIteratorBaseET_ENKUlvE_clEvENKUlvE5_clEvEUlP25hiprandStatePhilox4_32_10E0_ZNS1_27distribution_nullary_kernelIfj15HIP_vector_typeIjLj4EES7_SF_ZZZNS5_IS7_EEvS9_SA_ENKSB_clEvENKSC_clEvEUljE_EEvS9_T2_RKT3_T4_EUlijE0_EEvlNS_15PhiloxCudaStateET1_SK_
	.p2align	8
	.type	_ZN2at6native12_GLOBAL__N_143distribution_elementwise_grid_stride_kernelIjLi4EZZZNS0_9templates4cuda13random_kernelIPNS_17CUDAGeneratorImplEEEvRNS_18TensorIteratorBaseET_ENKUlvE_clEvENKUlvE5_clEvEUlP25hiprandStatePhilox4_32_10E0_ZNS1_27distribution_nullary_kernelIfj15HIP_vector_typeIjLj4EES7_SF_ZZZNS5_IS7_EEvS9_SA_ENKSB_clEvENKSC_clEvEUljE_EEvS9_T2_RKT3_T4_EUlijE0_EEvlNS_15PhiloxCudaStateET1_SK_,@function
_ZN2at6native12_GLOBAL__N_143distribution_elementwise_grid_stride_kernelIjLi4EZZZNS0_9templates4cuda13random_kernelIPNS_17CUDAGeneratorImplEEEvRNS_18TensorIteratorBaseET_ENKUlvE_clEvENKUlvE5_clEvEUlP25hiprandStatePhilox4_32_10E0_ZNS1_27distribution_nullary_kernelIfj15HIP_vector_typeIjLj4EES7_SF_ZZZNS5_IS7_EEvS9_SA_ENKSB_clEvENKSC_clEvEUljE_EEvS9_T2_RKT3_T4_EUlijE0_EEvlNS_15PhiloxCudaStateET1_SK_: ; @_ZN2at6native12_GLOBAL__N_143distribution_elementwise_grid_stride_kernelIjLi4EZZZNS0_9templates4cuda13random_kernelIPNS_17CUDAGeneratorImplEEEvRNS_18TensorIteratorBaseET_ENKUlvE_clEvENKUlvE5_clEvEUlP25hiprandStatePhilox4_32_10E0_ZNS1_27distribution_nullary_kernelIfj15HIP_vector_typeIjLj4EES7_SF_ZZZNS5_IS7_EEvS9_SA_ENKSB_clEvENKSC_clEvEUljE_EEvS9_T2_RKT3_T4_EUlijE0_EEvlNS_15PhiloxCudaStateET1_SK_
; %bb.0:
	s_clause 0x2
	s_load_b64 s[4:5], s[0:1], 0x10
	s_load_b128 s[16:19], s[0:1], 0x0
	s_load_b32 s2, s[0:1], 0x20
	s_waitcnt lgkmcnt(0)
	v_dual_mov_b32 v2, s4 :: v_dual_mov_b32 v3, s5
	v_dual_mov_b32 v11, s18 :: v_dual_mov_b32 v12, s19
	s_bitcmp0_b32 s2, 0
	s_mov_b32 s2, 0
	s_cbranch_scc1 .LBB95_2
; %bb.1:
	v_dual_mov_b32 v1, s4 :: v_dual_mov_b32 v2, s5
	v_dual_mov_b32 v4, s18 :: v_dual_mov_b32 v5, s19
	s_load_b64 s[4:5], s[0:1], 0x18
	flat_load_b64 v[2:3], v[1:2]
	flat_load_b64 v[11:12], v[4:5]
	s_waitcnt vmcnt(1) lgkmcnt(0)
	v_add_co_u32 v2, vcc_lo, v2, s4
	v_add_co_ci_u32_e32 v3, vcc_lo, s5, v3, vcc_lo
.LBB95_2:
	s_clause 0x1
	s_load_b32 s3, s[0:1], 0x154
	s_load_b32 s4, s[0:1], 0x148
	s_waitcnt lgkmcnt(0)
	s_and_b32 s5, s3, 0xffff
	s_add_u32 s6, s16, -1
	s_mul_i32 s24, s4, s5
	s_addc_u32 s3, s17, -1
	s_lshl_b32 s25, s24, 2
	s_cmp_lg_u64 s[2:3], 0
	s_cbranch_scc0 .LBB95_79
; %bb.3:
	v_cvt_f32_ubyte0_e32 v1, 0
	v_cvt_f32_u32_e32 v4, s25
	s_sub_u32 s8, 0, s25
	s_subb_u32 s9, 0, 0
	s_delay_alu instid0(VALU_DEP_1) | instskip(NEXT) | instid1(VALU_DEP_1)
	v_fmamk_f32 v1, v1, 0x4f800000, v4
	v_rcp_f32_e32 v1, v1
	s_waitcnt_depctr 0xfff
	v_mul_f32_e32 v1, 0x5f7ffffc, v1
	s_delay_alu instid0(VALU_DEP_1) | instskip(NEXT) | instid1(VALU_DEP_1)
	v_mul_f32_e32 v4, 0x2f800000, v1
	v_trunc_f32_e32 v4, v4
	s_delay_alu instid0(VALU_DEP_1) | instskip(SKIP_1) | instid1(VALU_DEP_2)
	v_fmamk_f32 v1, v4, 0xcf800000, v1
	v_cvt_u32_f32_e32 v4, v4
	v_cvt_u32_f32_e32 v1, v1
	s_delay_alu instid0(VALU_DEP_2) | instskip(NEXT) | instid1(VALU_DEP_2)
	v_readfirstlane_b32 s2, v4
	v_readfirstlane_b32 s7, v1
	s_delay_alu instid0(VALU_DEP_2) | instskip(NEXT) | instid1(VALU_DEP_1)
	s_mul_i32 s10, s8, s2
	s_mul_hi_u32 s12, s8, s7
	s_mul_i32 s11, s9, s7
	s_add_i32 s10, s12, s10
	s_mul_i32 s13, s8, s7
	s_add_i32 s10, s10, s11
	s_mul_hi_u32 s12, s7, s13
	s_mul_hi_u32 s14, s2, s13
	s_mul_i32 s11, s2, s13
	s_mul_hi_u32 s13, s7, s10
	s_mul_i32 s7, s7, s10
	s_mul_hi_u32 s18, s2, s10
	s_add_u32 s7, s12, s7
	s_addc_u32 s12, 0, s13
	s_add_u32 s7, s7, s11
	s_mul_i32 s10, s2, s10
	s_addc_u32 s7, s12, s14
	s_addc_u32 s11, s18, 0
	s_add_u32 s7, s7, s10
	s_addc_u32 s10, 0, s11
	v_add_co_u32 v1, s7, v1, s7
	s_delay_alu instid0(VALU_DEP_1) | instskip(SKIP_1) | instid1(VALU_DEP_1)
	s_cmp_lg_u32 s7, 0
	s_addc_u32 s2, s2, s10
	v_readfirstlane_b32 s7, v1
	s_mul_i32 s10, s8, s2
	s_delay_alu instid0(VALU_DEP_1)
	s_mul_hi_u32 s11, s8, s7
	s_mul_i32 s9, s9, s7
	s_add_i32 s10, s11, s10
	s_mul_i32 s8, s8, s7
	s_add_i32 s10, s10, s9
	s_mul_hi_u32 s11, s2, s8
	s_mul_i32 s12, s2, s8
	s_mul_hi_u32 s8, s7, s8
	s_mul_hi_u32 s13, s7, s10
	s_mul_i32 s7, s7, s10
	s_mul_hi_u32 s9, s2, s10
	s_add_u32 s7, s8, s7
	s_addc_u32 s8, 0, s13
	s_add_u32 s7, s7, s12
	s_mul_i32 s10, s2, s10
	s_addc_u32 s7, s8, s11
	s_addc_u32 s8, s9, 0
	s_add_u32 s7, s7, s10
	s_addc_u32 s8, 0, s8
	v_add_co_u32 v1, s7, v1, s7
	s_delay_alu instid0(VALU_DEP_1) | instskip(SKIP_2) | instid1(VALU_DEP_1)
	s_cmp_lg_u32 s7, 0
	s_addc_u32 s7, s2, s8
	s_ashr_i32 s8, s3, 31
	v_readfirstlane_b32 s10, v1
	s_add_u32 s2, s6, s8
	s_mov_b32 s9, s8
	s_addc_u32 s3, s3, s8
	s_delay_alu instid0(SALU_CYCLE_1) | instskip(NEXT) | instid1(SALU_CYCLE_1)
	s_xor_b64 s[2:3], s[2:3], s[8:9]
	s_mul_i32 s12, s2, s7
	s_mul_hi_u32 s13, s2, s10
	s_mul_hi_u32 s11, s2, s7
	s_mul_hi_u32 s18, s3, s10
	s_mul_i32 s10, s3, s10
	s_add_u32 s12, s13, s12
	s_addc_u32 s11, 0, s11
	s_mul_hi_u32 s14, s3, s7
	s_add_u32 s10, s12, s10
	s_mul_i32 s7, s3, s7
	s_addc_u32 s10, s11, s18
	s_addc_u32 s11, s14, 0
	s_add_u32 s7, s10, s7
	s_addc_u32 s10, 0, s11
	s_mul_i32 s12, s25, s7
	s_add_u32 s11, s7, 1
	v_sub_co_u32 v1, s2, s2, s12
	s_mul_hi_u32 s12, s25, s7
	s_addc_u32 s13, s10, 0
	s_mul_i32 s14, s25, s10
	s_delay_alu instid0(VALU_DEP_1)
	v_sub_co_u32 v4, s18, v1, s25
	s_add_u32 s19, s7, 2
	s_addc_u32 s20, s10, 0
	s_add_i32 s12, s12, s14
	s_cmp_lg_u32 s2, 0
	v_readfirstlane_b32 s2, v4
	s_subb_u32 s3, s3, s12
	s_cmp_lg_u32 s18, 0
	s_subb_u32 s12, s3, 0
	s_delay_alu instid0(VALU_DEP_1) | instskip(SKIP_4) | instid1(SALU_CYCLE_1)
	s_cmp_ge_u32 s2, s25
	s_cselect_b32 s2, -1, 0
	s_cmp_eq_u32 s12, 0
	v_readfirstlane_b32 s12, v1
	s_cselect_b32 s2, s2, -1
	s_cmp_lg_u32 s2, 0
	s_cselect_b32 s2, s19, s11
	s_cselect_b32 s11, s20, s13
	s_cmp_ge_u32 s12, s25
	s_cselect_b32 s12, -1, 0
	s_cmp_eq_u32 s3, 0
	s_cselect_b32 s3, s12, -1
	s_delay_alu instid0(SALU_CYCLE_1) | instskip(SKIP_2) | instid1(SALU_CYCLE_1)
	s_cmp_lg_u32 s3, 0
	s_cselect_b32 s3, s11, s10
	s_cselect_b32 s2, s2, s7
	s_xor_b64 s[2:3], s[2:3], s[8:9]
	s_delay_alu instid0(SALU_CYCLE_1)
	s_sub_u32 s2, s2, s8
	s_subb_u32 s3, s3, s8
	s_cbranch_execnz .LBB95_5
.LBB95_4:
	v_cvt_f32_u32_e32 v1, s25
	s_sub_i32 s3, 0, s25
	s_delay_alu instid0(VALU_DEP_1) | instskip(SKIP_2) | instid1(VALU_DEP_1)
	v_rcp_iflag_f32_e32 v1, v1
	s_waitcnt_depctr 0xfff
	v_mul_f32_e32 v1, 0x4f7ffffe, v1
	v_cvt_u32_f32_e32 v1, v1
	s_delay_alu instid0(VALU_DEP_1) | instskip(NEXT) | instid1(VALU_DEP_1)
	v_readfirstlane_b32 s2, v1
	s_mul_i32 s3, s3, s2
	s_delay_alu instid0(SALU_CYCLE_1) | instskip(NEXT) | instid1(SALU_CYCLE_1)
	s_mul_hi_u32 s3, s2, s3
	s_add_i32 s2, s2, s3
	s_delay_alu instid0(SALU_CYCLE_1) | instskip(NEXT) | instid1(SALU_CYCLE_1)
	s_mul_hi_u32 s2, s6, s2
	s_mul_i32 s3, s2, s25
	s_delay_alu instid0(SALU_CYCLE_1)
	s_sub_i32 s3, s6, s3
	s_add_i32 s6, s2, 1
	s_sub_i32 s7, s3, s25
	s_cmp_ge_u32 s3, s25
	s_cselect_b32 s2, s6, s2
	s_cselect_b32 s3, s7, s3
	s_add_i32 s6, s2, 1
	s_cmp_ge_u32 s3, s25
	s_mov_b32 s3, 0
	s_cselect_b32 s2, s6, s2
.LBB95_5:
	v_mov_b32_e32 v1, 0
	s_add_u32 s2, s2, 1
	s_addc_u32 s3, s3, 0
	s_mul_hi_u32 s6, s24, s2
	s_mul_i32 s3, s24, s3
	v_mad_u64_u32 v[13:14], null, s5, s15, v[0:1]
	s_mul_hi_u32 s4, s4, s5
	s_add_i32 s3, s6, s3
	s_mul_i32 s4, s4, s2
	s_mul_i32 s2, s24, s2
	s_add_i32 s3, s3, s4
	s_mov_b32 s4, exec_lo
	s_lshl_b64 s[2:3], s[2:3], 2
	s_delay_alu instid0(SALU_CYCLE_1)
	v_cmpx_gt_i64_e64 s[2:3], v[13:14]
	s_cbranch_execz .LBB95_78
; %bb.6:
	v_alignbit_b32 v17, v3, v2, 2
	v_mad_u64_u32 v[4:5], null, 0xcd9e8d57, v13, 0
	v_lshrrev_b32_e32 v18, 2, v3
	s_waitcnt vmcnt(0)
	v_dual_mov_b32 v9, v12 :: v_dual_and_b32 v26, 3, v2
	v_mad_u64_u32 v[0:1], null, 0xd2511f53, v17, 0
	v_add_co_u32 v20, null, 0x9e3779b9, v11
	v_xor3_b32 v3, v11, v5, v18
	s_delay_alu instid0(VALU_DEP_4) | instskip(SKIP_2) | instid1(VALU_DEP_4)
	v_add_co_u32 v19, null, 0xbb67ae85, v9
	v_add_co_u32 v21, null, 0x3c6ef372, v11
	v_xor_b32_e32 v1, v1, v12
	v_mad_u64_u32 v[5:6], null, 0xd2511f53, v3, 0
	v_add_co_u32 v22, null, 0x76cf5d0a, v9
	s_delay_alu instid0(VALU_DEP_3) | instskip(SKIP_2) | instid1(VALU_DEP_3)
	v_xor_b32_e32 v1, v1, v14
	v_add_co_u32 v23, null, 0x32370b8f, v9
	v_add_co_u32 v24, null, 0xdaa66d2b, v11
	v_mad_u64_u32 v[7:8], null, 0xcd9e8d57, v1, 0
	v_xor3_b32 v3, v19, v6, v0
	v_add_co_u32 v25, null, 0x78dde6e4, v11
	v_add_co_u32 v27, null, 0xed9eba14, v9
	s_delay_alu instid0(VALU_DEP_3) | instskip(SKIP_3) | instid1(VALU_DEP_3)
	v_mad_u64_u32 v[0:1], null, 0xcd9e8d57, v3, 0
	v_xor3_b32 v6, v20, v8, v4
	v_add_co_u32 v30, null, 0xa9066899, v9
	v_add_co_u32 v31, null, 0x1715609d, v11
	v_mad_u64_u32 v[3:4], null, 0xd2511f53, v6, 0
	v_xor3_b32 v1, v21, v1, v7
	v_add_co_u32 v33, null, 0xb54cda56, v11
	v_add_co_u32 v35, null, 0x646e171e, v9
	s_load_b256 s[4:11], s[0:1], 0x30
	s_delay_alu instid0(VALU_DEP_4) | instskip(SKIP_2) | instid1(VALU_DEP_3)
	v_xor3_b32 v8, v22, v4, v5
	v_mad_u64_u32 v[4:5], null, 0xd2511f53, v1, 0
	v_add_co_u32 v32, null, 0x5384540f, v11
	v_mad_u64_u32 v[6:7], null, 0xcd9e8d57, v8, 0
	v_add_co_u32 v37, null, 0x1fd5c5a3, v9
	s_delay_alu instid0(VALU_DEP_4) | instskip(SKIP_3) | instid1(VALU_DEP_4)
	v_xor3_b32 v3, v23, v5, v3
	v_add_co_u32 v34, null, 0xf1bbcdc8, v11
	v_add_co_u32 v38, null, 0xdb3d7428, v9
	v_xor3_b32 v5, v24, v7, v0
	v_mad_u64_u32 v[0:1], null, 0xcd9e8d57, v3, 0
	s_add_u32 s12, s0, 48
	s_clause 0x1
	s_load_b64 s[14:15], s[0:1], 0xf4
	s_load_b64 s[18:19], s[0:1], 0x138
	v_mad_u64_u32 v[7:8], null, 0xd2511f53, v5, 0
	s_addc_u32 s13, s1, 0
	s_waitcnt lgkmcnt(0)
	s_add_i32 s20, s4, -1
	v_xor3_b32 v3, v25, v1, v6
	s_cmp_gt_u32 s20, 1
	v_dual_mov_b32 v36, v13 :: v_dual_add_nc_u32 v29, 0x96a522ad, v12
	s_delay_alu instid0(VALU_DEP_3) | instskip(NEXT) | instid1(VALU_DEP_3)
	v_xor3_b32 v5, v27, v8, v4
	v_mad_u64_u32 v[1:2], null, 0xd2511f53, v3, 0
	s_cselect_b32 s11, -1, 0
	s_cmp_lg_u32 s4, 0
	s_delay_alu instid0(VALU_DEP_2) | instskip(SKIP_2) | instid1(VALU_DEP_2)
	v_mad_u64_u32 v[3:4], null, 0xcd9e8d57, v5, 0
	s_cselect_b32 s27, -1, 0
	s_add_u32 s0, s0, 0xf4
	v_xor3_b32 v2, v30, v2, v7
	s_addc_u32 s1, s1, 0
	s_min_u32 s21, s20, 15
	s_cmp_gt_u32 s4, 1
	s_delay_alu instid0(VALU_DEP_2) | instskip(SKIP_3) | instid1(VALU_DEP_2)
	v_xor3_b32 v0, v31, v4, v0
	v_mad_u64_u32 v[4:5], null, 0xcd9e8d57, v2, 0
	s_cselect_b32 s4, -1, 0
	s_add_i32 s21, s21, 1
	v_mad_u64_u32 v[6:7], null, 0xd2511f53, v0, 0
	s_lshl_b32 s28, s24, 1
	s_and_b32 s29, s21, 3
	s_delay_alu instid0(VALU_DEP_2) | instskip(SKIP_3) | instid1(VALU_DEP_3)
	v_xor3_b32 v2, v33, v5, v3
	s_cmp_lg_u32 s20, 2
	v_mov_b32_e32 v39, v14
	s_cselect_b32 s30, -1, 0
	v_xor3_b32 v5, v35, v7, v1
	v_mad_u64_u32 v[0:1], null, 0xd2511f53, v2, 0
	s_and_b32 s31, s21, 28
	s_cmp_lg_u32 s29, 0
	s_delay_alu instid0(VALU_DEP_2) | instskip(SKIP_2) | instid1(VALU_DEP_2)
	v_mad_u64_u32 v[2:3], null, 0xcd9e8d57, v5, 0
	s_mov_b32 s26, 0
	s_mul_i32 s33, s24, 3
	v_xor3_b32 v1, v37, v1, v6
	s_cselect_b32 s34, -1, 0
	s_delay_alu instid0(VALU_DEP_2) | instskip(NEXT) | instid1(VALU_DEP_2)
	v_xor3_b32 v3, v32, v3, v4
	v_mad_u64_u32 v[4:5], null, 0xcd9e8d57, v1, 0
	s_delay_alu instid0(VALU_DEP_2) | instskip(NEXT) | instid1(VALU_DEP_2)
	v_mad_u64_u32 v[6:7], null, 0xd2511f53, v3, 0
	v_xor3_b32 v1, v34, v5, v2
	s_delay_alu instid0(VALU_DEP_2) | instskip(NEXT) | instid1(VALU_DEP_2)
	v_xor3_b32 v0, v38, v7, v0
	v_mad_u64_u32 v[7:8], null, 0xd2511f53, v1, 0
	v_add_nc_u32_e32 v28, 0x8ff34781, v11
	s_delay_alu instid0(VALU_DEP_3) | instskip(NEXT) | instid1(VALU_DEP_3)
	v_mad_u64_u32 v[1:2], null, 0xcd9e8d57, v0, 0
	v_mov_b32_e32 v3, v7
	s_delay_alu instid0(VALU_DEP_2)
	v_xor3_b32 v0, v2, v4, v28
	v_xor3_b32 v2, v8, v6, v29
	s_branch .LBB95_9
.LBB95_7:                               ;   in Loop: Header=BB95_9 Depth=1
	v_mul_hi_u32 v0, 0xffffff01, v3
	s_delay_alu instid0(VALU_DEP_1) | instskip(NEXT) | instid1(VALU_DEP_1)
	v_lshrrev_b32_e32 v0, 24, v0
	v_lshl_add_u32 v0, v0, 24, v0
	s_delay_alu instid0(VALU_DEP_1) | instskip(NEXT) | instid1(VALU_DEP_1)
	v_sub_nc_u32_e32 v0, v3, v0
	v_cvt_f32_u32_e32 v0, v0
	global_store_b32 v1, v0, s[18:19]
.LBB95_8:                               ;   in Loop: Header=BB95_9 Depth=1
	s_or_b32 exec_lo, exec_lo, s35
	v_add_co_u32 v13, vcc_lo, v13, s25
	v_add_co_ci_u32_e32 v14, vcc_lo, 0, v14, vcc_lo
	v_mov_b32_e32 v7, v15
	v_dual_mov_b32 v0, v4 :: v_dual_mov_b32 v1, v5
	s_delay_alu instid0(VALU_DEP_3) | instskip(NEXT) | instid1(VALU_DEP_3)
	v_cmp_le_i64_e32 vcc_lo, s[2:3], v[13:14]
	v_dual_mov_b32 v2, v6 :: v_dual_mov_b32 v3, v7
	s_waitcnt_vscnt null, 0x0
	s_barrier
	buffer_gl0_inv
	s_or_b32 s26, vcc_lo, s26
	s_delay_alu instid0(SALU_CYCLE_1)
	s_and_not1_b32 exec_lo, exec_lo, s26
	s_cbranch_execz .LBB95_78
.LBB95_9:                               ; =>This Loop Header: Depth=1
                                        ;     Child Loop BB95_24 Depth 2
                                        ;     Child Loop BB95_29 Depth 2
                                        ;     Child Loop BB95_39 Depth 2
                                        ;     Child Loop BB95_44 Depth 2
                                        ;     Child Loop BB95_54 Depth 2
                                        ;     Child Loop BB95_59 Depth 2
                                        ;     Child Loop BB95_69 Depth 2
                                        ;     Child Loop BB95_74 Depth 2
	v_add_co_u32 v17, vcc_lo, v17, 1
	s_delay_alu instid0(VALU_DEP_1) | instskip(SKIP_2) | instid1(VALU_DEP_1)
	v_cndmask_b32_e64 v4, 0, 1, vcc_lo
	v_add_co_ci_u32_e32 v18, vcc_lo, 0, v18, vcc_lo
	s_mov_b32 s20, exec_lo
	v_cmp_eq_u32_e32 vcc_lo, 0, v18
	s_delay_alu instid0(VALU_DEP_3) | instskip(NEXT) | instid1(VALU_DEP_1)
	v_cndmask_b32_e32 v4, 0, v4, vcc_lo
	v_add_nc_u32_e32 v36, v4, v36
	s_delay_alu instid0(VALU_DEP_1) | instskip(SKIP_2) | instid1(VALU_DEP_2)
	v_cmp_eq_u32_e32 vcc_lo, 0, v36
	v_mad_u64_u32 v[6:7], null, 0xcd9e8d57, v36, 0
	v_cndmask_b32_e32 v4, 0, v4, vcc_lo
	v_xor3_b32 v9, v7, v11, v18
	s_delay_alu instid0(VALU_DEP_2) | instskip(SKIP_1) | instid1(VALU_DEP_3)
	v_add_nc_u32_e32 v39, v4, v39
	v_mad_u64_u32 v[4:5], null, 0xd2511f53, v17, 0
	v_mad_u64_u32 v[7:8], null, 0xd2511f53, v9, 0
	s_delay_alu instid0(VALU_DEP_2) | instskip(NEXT) | instid1(VALU_DEP_2)
	v_xor_b32_e32 v5, v5, v12
	v_xor3_b32 v8, v19, v8, v4
	s_delay_alu instid0(VALU_DEP_2) | instskip(NEXT) | instid1(VALU_DEP_1)
	v_xor_b32_e32 v5, v39, v5
	v_mad_u64_u32 v[9:10], null, 0xcd9e8d57, v5, 0
	s_delay_alu instid0(VALU_DEP_3) | instskip(NEXT) | instid1(VALU_DEP_2)
	v_mad_u64_u32 v[4:5], null, 0xcd9e8d57, v8, 0
	v_xor3_b32 v6, v20, v10, v6
	s_delay_alu instid0(VALU_DEP_2) | instskip(NEXT) | instid1(VALU_DEP_2)
	v_xor3_b32 v8, v21, v5, v9
	v_mad_u64_u32 v[15:16], null, 0xd2511f53, v6, 0
	s_delay_alu instid0(VALU_DEP_2) | instskip(NEXT) | instid1(VALU_DEP_2)
	v_mad_u64_u32 v[5:6], null, 0xd2511f53, v8, 0
	v_xor3_b32 v9, v22, v16, v7
	s_delay_alu instid0(VALU_DEP_2) | instskip(NEXT) | instid1(VALU_DEP_2)
	v_xor3_b32 v6, v23, v6, v15
	v_mad_u64_u32 v[7:8], null, 0xcd9e8d57, v9, 0
	s_delay_alu instid0(VALU_DEP_1) | instskip(NEXT) | instid1(VALU_DEP_3)
	v_xor3_b32 v4, v24, v8, v4
	v_mad_u64_u32 v[8:9], null, 0xcd9e8d57, v6, 0
	s_delay_alu instid0(VALU_DEP_2) | instskip(NEXT) | instid1(VALU_DEP_2)
	v_mad_u64_u32 v[15:16], null, 0xd2511f53, v4, 0
	v_xor3_b32 v6, v25, v9, v7
	s_delay_alu instid0(VALU_DEP_2) | instskip(NEXT) | instid1(VALU_DEP_2)
	v_xor3_b32 v9, v27, v16, v5
	v_mad_u64_u32 v[4:5], null, 0xd2511f53, v6, 0
	s_delay_alu instid0(VALU_DEP_2) | instskip(NEXT) | instid1(VALU_DEP_2)
	v_mad_u64_u32 v[6:7], null, 0xcd9e8d57, v9, 0
	v_xor3_b32 v5, v30, v5, v15
	s_delay_alu instid0(VALU_DEP_2) | instskip(NEXT) | instid1(VALU_DEP_2)
	;; [unrolled: 6-line block ×6, first 2 shown]
	v_xor3_b32 v4, v6, v7, v28
	v_mov_b32_e32 v6, v10
	v_cmpx_lt_i32_e32 1, v26
	s_xor_b32 s20, exec_lo, s20
	s_cbranch_execnz .LBB95_12
; %bb.10:                               ;   in Loop: Header=BB95_9 Depth=1
	s_and_not1_saveexec_b32 s20, s20
	s_cbranch_execnz .LBB95_17
.LBB95_11:                              ;   in Loop: Header=BB95_9 Depth=1
	s_or_b32 exec_lo, exec_lo, s20
	s_delay_alu instid0(SALU_CYCLE_1)
	s_mov_b32 s35, exec_lo
	v_cmpx_gt_i64_e64 s[16:17], v[13:14]
	s_cbranch_execnz .LBB95_20
	s_branch .LBB95_34
.LBB95_12:                              ;   in Loop: Header=BB95_9 Depth=1
	s_mov_b32 s21, exec_lo
	v_cmpx_lt_i32_e32 2, v26
	s_xor_b32 s21, exec_lo, s21
; %bb.13:                               ;   in Loop: Header=BB95_9 Depth=1
	v_dual_mov_b32 v7, v3 :: v_dual_mov_b32 v8, v4
	v_mov_b32_e32 v9, v5
	s_delay_alu instid0(VALU_DEP_2) | instskip(NEXT) | instid1(VALU_DEP_2)
	v_dual_mov_b32 v0, v7 :: v_dual_mov_b32 v1, v8
	v_dual_mov_b32 v2, v9 :: v_dual_mov_b32 v3, v10
; %bb.14:                               ;   in Loop: Header=BB95_9 Depth=1
	s_and_not1_saveexec_b32 s21, s21
; %bb.15:                               ;   in Loop: Header=BB95_9 Depth=1
	s_delay_alu instid0(VALU_DEP_1)
	v_dual_mov_b32 v0, v2 :: v_dual_mov_b32 v1, v3
	v_dual_mov_b32 v2, v4 :: v_dual_mov_b32 v3, v5
; %bb.16:                               ;   in Loop: Header=BB95_9 Depth=1
	s_or_b32 exec_lo, exec_lo, s21
	s_and_not1_saveexec_b32 s20, s20
	s_cbranch_execz .LBB95_11
.LBB95_17:                              ;   in Loop: Header=BB95_9 Depth=1
	s_mov_b32 s21, exec_lo
	v_cmpx_eq_u32_e32 1, v26
; %bb.18:                               ;   in Loop: Header=BB95_9 Depth=1
	v_dual_mov_b32 v0, v1 :: v_dual_mov_b32 v1, v2
	v_dual_mov_b32 v2, v3 :: v_dual_mov_b32 v3, v4
; %bb.19:                               ;   in Loop: Header=BB95_9 Depth=1
	s_or_b32 exec_lo, exec_lo, s21
	s_delay_alu instid0(SALU_CYCLE_1) | instskip(NEXT) | instid1(SALU_CYCLE_1)
	s_or_b32 exec_lo, exec_lo, s20
	s_mov_b32 s35, exec_lo
	v_cmpx_gt_i64_e64 s[16:17], v[13:14]
	s_cbranch_execz .LBB95_34
.LBB95_20:                              ;   in Loop: Header=BB95_9 Depth=1
	s_and_not1_b32 vcc_lo, exec_lo, s11
	s_cbranch_vccnz .LBB95_26
; %bb.21:                               ;   in Loop: Header=BB95_9 Depth=1
	v_mov_b32_e32 v7, 0
	s_and_not1_b32 vcc_lo, exec_lo, s27
	s_cbranch_vccnz .LBB95_30
; %bb.22:                               ;   in Loop: Header=BB95_9 Depth=1
	s_and_not1_b32 vcc_lo, exec_lo, s30
	s_mov_b32 s20, 0
	s_cbranch_vccnz .LBB95_27
; %bb.23:                               ;   in Loop: Header=BB95_9 Depth=1
	v_dual_mov_b32 v7, 0 :: v_dual_mov_b32 v8, v13
	s_mov_b32 s36, 0
	s_mov_b64 s[20:21], s[12:13]
	s_mov_b64 s[22:23], s[0:1]
.LBB95_24:                              ;   Parent Loop BB95_9 Depth=1
                                        ; =>  This Inner Loop Header: Depth=2
	s_clause 0x1
	s_load_b256 s[40:47], s[20:21], 0x4
	s_load_b128 s[48:51], s[20:21], 0x24
	s_load_b128 s[52:55], s[22:23], 0x0
	s_add_u32 s20, s20, 48
	s_addc_u32 s21, s21, 0
	s_add_i32 s36, s36, 4
	s_add_u32 s22, s22, 16
	s_addc_u32 s23, s23, 0
	s_cmp_lg_u32 s31, s36
	s_waitcnt lgkmcnt(0)
	v_mul_hi_u32 v9, s41, v8
	s_delay_alu instid0(VALU_DEP_1) | instskip(NEXT) | instid1(VALU_DEP_1)
	v_add_nc_u32_e32 v9, v8, v9
	v_lshrrev_b32_e32 v9, s42, v9
	s_delay_alu instid0(VALU_DEP_1) | instskip(SKIP_1) | instid1(VALU_DEP_2)
	v_mul_hi_u32 v10, s44, v9
	v_mul_lo_u32 v41, v9, s40
	v_add_nc_u32_e32 v10, v9, v10
	s_delay_alu instid0(VALU_DEP_2) | instskip(NEXT) | instid1(VALU_DEP_2)
	v_sub_nc_u32_e32 v41, v8, v41
	v_lshrrev_b32_e32 v10, s45, v10
	s_delay_alu instid0(VALU_DEP_2) | instskip(NEXT) | instid1(VALU_DEP_2)
	v_mul_lo_u32 v41, v41, s52
	v_mul_hi_u32 v16, s47, v10
	v_mul_lo_u32 v42, v10, s43
	s_delay_alu instid0(VALU_DEP_2) | instskip(NEXT) | instid1(VALU_DEP_2)
	v_add_nc_u32_e32 v16, v10, v16
	v_sub_nc_u32_e32 v9, v9, v42
	s_delay_alu instid0(VALU_DEP_2) | instskip(NEXT) | instid1(VALU_DEP_2)
	v_lshrrev_b32_e32 v16, s48, v16
	v_mul_lo_u32 v9, v9, s53
	s_delay_alu instid0(VALU_DEP_2) | instskip(NEXT) | instid1(VALU_DEP_2)
	v_mul_hi_u32 v40, s50, v16
	v_add3_u32 v7, v41, v7, v9
	s_delay_alu instid0(VALU_DEP_2) | instskip(NEXT) | instid1(VALU_DEP_1)
	v_add_nc_u32_e32 v40, v16, v40
	v_lshrrev_b32_e32 v8, s51, v40
	v_mul_lo_u32 v40, v16, s46
	s_delay_alu instid0(VALU_DEP_2) | instskip(NEXT) | instid1(VALU_DEP_2)
	v_mul_lo_u32 v43, v8, s49
	v_sub_nc_u32_e32 v10, v10, v40
	s_delay_alu instid0(VALU_DEP_2) | instskip(NEXT) | instid1(VALU_DEP_2)
	v_sub_nc_u32_e32 v16, v16, v43
	v_mul_lo_u32 v10, v10, s54
	s_delay_alu instid0(VALU_DEP_2) | instskip(NEXT) | instid1(VALU_DEP_1)
	v_mul_lo_u32 v16, v16, s55
	v_add3_u32 v7, v10, v7, v16
	s_cbranch_scc1 .LBB95_24
; %bb.25:                               ;   in Loop: Header=BB95_9 Depth=1
	s_mov_b32 s20, s31
	s_and_not1_b32 vcc_lo, exec_lo, s34
	s_cbranch_vccz .LBB95_28
	s_branch .LBB95_30
.LBB95_26:                              ;   in Loop: Header=BB95_9 Depth=1
                                        ; implicit-def: $vgpr7
	s_branch .LBB95_31
.LBB95_27:                              ;   in Loop: Header=BB95_9 Depth=1
	v_mov_b32_e32 v8, v13
	s_and_not1_b32 vcc_lo, exec_lo, s34
	s_cbranch_vccnz .LBB95_30
.LBB95_28:                              ;   in Loop: Header=BB95_9 Depth=1
	s_lshl_b32 s21, s20, 2
	s_mul_i32 s22, s20, 12
	s_add_u32 s20, s0, s21
	s_addc_u32 s21, s1, 0
	s_add_u32 s22, s12, s22
	s_addc_u32 s23, s13, 0
	s_mov_b32 s36, s29
	.p2align	6
.LBB95_29:                              ;   Parent Loop BB95_9 Depth=1
                                        ; =>  This Inner Loop Header: Depth=2
	s_clause 0x1
	s_load_b64 s[38:39], s[22:23], 0x4
	s_load_b32 s37, s[22:23], 0xc
	s_add_u32 s22, s22, 12
	s_addc_u32 s23, s23, 0
	s_waitcnt lgkmcnt(0)
	v_mul_hi_u32 v9, s39, v8
	s_load_b32 s39, s[20:21], 0x0
	s_add_u32 s20, s20, 4
	s_addc_u32 s21, s21, 0
	s_add_i32 s36, s36, -1
	s_delay_alu instid0(SALU_CYCLE_1) | instskip(NEXT) | instid1(VALU_DEP_1)
	s_cmp_lg_u32 s36, 0
	v_add_nc_u32_e32 v9, v8, v9
	s_delay_alu instid0(VALU_DEP_1) | instskip(NEXT) | instid1(VALU_DEP_1)
	v_lshrrev_b32_e32 v16, s37, v9
	v_mul_lo_u32 v9, v16, s38
	s_delay_alu instid0(VALU_DEP_1) | instskip(SKIP_1) | instid1(VALU_DEP_1)
	v_sub_nc_u32_e32 v8, v8, v9
	s_waitcnt lgkmcnt(0)
	v_mad_u64_u32 v[9:10], null, v8, s39, v[7:8]
	s_delay_alu instid0(VALU_DEP_1)
	v_dual_mov_b32 v8, v16 :: v_dual_mov_b32 v7, v9
	s_cbranch_scc1 .LBB95_29
.LBB95_30:                              ;   in Loop: Header=BB95_9 Depth=1
	s_cbranch_execnz .LBB95_33
.LBB95_31:                              ;   in Loop: Header=BB95_9 Depth=1
	v_mul_hi_u32 v7, v13, s6
	s_and_not1_b32 vcc_lo, exec_lo, s4
	s_delay_alu instid0(VALU_DEP_1) | instskip(NEXT) | instid1(VALU_DEP_1)
	v_add_nc_u32_e32 v7, v7, v13
	v_lshrrev_b32_e32 v8, s7, v7
	s_delay_alu instid0(VALU_DEP_1) | instskip(NEXT) | instid1(VALU_DEP_1)
	v_mul_lo_u32 v7, v8, s5
	v_sub_nc_u32_e32 v7, v13, v7
	s_delay_alu instid0(VALU_DEP_1)
	v_mul_lo_u32 v7, v7, s14
	s_cbranch_vccnz .LBB95_33
; %bb.32:                               ;   in Loop: Header=BB95_9 Depth=1
	v_mul_hi_u32 v9, s9, v8
	s_delay_alu instid0(VALU_DEP_1) | instskip(NEXT) | instid1(VALU_DEP_1)
	v_add_nc_u32_e32 v9, v8, v9
	v_lshrrev_b32_e32 v9, s10, v9
	s_delay_alu instid0(VALU_DEP_1) | instskip(NEXT) | instid1(VALU_DEP_1)
	v_mul_lo_u32 v9, v9, s8
	v_sub_nc_u32_e32 v10, v8, v9
	s_delay_alu instid0(VALU_DEP_1) | instskip(NEXT) | instid1(VALU_DEP_1)
	v_mad_u64_u32 v[8:9], null, v10, s15, v[7:8]
	v_mov_b32_e32 v7, v8
.LBB95_33:                              ;   in Loop: Header=BB95_9 Depth=1
	v_mul_hi_u32 v8, 0xffffff01, v0
	s_delay_alu instid0(VALU_DEP_1) | instskip(NEXT) | instid1(VALU_DEP_1)
	v_lshrrev_b32_e32 v8, 24, v8
	v_lshl_add_u32 v8, v8, 24, v8
	s_delay_alu instid0(VALU_DEP_1) | instskip(NEXT) | instid1(VALU_DEP_1)
	v_sub_nc_u32_e32 v0, v0, v8
	v_cvt_f32_u32_e32 v0, v0
	global_store_b32 v7, v0, s[18:19]
.LBB95_34:                              ;   in Loop: Header=BB95_9 Depth=1
	s_or_b32 exec_lo, exec_lo, s35
	v_add_co_u32 v7, vcc_lo, v13, s24
	v_add_co_ci_u32_e32 v8, vcc_lo, 0, v14, vcc_lo
	s_mov_b32 s35, exec_lo
	s_delay_alu instid0(VALU_DEP_1)
	v_cmpx_gt_i64_e64 s[16:17], v[7:8]
	s_cbranch_execz .LBB95_49
; %bb.35:                               ;   in Loop: Header=BB95_9 Depth=1
	s_and_not1_b32 vcc_lo, exec_lo, s11
	s_cbranch_vccnz .LBB95_41
; %bb.36:                               ;   in Loop: Header=BB95_9 Depth=1
	v_mov_b32_e32 v0, 0
	s_and_not1_b32 vcc_lo, exec_lo, s27
	s_cbranch_vccnz .LBB95_45
; %bb.37:                               ;   in Loop: Header=BB95_9 Depth=1
	s_and_not1_b32 vcc_lo, exec_lo, s30
	s_mov_b32 s20, 0
	s_cbranch_vccnz .LBB95_42
; %bb.38:                               ;   in Loop: Header=BB95_9 Depth=1
	v_mov_b32_e32 v0, 0
	v_mov_b32_e32 v8, v7
	s_mov_b32 s36, 0
	s_mov_b64 s[20:21], s[12:13]
	s_mov_b64 s[22:23], s[0:1]
.LBB95_39:                              ;   Parent Loop BB95_9 Depth=1
                                        ; =>  This Inner Loop Header: Depth=2
	s_clause 0x1
	s_load_b256 s[40:47], s[20:21], 0x4
	s_load_b128 s[48:51], s[20:21], 0x24
	s_load_b128 s[52:55], s[22:23], 0x0
	s_add_u32 s20, s20, 48
	s_addc_u32 s21, s21, 0
	s_add_i32 s36, s36, 4
	s_add_u32 s22, s22, 16
	s_addc_u32 s23, s23, 0
	s_cmp_eq_u32 s31, s36
	s_waitcnt lgkmcnt(0)
	v_mul_hi_u32 v9, s41, v8
	s_delay_alu instid0(VALU_DEP_1) | instskip(NEXT) | instid1(VALU_DEP_1)
	v_add_nc_u32_e32 v9, v8, v9
	v_lshrrev_b32_e32 v9, s42, v9
	s_delay_alu instid0(VALU_DEP_1) | instskip(SKIP_1) | instid1(VALU_DEP_2)
	v_mul_hi_u32 v10, s44, v9
	v_mul_lo_u32 v41, v9, s40
	v_add_nc_u32_e32 v10, v9, v10
	s_delay_alu instid0(VALU_DEP_2) | instskip(NEXT) | instid1(VALU_DEP_2)
	v_sub_nc_u32_e32 v41, v8, v41
	v_lshrrev_b32_e32 v10, s45, v10
	s_delay_alu instid0(VALU_DEP_2) | instskip(NEXT) | instid1(VALU_DEP_2)
	v_mul_lo_u32 v41, v41, s52
	v_mul_hi_u32 v16, s47, v10
	v_mul_lo_u32 v42, v10, s43
	s_delay_alu instid0(VALU_DEP_2) | instskip(NEXT) | instid1(VALU_DEP_2)
	v_add_nc_u32_e32 v16, v10, v16
	v_sub_nc_u32_e32 v9, v9, v42
	s_delay_alu instid0(VALU_DEP_2) | instskip(NEXT) | instid1(VALU_DEP_2)
	v_lshrrev_b32_e32 v16, s48, v16
	v_mul_lo_u32 v9, v9, s53
	s_delay_alu instid0(VALU_DEP_2) | instskip(NEXT) | instid1(VALU_DEP_2)
	v_mul_hi_u32 v40, s50, v16
	v_add3_u32 v0, v41, v0, v9
	s_delay_alu instid0(VALU_DEP_2) | instskip(NEXT) | instid1(VALU_DEP_1)
	v_add_nc_u32_e32 v40, v16, v40
	v_lshrrev_b32_e32 v8, s51, v40
	v_mul_lo_u32 v40, v16, s46
	s_delay_alu instid0(VALU_DEP_2) | instskip(NEXT) | instid1(VALU_DEP_2)
	v_mul_lo_u32 v43, v8, s49
	v_sub_nc_u32_e32 v10, v10, v40
	s_delay_alu instid0(VALU_DEP_2) | instskip(NEXT) | instid1(VALU_DEP_2)
	v_sub_nc_u32_e32 v16, v16, v43
	v_mul_lo_u32 v10, v10, s54
	s_delay_alu instid0(VALU_DEP_2) | instskip(NEXT) | instid1(VALU_DEP_1)
	v_mul_lo_u32 v16, v16, s55
	v_add3_u32 v0, v10, v0, v16
	s_cbranch_scc0 .LBB95_39
; %bb.40:                               ;   in Loop: Header=BB95_9 Depth=1
	s_mov_b32 s20, s31
	s_and_not1_b32 vcc_lo, exec_lo, s34
	s_cbranch_vccz .LBB95_43
	s_branch .LBB95_45
.LBB95_41:                              ;   in Loop: Header=BB95_9 Depth=1
                                        ; implicit-def: $vgpr0
	s_branch .LBB95_46
.LBB95_42:                              ;   in Loop: Header=BB95_9 Depth=1
	v_mov_b32_e32 v8, v7
	s_and_not1_b32 vcc_lo, exec_lo, s34
	s_cbranch_vccnz .LBB95_45
.LBB95_43:                              ;   in Loop: Header=BB95_9 Depth=1
	s_lshl_b32 s21, s20, 2
	s_mul_i32 s22, s20, 12
	s_add_u32 s20, s0, s21
	s_addc_u32 s21, s1, 0
	s_add_u32 s22, s12, s22
	s_addc_u32 s23, s13, 0
	s_mov_b32 s36, s29
	.p2align	6
.LBB95_44:                              ;   Parent Loop BB95_9 Depth=1
                                        ; =>  This Inner Loop Header: Depth=2
	s_clause 0x1
	s_load_b64 s[38:39], s[22:23], 0x4
	s_load_b32 s37, s[22:23], 0xc
	s_add_u32 s22, s22, 12
	s_addc_u32 s23, s23, 0
	s_waitcnt lgkmcnt(0)
	v_mul_hi_u32 v9, s39, v8
	s_load_b32 s39, s[20:21], 0x0
	s_add_u32 s20, s20, 4
	s_addc_u32 s21, s21, 0
	s_add_i32 s36, s36, -1
	s_delay_alu instid0(SALU_CYCLE_1) | instskip(NEXT) | instid1(VALU_DEP_1)
	s_cmp_lg_u32 s36, 0
	v_add_nc_u32_e32 v9, v8, v9
	s_delay_alu instid0(VALU_DEP_1) | instskip(NEXT) | instid1(VALU_DEP_1)
	v_lshrrev_b32_e32 v16, s37, v9
	v_mul_lo_u32 v9, v16, s38
	s_delay_alu instid0(VALU_DEP_1) | instskip(SKIP_1) | instid1(VALU_DEP_1)
	v_sub_nc_u32_e32 v8, v8, v9
	s_waitcnt lgkmcnt(0)
	v_mad_u64_u32 v[9:10], null, v8, s39, v[0:1]
	v_mov_b32_e32 v8, v16
	s_delay_alu instid0(VALU_DEP_2)
	v_mov_b32_e32 v0, v9
	s_cbranch_scc1 .LBB95_44
.LBB95_45:                              ;   in Loop: Header=BB95_9 Depth=1
	s_cbranch_execnz .LBB95_48
.LBB95_46:                              ;   in Loop: Header=BB95_9 Depth=1
	v_mul_hi_u32 v0, v7, s6
	s_and_not1_b32 vcc_lo, exec_lo, s4
	s_delay_alu instid0(VALU_DEP_1) | instskip(NEXT) | instid1(VALU_DEP_1)
	v_add_nc_u32_e32 v0, v0, v7
	v_lshrrev_b32_e32 v8, s7, v0
	s_delay_alu instid0(VALU_DEP_1) | instskip(NEXT) | instid1(VALU_DEP_1)
	v_mul_lo_u32 v0, v8, s5
	v_sub_nc_u32_e32 v0, v7, v0
	s_delay_alu instid0(VALU_DEP_1)
	v_mul_lo_u32 v0, v0, s14
	s_cbranch_vccnz .LBB95_48
; %bb.47:                               ;   in Loop: Header=BB95_9 Depth=1
	v_mul_hi_u32 v7, s9, v8
	s_delay_alu instid0(VALU_DEP_1) | instskip(NEXT) | instid1(VALU_DEP_1)
	v_add_nc_u32_e32 v7, v8, v7
	v_lshrrev_b32_e32 v7, s10, v7
	s_delay_alu instid0(VALU_DEP_1) | instskip(NEXT) | instid1(VALU_DEP_1)
	v_mul_lo_u32 v7, v7, s8
	v_sub_nc_u32_e32 v9, v8, v7
	s_delay_alu instid0(VALU_DEP_1) | instskip(NEXT) | instid1(VALU_DEP_1)
	v_mad_u64_u32 v[7:8], null, v9, s15, v[0:1]
	v_mov_b32_e32 v0, v7
.LBB95_48:                              ;   in Loop: Header=BB95_9 Depth=1
	v_mul_hi_u32 v7, 0xffffff01, v1
	s_delay_alu instid0(VALU_DEP_1) | instskip(NEXT) | instid1(VALU_DEP_1)
	v_lshrrev_b32_e32 v7, 24, v7
	v_lshl_add_u32 v7, v7, 24, v7
	s_delay_alu instid0(VALU_DEP_1) | instskip(NEXT) | instid1(VALU_DEP_1)
	v_sub_nc_u32_e32 v1, v1, v7
	v_cvt_f32_u32_e32 v1, v1
	global_store_b32 v0, v1, s[18:19]
.LBB95_49:                              ;   in Loop: Header=BB95_9 Depth=1
	s_or_b32 exec_lo, exec_lo, s35
	v_add_co_u32 v0, vcc_lo, v13, s28
	v_add_co_ci_u32_e32 v1, vcc_lo, 0, v14, vcc_lo
	s_mov_b32 s35, exec_lo
	s_delay_alu instid0(VALU_DEP_1)
	v_cmpx_gt_i64_e64 s[16:17], v[0:1]
	s_cbranch_execz .LBB95_64
; %bb.50:                               ;   in Loop: Header=BB95_9 Depth=1
	s_and_not1_b32 vcc_lo, exec_lo, s11
	s_cbranch_vccnz .LBB95_56
; %bb.51:                               ;   in Loop: Header=BB95_9 Depth=1
	v_mov_b32_e32 v1, 0
	s_and_not1_b32 vcc_lo, exec_lo, s27
	s_cbranch_vccnz .LBB95_60
; %bb.52:                               ;   in Loop: Header=BB95_9 Depth=1
	s_and_not1_b32 vcc_lo, exec_lo, s30
	s_mov_b32 s20, 0
	s_cbranch_vccnz .LBB95_57
; %bb.53:                               ;   in Loop: Header=BB95_9 Depth=1
	v_mov_b32_e32 v1, 0
	v_mov_b32_e32 v7, v0
	s_mov_b32 s36, 0
	s_mov_b64 s[20:21], s[12:13]
	s_mov_b64 s[22:23], s[0:1]
.LBB95_54:                              ;   Parent Loop BB95_9 Depth=1
                                        ; =>  This Inner Loop Header: Depth=2
	s_clause 0x1
	s_load_b256 s[40:47], s[20:21], 0x4
	s_load_b128 s[48:51], s[20:21], 0x24
	s_load_b128 s[52:55], s[22:23], 0x0
	s_add_u32 s20, s20, 48
	s_addc_u32 s21, s21, 0
	s_add_i32 s36, s36, 4
	s_add_u32 s22, s22, 16
	s_addc_u32 s23, s23, 0
	s_cmp_eq_u32 s31, s36
	s_waitcnt lgkmcnt(0)
	v_mul_hi_u32 v8, s41, v7
	s_delay_alu instid0(VALU_DEP_1) | instskip(NEXT) | instid1(VALU_DEP_1)
	v_add_nc_u32_e32 v8, v7, v8
	v_lshrrev_b32_e32 v8, s42, v8
	s_delay_alu instid0(VALU_DEP_1) | instskip(SKIP_1) | instid1(VALU_DEP_2)
	v_mul_hi_u32 v9, s44, v8
	v_mul_lo_u32 v40, v8, s40
	v_add_nc_u32_e32 v9, v8, v9
	s_delay_alu instid0(VALU_DEP_2) | instskip(NEXT) | instid1(VALU_DEP_2)
	v_sub_nc_u32_e32 v40, v7, v40
	v_lshrrev_b32_e32 v9, s45, v9
	s_delay_alu instid0(VALU_DEP_2) | instskip(NEXT) | instid1(VALU_DEP_2)
	v_mul_lo_u32 v40, v40, s52
	v_mul_hi_u32 v10, s47, v9
	v_mul_lo_u32 v41, v9, s43
	s_delay_alu instid0(VALU_DEP_2) | instskip(NEXT) | instid1(VALU_DEP_2)
	v_add_nc_u32_e32 v10, v9, v10
	v_sub_nc_u32_e32 v8, v8, v41
	s_delay_alu instid0(VALU_DEP_2) | instskip(NEXT) | instid1(VALU_DEP_2)
	v_lshrrev_b32_e32 v10, s48, v10
	v_mul_lo_u32 v8, v8, s53
	s_delay_alu instid0(VALU_DEP_2) | instskip(NEXT) | instid1(VALU_DEP_2)
	v_mul_hi_u32 v16, s50, v10
	v_add3_u32 v1, v40, v1, v8
	s_delay_alu instid0(VALU_DEP_2) | instskip(NEXT) | instid1(VALU_DEP_1)
	v_add_nc_u32_e32 v16, v10, v16
	v_lshrrev_b32_e32 v7, s51, v16
	v_mul_lo_u32 v16, v10, s46
	s_delay_alu instid0(VALU_DEP_2) | instskip(NEXT) | instid1(VALU_DEP_2)
	v_mul_lo_u32 v42, v7, s49
	v_sub_nc_u32_e32 v9, v9, v16
	s_delay_alu instid0(VALU_DEP_2) | instskip(NEXT) | instid1(VALU_DEP_2)
	v_sub_nc_u32_e32 v10, v10, v42
	v_mul_lo_u32 v9, v9, s54
	s_delay_alu instid0(VALU_DEP_2) | instskip(NEXT) | instid1(VALU_DEP_1)
	v_mul_lo_u32 v10, v10, s55
	v_add3_u32 v1, v9, v1, v10
	s_cbranch_scc0 .LBB95_54
; %bb.55:                               ;   in Loop: Header=BB95_9 Depth=1
	s_mov_b32 s20, s31
	s_and_not1_b32 vcc_lo, exec_lo, s34
	s_cbranch_vccz .LBB95_58
	s_branch .LBB95_60
.LBB95_56:                              ;   in Loop: Header=BB95_9 Depth=1
                                        ; implicit-def: $vgpr1
	s_branch .LBB95_61
.LBB95_57:                              ;   in Loop: Header=BB95_9 Depth=1
	v_mov_b32_e32 v7, v0
	s_and_not1_b32 vcc_lo, exec_lo, s34
	s_cbranch_vccnz .LBB95_60
.LBB95_58:                              ;   in Loop: Header=BB95_9 Depth=1
	s_lshl_b32 s21, s20, 2
	s_mul_i32 s22, s20, 12
	s_add_u32 s20, s0, s21
	s_addc_u32 s21, s1, 0
	s_add_u32 s22, s12, s22
	s_addc_u32 s23, s13, 0
	s_mov_b32 s36, s29
	.p2align	6
.LBB95_59:                              ;   Parent Loop BB95_9 Depth=1
                                        ; =>  This Inner Loop Header: Depth=2
	s_clause 0x1
	s_load_b64 s[38:39], s[22:23], 0x4
	s_load_b32 s37, s[22:23], 0xc
	s_add_u32 s22, s22, 12
	s_addc_u32 s23, s23, 0
	s_waitcnt lgkmcnt(0)
	v_mul_hi_u32 v8, s39, v7
	s_load_b32 s39, s[20:21], 0x0
	s_add_u32 s20, s20, 4
	s_addc_u32 s21, s21, 0
	s_add_i32 s36, s36, -1
	s_delay_alu instid0(SALU_CYCLE_1) | instskip(NEXT) | instid1(VALU_DEP_1)
	s_cmp_lg_u32 s36, 0
	v_add_nc_u32_e32 v8, v7, v8
	s_delay_alu instid0(VALU_DEP_1) | instskip(NEXT) | instid1(VALU_DEP_1)
	v_lshrrev_b32_e32 v10, s37, v8
	v_mul_lo_u32 v8, v10, s38
	s_delay_alu instid0(VALU_DEP_1) | instskip(SKIP_1) | instid1(VALU_DEP_1)
	v_sub_nc_u32_e32 v7, v7, v8
	s_waitcnt lgkmcnt(0)
	v_mad_u64_u32 v[8:9], null, v7, s39, v[1:2]
	v_mov_b32_e32 v7, v10
	s_delay_alu instid0(VALU_DEP_2)
	v_mov_b32_e32 v1, v8
	s_cbranch_scc1 .LBB95_59
.LBB95_60:                              ;   in Loop: Header=BB95_9 Depth=1
	s_cbranch_execnz .LBB95_63
.LBB95_61:                              ;   in Loop: Header=BB95_9 Depth=1
	v_mul_hi_u32 v1, v0, s6
	s_and_not1_b32 vcc_lo, exec_lo, s4
	s_delay_alu instid0(VALU_DEP_1) | instskip(NEXT) | instid1(VALU_DEP_1)
	v_add_nc_u32_e32 v1, v1, v0
	v_lshrrev_b32_e32 v7, s7, v1
	s_delay_alu instid0(VALU_DEP_1) | instskip(NEXT) | instid1(VALU_DEP_1)
	v_mul_lo_u32 v1, v7, s5
	v_sub_nc_u32_e32 v0, v0, v1
	s_delay_alu instid0(VALU_DEP_1)
	v_mul_lo_u32 v1, v0, s14
	s_cbranch_vccnz .LBB95_63
; %bb.62:                               ;   in Loop: Header=BB95_9 Depth=1
	v_mul_hi_u32 v0, s9, v7
	s_delay_alu instid0(VALU_DEP_1) | instskip(NEXT) | instid1(VALU_DEP_1)
	v_add_nc_u32_e32 v0, v7, v0
	v_lshrrev_b32_e32 v0, s10, v0
	s_delay_alu instid0(VALU_DEP_1) | instskip(NEXT) | instid1(VALU_DEP_1)
	v_mul_lo_u32 v0, v0, s8
	v_sub_nc_u32_e32 v0, v7, v0
	s_delay_alu instid0(VALU_DEP_1) | instskip(NEXT) | instid1(VALU_DEP_1)
	v_mad_u64_u32 v[7:8], null, v0, s15, v[1:2]
	v_mov_b32_e32 v1, v7
.LBB95_63:                              ;   in Loop: Header=BB95_9 Depth=1
	v_mul_hi_u32 v0, 0xffffff01, v2
	s_delay_alu instid0(VALU_DEP_1) | instskip(NEXT) | instid1(VALU_DEP_1)
	v_lshrrev_b32_e32 v0, 24, v0
	v_lshl_add_u32 v0, v0, 24, v0
	s_delay_alu instid0(VALU_DEP_1) | instskip(NEXT) | instid1(VALU_DEP_1)
	v_sub_nc_u32_e32 v0, v2, v0
	v_cvt_f32_u32_e32 v0, v0
	global_store_b32 v1, v0, s[18:19]
.LBB95_64:                              ;   in Loop: Header=BB95_9 Depth=1
	s_or_b32 exec_lo, exec_lo, s35
	v_add_co_u32 v0, vcc_lo, v13, s33
	v_add_co_ci_u32_e32 v1, vcc_lo, 0, v14, vcc_lo
	s_mov_b32 s35, exec_lo
	s_delay_alu instid0(VALU_DEP_1)
	v_cmpx_gt_i64_e64 s[16:17], v[0:1]
	s_cbranch_execz .LBB95_8
; %bb.65:                               ;   in Loop: Header=BB95_9 Depth=1
	s_and_not1_b32 vcc_lo, exec_lo, s11
	s_cbranch_vccnz .LBB95_71
; %bb.66:                               ;   in Loop: Header=BB95_9 Depth=1
	v_mov_b32_e32 v1, 0
	s_and_not1_b32 vcc_lo, exec_lo, s27
	s_cbranch_vccnz .LBB95_75
; %bb.67:                               ;   in Loop: Header=BB95_9 Depth=1
	s_and_not1_b32 vcc_lo, exec_lo, s30
	s_mov_b32 s20, 0
	s_cbranch_vccnz .LBB95_72
; %bb.68:                               ;   in Loop: Header=BB95_9 Depth=1
	v_dual_mov_b32 v1, 0 :: v_dual_mov_b32 v2, v0
	s_mov_b32 s36, 0
	s_mov_b64 s[20:21], s[12:13]
	s_mov_b64 s[22:23], s[0:1]
.LBB95_69:                              ;   Parent Loop BB95_9 Depth=1
                                        ; =>  This Inner Loop Header: Depth=2
	s_clause 0x1
	s_load_b256 s[40:47], s[20:21], 0x4
	s_load_b128 s[48:51], s[20:21], 0x24
	s_load_b128 s[52:55], s[22:23], 0x0
	s_add_u32 s20, s20, 48
	s_addc_u32 s21, s21, 0
	s_add_i32 s36, s36, 4
	s_add_u32 s22, s22, 16
	s_addc_u32 s23, s23, 0
	s_cmp_eq_u32 s31, s36
	s_waitcnt lgkmcnt(0)
	v_mul_hi_u32 v7, s41, v2
	s_delay_alu instid0(VALU_DEP_1) | instskip(NEXT) | instid1(VALU_DEP_1)
	v_add_nc_u32_e32 v7, v2, v7
	v_lshrrev_b32_e32 v7, s42, v7
	s_delay_alu instid0(VALU_DEP_1) | instskip(SKIP_1) | instid1(VALU_DEP_2)
	v_mul_hi_u32 v8, s44, v7
	v_mul_lo_u32 v16, v7, s40
	v_add_nc_u32_e32 v8, v7, v8
	s_delay_alu instid0(VALU_DEP_2) | instskip(NEXT) | instid1(VALU_DEP_2)
	v_sub_nc_u32_e32 v16, v2, v16
	v_lshrrev_b32_e32 v8, s45, v8
	s_delay_alu instid0(VALU_DEP_2) | instskip(NEXT) | instid1(VALU_DEP_2)
	v_mul_lo_u32 v16, v16, s52
	v_mul_hi_u32 v9, s47, v8
	v_mul_lo_u32 v40, v8, s43
	s_delay_alu instid0(VALU_DEP_2) | instskip(NEXT) | instid1(VALU_DEP_2)
	v_add_nc_u32_e32 v9, v8, v9
	v_sub_nc_u32_e32 v7, v7, v40
	s_delay_alu instid0(VALU_DEP_2) | instskip(NEXT) | instid1(VALU_DEP_2)
	v_lshrrev_b32_e32 v9, s48, v9
	v_mul_lo_u32 v7, v7, s53
	s_delay_alu instid0(VALU_DEP_2) | instskip(NEXT) | instid1(VALU_DEP_2)
	v_mul_hi_u32 v10, s50, v9
	v_add3_u32 v1, v16, v1, v7
	s_delay_alu instid0(VALU_DEP_2) | instskip(NEXT) | instid1(VALU_DEP_1)
	v_add_nc_u32_e32 v10, v9, v10
	v_lshrrev_b32_e32 v2, s51, v10
	v_mul_lo_u32 v10, v9, s46
	s_delay_alu instid0(VALU_DEP_2) | instskip(NEXT) | instid1(VALU_DEP_2)
	v_mul_lo_u32 v41, v2, s49
	v_sub_nc_u32_e32 v8, v8, v10
	s_delay_alu instid0(VALU_DEP_2) | instskip(NEXT) | instid1(VALU_DEP_2)
	v_sub_nc_u32_e32 v9, v9, v41
	v_mul_lo_u32 v8, v8, s54
	s_delay_alu instid0(VALU_DEP_2) | instskip(NEXT) | instid1(VALU_DEP_1)
	v_mul_lo_u32 v9, v9, s55
	v_add3_u32 v1, v8, v1, v9
	s_cbranch_scc0 .LBB95_69
; %bb.70:                               ;   in Loop: Header=BB95_9 Depth=1
	s_mov_b32 s20, s31
	s_and_not1_b32 vcc_lo, exec_lo, s34
	s_cbranch_vccz .LBB95_73
	s_branch .LBB95_75
.LBB95_71:                              ;   in Loop: Header=BB95_9 Depth=1
                                        ; implicit-def: $vgpr1
	s_branch .LBB95_76
.LBB95_72:                              ;   in Loop: Header=BB95_9 Depth=1
	v_mov_b32_e32 v2, v0
	s_and_not1_b32 vcc_lo, exec_lo, s34
	s_cbranch_vccnz .LBB95_75
.LBB95_73:                              ;   in Loop: Header=BB95_9 Depth=1
	s_lshl_b32 s21, s20, 2
	s_mul_i32 s22, s20, 12
	s_add_u32 s20, s0, s21
	s_addc_u32 s21, s1, 0
	s_add_u32 s22, s12, s22
	s_addc_u32 s23, s13, 0
	s_mov_b32 s36, s29
	.p2align	6
.LBB95_74:                              ;   Parent Loop BB95_9 Depth=1
                                        ; =>  This Inner Loop Header: Depth=2
	s_clause 0x1
	s_load_b64 s[38:39], s[22:23], 0x4
	s_load_b32 s37, s[22:23], 0xc
	s_add_u32 s22, s22, 12
	s_addc_u32 s23, s23, 0
	s_waitcnt lgkmcnt(0)
	v_mul_hi_u32 v7, s39, v2
	s_load_b32 s39, s[20:21], 0x0
	s_add_u32 s20, s20, 4
	s_addc_u32 s21, s21, 0
	s_add_i32 s36, s36, -1
	s_delay_alu instid0(SALU_CYCLE_1) | instskip(NEXT) | instid1(VALU_DEP_1)
	s_cmp_lg_u32 s36, 0
	v_add_nc_u32_e32 v7, v2, v7
	s_delay_alu instid0(VALU_DEP_1) | instskip(NEXT) | instid1(VALU_DEP_1)
	v_lshrrev_b32_e32 v9, s37, v7
	v_mul_lo_u32 v7, v9, s38
	s_delay_alu instid0(VALU_DEP_1) | instskip(SKIP_1) | instid1(VALU_DEP_1)
	v_sub_nc_u32_e32 v2, v2, v7
	s_waitcnt lgkmcnt(0)
	v_mad_u64_u32 v[7:8], null, v2, s39, v[1:2]
	s_delay_alu instid0(VALU_DEP_1)
	v_dual_mov_b32 v2, v9 :: v_dual_mov_b32 v1, v7
	s_cbranch_scc1 .LBB95_74
.LBB95_75:                              ;   in Loop: Header=BB95_9 Depth=1
	s_cbranch_execnz .LBB95_7
.LBB95_76:                              ;   in Loop: Header=BB95_9 Depth=1
	v_mul_hi_u32 v1, v0, s6
	s_and_not1_b32 vcc_lo, exec_lo, s4
	s_delay_alu instid0(VALU_DEP_1) | instskip(NEXT) | instid1(VALU_DEP_1)
	v_add_nc_u32_e32 v1, v1, v0
	v_lshrrev_b32_e32 v2, s7, v1
	s_delay_alu instid0(VALU_DEP_1) | instskip(NEXT) | instid1(VALU_DEP_1)
	v_mul_lo_u32 v1, v2, s5
	v_sub_nc_u32_e32 v0, v0, v1
	s_delay_alu instid0(VALU_DEP_1)
	v_mul_lo_u32 v1, v0, s14
	s_cbranch_vccnz .LBB95_7
; %bb.77:                               ;   in Loop: Header=BB95_9 Depth=1
	v_mul_hi_u32 v0, s9, v2
	s_delay_alu instid0(VALU_DEP_1) | instskip(NEXT) | instid1(VALU_DEP_1)
	v_add_nc_u32_e32 v0, v2, v0
	v_lshrrev_b32_e32 v0, s10, v0
	s_delay_alu instid0(VALU_DEP_1) | instskip(NEXT) | instid1(VALU_DEP_1)
	v_mul_lo_u32 v0, v0, s8
	v_sub_nc_u32_e32 v0, v2, v0
	s_delay_alu instid0(VALU_DEP_1) | instskip(NEXT) | instid1(VALU_DEP_1)
	v_mad_u64_u32 v[7:8], null, v0, s15, v[1:2]
	v_mov_b32_e32 v1, v7
	s_branch .LBB95_7
.LBB95_78:
	s_endpgm
.LBB95_79:
                                        ; implicit-def: $sgpr2_sgpr3
	s_branch .LBB95_4
	.section	.rodata,"a",@progbits
	.p2align	6, 0x0
	.amdhsa_kernel _ZN2at6native12_GLOBAL__N_143distribution_elementwise_grid_stride_kernelIjLi4EZZZNS0_9templates4cuda13random_kernelIPNS_17CUDAGeneratorImplEEEvRNS_18TensorIteratorBaseET_ENKUlvE_clEvENKUlvE5_clEvEUlP25hiprandStatePhilox4_32_10E0_ZNS1_27distribution_nullary_kernelIfj15HIP_vector_typeIjLj4EES7_SF_ZZZNS5_IS7_EEvS9_SA_ENKSB_clEvENKSC_clEvEUljE_EEvS9_T2_RKT3_T4_EUlijE0_EEvlNS_15PhiloxCudaStateET1_SK_
		.amdhsa_group_segment_fixed_size 0
		.amdhsa_private_segment_fixed_size 0
		.amdhsa_kernarg_size 584
		.amdhsa_user_sgpr_count 15
		.amdhsa_user_sgpr_dispatch_ptr 0
		.amdhsa_user_sgpr_queue_ptr 0
		.amdhsa_user_sgpr_kernarg_segment_ptr 1
		.amdhsa_user_sgpr_dispatch_id 0
		.amdhsa_user_sgpr_private_segment_size 0
		.amdhsa_wavefront_size32 1
		.amdhsa_uses_dynamic_stack 0
		.amdhsa_enable_private_segment 0
		.amdhsa_system_sgpr_workgroup_id_x 1
		.amdhsa_system_sgpr_workgroup_id_y 0
		.amdhsa_system_sgpr_workgroup_id_z 0
		.amdhsa_system_sgpr_workgroup_info 0
		.amdhsa_system_vgpr_workitem_id 0
		.amdhsa_next_free_vgpr 44
		.amdhsa_next_free_sgpr 56
		.amdhsa_reserve_vcc 1
		.amdhsa_float_round_mode_32 0
		.amdhsa_float_round_mode_16_64 0
		.amdhsa_float_denorm_mode_32 3
		.amdhsa_float_denorm_mode_16_64 3
		.amdhsa_dx10_clamp 1
		.amdhsa_ieee_mode 1
		.amdhsa_fp16_overflow 0
		.amdhsa_workgroup_processor_mode 1
		.amdhsa_memory_ordered 1
		.amdhsa_forward_progress 0
		.amdhsa_shared_vgpr_count 0
		.amdhsa_exception_fp_ieee_invalid_op 0
		.amdhsa_exception_fp_denorm_src 0
		.amdhsa_exception_fp_ieee_div_zero 0
		.amdhsa_exception_fp_ieee_overflow 0
		.amdhsa_exception_fp_ieee_underflow 0
		.amdhsa_exception_fp_ieee_inexact 0
		.amdhsa_exception_int_div_zero 0
	.end_amdhsa_kernel
	.section	.text._ZN2at6native12_GLOBAL__N_143distribution_elementwise_grid_stride_kernelIjLi4EZZZNS0_9templates4cuda13random_kernelIPNS_17CUDAGeneratorImplEEEvRNS_18TensorIteratorBaseET_ENKUlvE_clEvENKUlvE5_clEvEUlP25hiprandStatePhilox4_32_10E0_ZNS1_27distribution_nullary_kernelIfj15HIP_vector_typeIjLj4EES7_SF_ZZZNS5_IS7_EEvS9_SA_ENKSB_clEvENKSC_clEvEUljE_EEvS9_T2_RKT3_T4_EUlijE0_EEvlNS_15PhiloxCudaStateET1_SK_,"axG",@progbits,_ZN2at6native12_GLOBAL__N_143distribution_elementwise_grid_stride_kernelIjLi4EZZZNS0_9templates4cuda13random_kernelIPNS_17CUDAGeneratorImplEEEvRNS_18TensorIteratorBaseET_ENKUlvE_clEvENKUlvE5_clEvEUlP25hiprandStatePhilox4_32_10E0_ZNS1_27distribution_nullary_kernelIfj15HIP_vector_typeIjLj4EES7_SF_ZZZNS5_IS7_EEvS9_SA_ENKSB_clEvENKSC_clEvEUljE_EEvS9_T2_RKT3_T4_EUlijE0_EEvlNS_15PhiloxCudaStateET1_SK_,comdat
.Lfunc_end95:
	.size	_ZN2at6native12_GLOBAL__N_143distribution_elementwise_grid_stride_kernelIjLi4EZZZNS0_9templates4cuda13random_kernelIPNS_17CUDAGeneratorImplEEEvRNS_18TensorIteratorBaseET_ENKUlvE_clEvENKUlvE5_clEvEUlP25hiprandStatePhilox4_32_10E0_ZNS1_27distribution_nullary_kernelIfj15HIP_vector_typeIjLj4EES7_SF_ZZZNS5_IS7_EEvS9_SA_ENKSB_clEvENKSC_clEvEUljE_EEvS9_T2_RKT3_T4_EUlijE0_EEvlNS_15PhiloxCudaStateET1_SK_, .Lfunc_end95-_ZN2at6native12_GLOBAL__N_143distribution_elementwise_grid_stride_kernelIjLi4EZZZNS0_9templates4cuda13random_kernelIPNS_17CUDAGeneratorImplEEEvRNS_18TensorIteratorBaseET_ENKUlvE_clEvENKUlvE5_clEvEUlP25hiprandStatePhilox4_32_10E0_ZNS1_27distribution_nullary_kernelIfj15HIP_vector_typeIjLj4EES7_SF_ZZZNS5_IS7_EEvS9_SA_ENKSB_clEvENKSC_clEvEUljE_EEvS9_T2_RKT3_T4_EUlijE0_EEvlNS_15PhiloxCudaStateET1_SK_
                                        ; -- End function
	.section	.AMDGPU.csdata,"",@progbits
; Kernel info:
; codeLenInByte = 5296
; NumSgprs: 58
; NumVgprs: 44
; ScratchSize: 0
; MemoryBound: 0
; FloatMode: 240
; IeeeMode: 1
; LDSByteSize: 0 bytes/workgroup (compile time only)
; SGPRBlocks: 7
; VGPRBlocks: 5
; NumSGPRsForWavesPerEU: 58
; NumVGPRsForWavesPerEU: 44
; Occupancy: 16
; WaveLimiterHint : 1
; COMPUTE_PGM_RSRC2:SCRATCH_EN: 0
; COMPUTE_PGM_RSRC2:USER_SGPR: 15
; COMPUTE_PGM_RSRC2:TRAP_HANDLER: 0
; COMPUTE_PGM_RSRC2:TGID_X_EN: 1
; COMPUTE_PGM_RSRC2:TGID_Y_EN: 0
; COMPUTE_PGM_RSRC2:TGID_Z_EN: 0
; COMPUTE_PGM_RSRC2:TIDIG_COMP_CNT: 0
	.section	.text._ZN2at6native12_GLOBAL__N_143distribution_elementwise_grid_stride_kernelImLi2EZZZNS0_9templates4cuda13random_kernelIPNS_17CUDAGeneratorImplEEEvRNS_18TensorIteratorBaseET_ENKUlvE_clEvENKUlvE6_clEvEUlP25hiprandStatePhilox4_32_10E_ZNS1_27distribution_nullary_kernelIN3c104HalfEm15HIP_vector_typeIyLj2EES7_SF_ZZZNS5_IS7_EEvS9_SA_ENKSB_clEvENKSC_clEvEUlmE_EEvS9_T2_RKT3_T4_EUlimE_EEvlNS_15PhiloxCudaStateET1_SM_,"axG",@progbits,_ZN2at6native12_GLOBAL__N_143distribution_elementwise_grid_stride_kernelImLi2EZZZNS0_9templates4cuda13random_kernelIPNS_17CUDAGeneratorImplEEEvRNS_18TensorIteratorBaseET_ENKUlvE_clEvENKUlvE6_clEvEUlP25hiprandStatePhilox4_32_10E_ZNS1_27distribution_nullary_kernelIN3c104HalfEm15HIP_vector_typeIyLj2EES7_SF_ZZZNS5_IS7_EEvS9_SA_ENKSB_clEvENKSC_clEvEUlmE_EEvS9_T2_RKT3_T4_EUlimE_EEvlNS_15PhiloxCudaStateET1_SM_,comdat
	.globl	_ZN2at6native12_GLOBAL__N_143distribution_elementwise_grid_stride_kernelImLi2EZZZNS0_9templates4cuda13random_kernelIPNS_17CUDAGeneratorImplEEEvRNS_18TensorIteratorBaseET_ENKUlvE_clEvENKUlvE6_clEvEUlP25hiprandStatePhilox4_32_10E_ZNS1_27distribution_nullary_kernelIN3c104HalfEm15HIP_vector_typeIyLj2EES7_SF_ZZZNS5_IS7_EEvS9_SA_ENKSB_clEvENKSC_clEvEUlmE_EEvS9_T2_RKT3_T4_EUlimE_EEvlNS_15PhiloxCudaStateET1_SM_ ; -- Begin function _ZN2at6native12_GLOBAL__N_143distribution_elementwise_grid_stride_kernelImLi2EZZZNS0_9templates4cuda13random_kernelIPNS_17CUDAGeneratorImplEEEvRNS_18TensorIteratorBaseET_ENKUlvE_clEvENKUlvE6_clEvEUlP25hiprandStatePhilox4_32_10E_ZNS1_27distribution_nullary_kernelIN3c104HalfEm15HIP_vector_typeIyLj2EES7_SF_ZZZNS5_IS7_EEvS9_SA_ENKSB_clEvENKSC_clEvEUlmE_EEvS9_T2_RKT3_T4_EUlimE_EEvlNS_15PhiloxCudaStateET1_SM_
	.p2align	8
	.type	_ZN2at6native12_GLOBAL__N_143distribution_elementwise_grid_stride_kernelImLi2EZZZNS0_9templates4cuda13random_kernelIPNS_17CUDAGeneratorImplEEEvRNS_18TensorIteratorBaseET_ENKUlvE_clEvENKUlvE6_clEvEUlP25hiprandStatePhilox4_32_10E_ZNS1_27distribution_nullary_kernelIN3c104HalfEm15HIP_vector_typeIyLj2EES7_SF_ZZZNS5_IS7_EEvS9_SA_ENKSB_clEvENKSC_clEvEUlmE_EEvS9_T2_RKT3_T4_EUlimE_EEvlNS_15PhiloxCudaStateET1_SM_,@function
_ZN2at6native12_GLOBAL__N_143distribution_elementwise_grid_stride_kernelImLi2EZZZNS0_9templates4cuda13random_kernelIPNS_17CUDAGeneratorImplEEEvRNS_18TensorIteratorBaseET_ENKUlvE_clEvENKUlvE6_clEvEUlP25hiprandStatePhilox4_32_10E_ZNS1_27distribution_nullary_kernelIN3c104HalfEm15HIP_vector_typeIyLj2EES7_SF_ZZZNS5_IS7_EEvS9_SA_ENKSB_clEvENKSC_clEvEUlmE_EEvS9_T2_RKT3_T4_EUlimE_EEvlNS_15PhiloxCudaStateET1_SM_: ; @_ZN2at6native12_GLOBAL__N_143distribution_elementwise_grid_stride_kernelImLi2EZZZNS0_9templates4cuda13random_kernelIPNS_17CUDAGeneratorImplEEEvRNS_18TensorIteratorBaseET_ENKUlvE_clEvENKUlvE6_clEvEUlP25hiprandStatePhilox4_32_10E_ZNS1_27distribution_nullary_kernelIN3c104HalfEm15HIP_vector_typeIyLj2EES7_SF_ZZZNS5_IS7_EEvS9_SA_ENKSB_clEvENKSC_clEvEUlmE_EEvS9_T2_RKT3_T4_EUlimE_EEvlNS_15PhiloxCudaStateET1_SM_
; %bb.0:
	s_clause 0x2
	s_load_b64 s[8:9], s[0:1], 0x10
	s_load_b128 s[4:7], s[0:1], 0x0
	s_load_b32 s2, s[0:1], 0x20
	s_waitcnt lgkmcnt(0)
	v_dual_mov_b32 v2, s8 :: v_dual_mov_b32 v3, s9
	v_dual_mov_b32 v12, s7 :: v_dual_mov_b32 v11, s6
	s_bitcmp0_b32 s2, 0
	s_mov_b32 s2, 0
	s_cbranch_scc1 .LBB96_2
; %bb.1:
	v_dual_mov_b32 v1, s8 :: v_dual_mov_b32 v2, s9
	v_dual_mov_b32 v4, s6 :: v_dual_mov_b32 v5, s7
	s_load_b64 s[6:7], s[0:1], 0x18
	flat_load_b64 v[2:3], v[1:2]
	flat_load_b64 v[11:12], v[4:5]
	s_waitcnt vmcnt(1) lgkmcnt(0)
	v_add_co_u32 v2, vcc_lo, v2, s6
	v_add_co_ci_u32_e32 v3, vcc_lo, s7, v3, vcc_lo
.LBB96_2:
	s_clause 0x1
	s_load_b32 s3, s[0:1], 0x4c
	s_load_b32 s11, s[0:1], 0x40
	s_waitcnt lgkmcnt(0)
	s_and_b32 s10, s3, 0xffff
	s_add_u32 s6, s4, -1
	s_mul_i32 s8, s11, s10
	s_addc_u32 s3, s5, -1
	s_lshl_b32 s9, s8, 1
	s_cmp_lg_u64 s[2:3], 0
	s_cbranch_scc0 .LBB96_23
; %bb.3:
	v_cvt_f32_ubyte0_e32 v1, 0
	v_cvt_f32_u32_e32 v4, s9
	s_sub_u32 s12, 0, s9
	s_subb_u32 s13, 0, 0
	s_delay_alu instid0(VALU_DEP_1) | instskip(NEXT) | instid1(VALU_DEP_1)
	v_fmamk_f32 v1, v1, 0x4f800000, v4
	v_rcp_f32_e32 v1, v1
	s_waitcnt_depctr 0xfff
	v_mul_f32_e32 v1, 0x5f7ffffc, v1
	s_delay_alu instid0(VALU_DEP_1) | instskip(NEXT) | instid1(VALU_DEP_1)
	v_mul_f32_e32 v4, 0x2f800000, v1
	v_trunc_f32_e32 v4, v4
	s_delay_alu instid0(VALU_DEP_1) | instskip(SKIP_1) | instid1(VALU_DEP_2)
	v_fmamk_f32 v1, v4, 0xcf800000, v1
	v_cvt_u32_f32_e32 v4, v4
	v_cvt_u32_f32_e32 v1, v1
	s_delay_alu instid0(VALU_DEP_2) | instskip(NEXT) | instid1(VALU_DEP_2)
	v_readfirstlane_b32 s2, v4
	v_readfirstlane_b32 s7, v1
	s_delay_alu instid0(VALU_DEP_2) | instskip(NEXT) | instid1(VALU_DEP_1)
	s_mul_i32 s14, s12, s2
	s_mul_hi_u32 s17, s12, s7
	s_mul_i32 s16, s13, s7
	s_add_i32 s14, s17, s14
	s_mul_i32 s18, s12, s7
	s_add_i32 s14, s14, s16
	s_mul_hi_u32 s17, s7, s18
	s_mul_hi_u32 s19, s2, s18
	s_mul_i32 s16, s2, s18
	s_mul_hi_u32 s18, s7, s14
	s_mul_i32 s7, s7, s14
	s_mul_hi_u32 s20, s2, s14
	s_add_u32 s7, s17, s7
	s_addc_u32 s17, 0, s18
	s_add_u32 s7, s7, s16
	s_mul_i32 s14, s2, s14
	s_addc_u32 s7, s17, s19
	s_addc_u32 s16, s20, 0
	s_add_u32 s7, s7, s14
	s_addc_u32 s14, 0, s16
	v_add_co_u32 v1, s7, v1, s7
	s_delay_alu instid0(VALU_DEP_1) | instskip(SKIP_1) | instid1(VALU_DEP_1)
	s_cmp_lg_u32 s7, 0
	s_addc_u32 s2, s2, s14
	v_readfirstlane_b32 s7, v1
	s_mul_i32 s14, s12, s2
	s_delay_alu instid0(VALU_DEP_1)
	s_mul_hi_u32 s16, s12, s7
	s_mul_i32 s13, s13, s7
	s_add_i32 s14, s16, s14
	s_mul_i32 s12, s12, s7
	s_add_i32 s14, s14, s13
	s_mul_hi_u32 s16, s2, s12
	s_mul_i32 s17, s2, s12
	s_mul_hi_u32 s12, s7, s12
	s_mul_hi_u32 s18, s7, s14
	s_mul_i32 s7, s7, s14
	s_mul_hi_u32 s13, s2, s14
	s_add_u32 s7, s12, s7
	s_addc_u32 s12, 0, s18
	s_add_u32 s7, s7, s17
	s_mul_i32 s14, s2, s14
	s_addc_u32 s7, s12, s16
	s_addc_u32 s12, s13, 0
	s_add_u32 s7, s7, s14
	s_addc_u32 s12, 0, s12
	v_add_co_u32 v1, s7, v1, s7
	s_delay_alu instid0(VALU_DEP_1) | instskip(SKIP_2) | instid1(VALU_DEP_1)
	s_cmp_lg_u32 s7, 0
	s_addc_u32 s7, s2, s12
	s_ashr_i32 s12, s3, 31
	v_readfirstlane_b32 s14, v1
	s_add_u32 s2, s6, s12
	s_mov_b32 s13, s12
	s_addc_u32 s3, s3, s12
	s_delay_alu instid0(SALU_CYCLE_1) | instskip(NEXT) | instid1(SALU_CYCLE_1)
	s_xor_b64 s[2:3], s[2:3], s[12:13]
	s_mul_i32 s17, s2, s7
	s_mul_hi_u32 s18, s2, s14
	s_mul_hi_u32 s16, s2, s7
	s_mul_hi_u32 s20, s3, s14
	s_mul_i32 s14, s3, s14
	s_add_u32 s17, s18, s17
	s_addc_u32 s16, 0, s16
	s_mul_hi_u32 s19, s3, s7
	s_add_u32 s14, s17, s14
	s_mul_i32 s7, s3, s7
	s_addc_u32 s14, s16, s20
	s_addc_u32 s16, s19, 0
	s_add_u32 s7, s14, s7
	s_addc_u32 s14, 0, s16
	s_mul_i32 s17, s9, s7
	s_add_u32 s16, s7, 1
	v_sub_co_u32 v1, s2, s2, s17
	s_mul_hi_u32 s17, s9, s7
	s_addc_u32 s18, s14, 0
	s_mul_i32 s19, s9, s14
	s_delay_alu instid0(VALU_DEP_1)
	v_sub_co_u32 v4, s20, v1, s9
	s_add_u32 s21, s7, 2
	s_addc_u32 s22, s14, 0
	s_add_i32 s17, s17, s19
	s_cmp_lg_u32 s2, 0
	v_readfirstlane_b32 s2, v4
	s_subb_u32 s3, s3, s17
	s_cmp_lg_u32 s20, 0
	s_subb_u32 s17, s3, 0
	s_delay_alu instid0(VALU_DEP_1) | instskip(SKIP_4) | instid1(SALU_CYCLE_1)
	s_cmp_ge_u32 s2, s9
	s_cselect_b32 s2, -1, 0
	s_cmp_eq_u32 s17, 0
	v_readfirstlane_b32 s17, v1
	s_cselect_b32 s2, s2, -1
	s_cmp_lg_u32 s2, 0
	s_cselect_b32 s2, s21, s16
	s_cselect_b32 s16, s22, s18
	s_cmp_ge_u32 s17, s9
	s_cselect_b32 s17, -1, 0
	s_cmp_eq_u32 s3, 0
	s_cselect_b32 s3, s17, -1
	s_delay_alu instid0(SALU_CYCLE_1) | instskip(SKIP_2) | instid1(SALU_CYCLE_1)
	s_cmp_lg_u32 s3, 0
	s_cselect_b32 s3, s16, s14
	s_cselect_b32 s2, s2, s7
	s_xor_b64 s[2:3], s[2:3], s[12:13]
	s_delay_alu instid0(SALU_CYCLE_1)
	s_sub_u32 s2, s2, s12
	s_subb_u32 s3, s3, s12
	s_cbranch_execnz .LBB96_5
.LBB96_4:
	v_cvt_f32_u32_e32 v1, s9
	s_sub_i32 s3, 0, s9
	s_delay_alu instid0(VALU_DEP_1) | instskip(SKIP_2) | instid1(VALU_DEP_1)
	v_rcp_iflag_f32_e32 v1, v1
	s_waitcnt_depctr 0xfff
	v_mul_f32_e32 v1, 0x4f7ffffe, v1
	v_cvt_u32_f32_e32 v1, v1
	s_delay_alu instid0(VALU_DEP_1) | instskip(NEXT) | instid1(VALU_DEP_1)
	v_readfirstlane_b32 s2, v1
	s_mul_i32 s3, s3, s2
	s_delay_alu instid0(SALU_CYCLE_1) | instskip(NEXT) | instid1(SALU_CYCLE_1)
	s_mul_hi_u32 s3, s2, s3
	s_add_i32 s2, s2, s3
	s_delay_alu instid0(SALU_CYCLE_1) | instskip(NEXT) | instid1(SALU_CYCLE_1)
	s_mul_hi_u32 s2, s6, s2
	s_mul_i32 s3, s2, s9
	s_delay_alu instid0(SALU_CYCLE_1)
	s_sub_i32 s3, s6, s3
	s_add_i32 s6, s2, 1
	s_sub_i32 s7, s3, s9
	s_cmp_ge_u32 s3, s9
	s_cselect_b32 s2, s6, s2
	s_cselect_b32 s3, s7, s3
	s_add_i32 s6, s2, 1
	s_cmp_ge_u32 s3, s9
	s_mov_b32 s3, 0
	s_cselect_b32 s2, s6, s2
.LBB96_5:
	v_mov_b32_e32 v1, 0
	s_add_u32 s2, s2, 1
	s_addc_u32 s3, s3, 0
	s_mul_hi_u32 s6, s8, s2
	s_mul_i32 s3, s8, s3
	v_mad_u64_u32 v[13:14], null, s10, s15, v[0:1]
	s_mul_hi_u32 s7, s11, s10
	s_add_i32 s3, s6, s3
	s_mul_i32 s7, s7, s2
	s_mul_i32 s2, s8, s2
	s_add_i32 s3, s3, s7
	s_mov_b32 s6, exec_lo
	s_lshl_b64 s[2:3], s[2:3], 1
	s_delay_alu instid0(SALU_CYCLE_1)
	v_cmpx_gt_i64_e64 s[2:3], v[13:14]
	s_cbranch_execz .LBB96_22
; %bb.6:
	v_alignbit_b32 v17, v3, v2, 2
	v_mad_u64_u32 v[6:7], null, 0xcd9e8d57, v13, 0
	v_lshrrev_b32_e32 v18, 2, v3
	s_waitcnt vmcnt(0)
	v_dual_mov_b32 v15, v12 :: v_dual_add_nc_u32 v34, 0x8ff34781, v11
	v_mad_u64_u32 v[4:5], null, 0xd2511f53, v17, 0
	v_add_co_u32 v20, null, 0x9e3779b9, v11
	v_xor3_b32 v3, v11, v7, v18
	s_delay_alu instid0(VALU_DEP_4) | instskip(SKIP_2) | instid1(VALU_DEP_4)
	v_add_co_u32 v19, null, 0xbb67ae85, v15
	v_add_co_u32 v21, null, 0x3c6ef372, v11
	v_xor_b32_e32 v1, v5, v12
	v_mad_u64_u32 v[7:8], null, 0xd2511f53, v3, 0
	v_add_co_u32 v22, null, 0x76cf5d0a, v15
	s_delay_alu instid0(VALU_DEP_3) | instskip(SKIP_2) | instid1(VALU_DEP_3)
	v_xor_b32_e32 v1, v1, v14
	v_add_co_u32 v23, null, 0x32370b8f, v15
	v_add_co_u32 v24, null, 0xdaa66d2b, v11
	v_mad_u64_u32 v[9:10], null, 0xcd9e8d57, v1, 0
	v_xor3_b32 v1, v19, v8, v4
	v_add_co_u32 v25, null, 0x78dde6e4, v11
	v_add_co_u32 v26, null, 0xed9eba14, v15
	s_delay_alu instid0(VALU_DEP_3) | instskip(SKIP_3) | instid1(VALU_DEP_3)
	v_mad_u64_u32 v[3:4], null, 0xcd9e8d57, v1, 0
	v_xor3_b32 v8, v20, v10, v6
	v_add_co_u32 v27, null, 0xa9066899, v15
	v_add_co_u32 v28, null, 0x1715609d, v11
	v_mad_u64_u32 v[5:6], null, 0xd2511f53, v8, 0
	v_xor3_b32 v1, v21, v4, v9
	v_add_co_u32 v29, null, 0xb54cda56, v11
	v_add_co_u32 v30, null, 0x646e171e, v15
	;; [unrolled: 1-line block ×3, first 2 shown]
	v_xor3_b32 v4, v22, v6, v7
	v_mad_u64_u32 v[6:7], null, 0xd2511f53, v1, 0
	v_add_co_u32 v32, null, 0x5384540f, v11
	s_delay_alu instid0(VALU_DEP_3) | instskip(SKIP_1) | instid1(VALU_DEP_4)
	v_mad_u64_u32 v[8:9], null, 0xcd9e8d57, v4, 0
	v_dual_mov_b32 v38, v13 :: v_dual_and_b32 v33, 3, v2
	v_xor3_b32 v1, v23, v7, v5
	s_clause 0x1
	s_load_b64 s[6:7], s[0:1], 0x30
	s_load_b32 s0, s[0:1], 0x38
	v_add_co_u32 v35, null, 0xf1bbcdc8, v11
	s_delay_alu instid0(VALU_DEP_4) | instskip(SKIP_2) | instid1(VALU_DEP_3)
	v_xor3_b32 v5, v24, v9, v3
	v_mad_u64_u32 v[3:4], null, 0xcd9e8d57, v1, 0
	v_add_co_u32 v36, null, 0xdb3d7428, v15
	v_mad_u64_u32 v[9:10], null, 0xd2511f53, v5, 0
	v_add_nc_u32_e32 v37, 0x96a522ad, v12
	v_mov_b32_e32 v41, v14
	v_xor3_b32 v1, v25, v4, v8
	s_delay_alu instid0(VALU_DEP_4) | instskip(NEXT) | instid1(VALU_DEP_2)
	v_xor3_b32 v8, v26, v10, v6
	v_mad_u64_u32 v[4:5], null, 0xd2511f53, v1, 0
	s_waitcnt lgkmcnt(0)
	s_mul_i32 s1, s11, s0
	s_delay_alu instid0(VALU_DEP_2) | instskip(NEXT) | instid1(VALU_DEP_2)
	v_mad_u64_u32 v[6:7], null, 0xcd9e8d57, v8, 0
	v_xor3_b32 v1, v27, v5, v9
	s_delay_alu instid0(VALU_DEP_2) | instskip(NEXT) | instid1(VALU_DEP_2)
	v_xor3_b32 v3, v28, v7, v3
	v_mad_u64_u32 v[7:8], null, 0xcd9e8d57, v1, 0
	s_delay_alu instid0(VALU_DEP_2) | instskip(NEXT) | instid1(VALU_DEP_2)
	v_mad_u64_u32 v[9:10], null, 0xd2511f53, v3, 0
	v_xor3_b32 v1, v29, v8, v6
	s_delay_alu instid0(VALU_DEP_2) | instskip(NEXT) | instid1(VALU_DEP_2)
	v_xor3_b32 v8, v30, v10, v4
	v_mad_u64_u32 v[3:4], null, 0xd2511f53, v1, 0
	;; [unrolled: 6-line block ×3, first 2 shown]
	v_mad_u64_u32 v[15:16], null, s15, s10, v[0:1]
	s_delay_alu instid0(VALU_DEP_3) | instskip(SKIP_2) | instid1(VALU_DEP_3)
	v_mad_u64_u32 v[8:9], null, 0xd2511f53, v2, 0
	s_add_i32 s15, s15, s11
	s_mov_b32 s11, 0
	v_xor3_b32 v1, v35, v7, v5
	s_delay_alu instid0(VALU_DEP_3) | instskip(NEXT) | instid1(VALU_DEP_3)
	v_mul_lo_u32 v39, s0, v15
	v_xor3_b32 v7, v36, v9, v3
	s_delay_alu instid0(VALU_DEP_3) | instskip(SKIP_1) | instid1(VALU_DEP_3)
	v_mad_u64_u32 v[3:4], null, s15, s10, v[0:1]
	v_mad_u64_u32 v[4:5], null, 0xd2511f53, v1, 0
	;; [unrolled: 1-line block ×3, first 2 shown]
	s_delay_alu instid0(VALU_DEP_3) | instskip(SKIP_1) | instid1(VALU_DEP_3)
	v_mul_lo_u32 v40, s0, v3
	s_mul_i32 s0, s1, s10
	v_mov_b32_e32 v3, v4
	s_mov_b32 s1, 0
	s_delay_alu instid0(VALU_DEP_3)
	v_xor3_b32 v0, v2, v6, v34
	v_xor3_b32 v2, v5, v8, v37
	s_lshl_b32 s10, s0, 1
	s_branch .LBB96_8
.LBB96_7:                               ;   in Loop: Header=BB96_8 Depth=1
	s_or_b32 exec_lo, exec_lo, s12
	v_add_co_u32 v13, vcc_lo, v13, s9
	v_add_co_ci_u32_e32 v14, vcc_lo, 0, v14, vcc_lo
	v_mov_b32_e32 v7, v15
	v_dual_mov_b32 v0, v4 :: v_dual_mov_b32 v1, v5
	s_delay_alu instid0(VALU_DEP_3) | instskip(NEXT) | instid1(VALU_DEP_3)
	v_cmp_le_i64_e32 vcc_lo, s[2:3], v[13:14]
	v_dual_mov_b32 v2, v6 :: v_dual_mov_b32 v3, v7
	s_add_i32 s11, s11, s10
	s_waitcnt_vscnt null, 0x0
	s_barrier
	s_or_b32 s1, vcc_lo, s1
	buffer_gl0_inv
	s_and_not1_b32 exec_lo, exec_lo, s1
	s_cbranch_execz .LBB96_22
.LBB96_8:                               ; =>This Inner Loop Header: Depth=1
	v_add_co_u32 v17, vcc_lo, v17, 1
	s_delay_alu instid0(VALU_DEP_1) | instskip(SKIP_2) | instid1(VALU_DEP_1)
	v_cndmask_b32_e64 v4, 0, 1, vcc_lo
	v_add_co_ci_u32_e32 v18, vcc_lo, 0, v18, vcc_lo
	s_mov_b32 s0, exec_lo
	v_cmp_eq_u32_e32 vcc_lo, 0, v18
	s_delay_alu instid0(VALU_DEP_3) | instskip(NEXT) | instid1(VALU_DEP_1)
	v_cndmask_b32_e32 v4, 0, v4, vcc_lo
	v_add_nc_u32_e32 v38, v4, v38
	s_delay_alu instid0(VALU_DEP_1) | instskip(SKIP_2) | instid1(VALU_DEP_2)
	v_cmp_eq_u32_e32 vcc_lo, 0, v38
	v_mad_u64_u32 v[6:7], null, 0xcd9e8d57, v38, 0
	v_cndmask_b32_e32 v4, 0, v4, vcc_lo
	v_xor3_b32 v9, v7, v11, v18
	s_delay_alu instid0(VALU_DEP_2) | instskip(SKIP_1) | instid1(VALU_DEP_3)
	v_add_nc_u32_e32 v41, v4, v41
	v_mad_u64_u32 v[4:5], null, 0xd2511f53, v17, 0
	v_mad_u64_u32 v[7:8], null, 0xd2511f53, v9, 0
	s_delay_alu instid0(VALU_DEP_2) | instskip(NEXT) | instid1(VALU_DEP_2)
	v_xor_b32_e32 v5, v5, v12
	v_xor3_b32 v8, v19, v8, v4
	s_delay_alu instid0(VALU_DEP_2) | instskip(NEXT) | instid1(VALU_DEP_1)
	v_xor_b32_e32 v5, v41, v5
	v_mad_u64_u32 v[9:10], null, 0xcd9e8d57, v5, 0
	s_delay_alu instid0(VALU_DEP_3) | instskip(NEXT) | instid1(VALU_DEP_2)
	v_mad_u64_u32 v[4:5], null, 0xcd9e8d57, v8, 0
	v_xor3_b32 v6, v20, v10, v6
	s_delay_alu instid0(VALU_DEP_2) | instskip(NEXT) | instid1(VALU_DEP_2)
	v_xor3_b32 v8, v21, v5, v9
	v_mad_u64_u32 v[15:16], null, 0xd2511f53, v6, 0
	s_delay_alu instid0(VALU_DEP_2) | instskip(NEXT) | instid1(VALU_DEP_2)
	v_mad_u64_u32 v[5:6], null, 0xd2511f53, v8, 0
	v_xor3_b32 v9, v22, v16, v7
	s_delay_alu instid0(VALU_DEP_2) | instskip(NEXT) | instid1(VALU_DEP_2)
	v_xor3_b32 v6, v23, v6, v15
	v_mad_u64_u32 v[7:8], null, 0xcd9e8d57, v9, 0
	s_delay_alu instid0(VALU_DEP_1) | instskip(NEXT) | instid1(VALU_DEP_3)
	v_xor3_b32 v4, v24, v8, v4
	v_mad_u64_u32 v[8:9], null, 0xcd9e8d57, v6, 0
	s_delay_alu instid0(VALU_DEP_2) | instskip(NEXT) | instid1(VALU_DEP_2)
	v_mad_u64_u32 v[15:16], null, 0xd2511f53, v4, 0
	v_xor3_b32 v6, v25, v9, v7
	s_delay_alu instid0(VALU_DEP_2) | instskip(NEXT) | instid1(VALU_DEP_2)
	v_xor3_b32 v9, v26, v16, v5
	v_mad_u64_u32 v[4:5], null, 0xd2511f53, v6, 0
	s_delay_alu instid0(VALU_DEP_2) | instskip(NEXT) | instid1(VALU_DEP_2)
	v_mad_u64_u32 v[6:7], null, 0xcd9e8d57, v9, 0
	v_xor3_b32 v5, v27, v5, v15
	s_delay_alu instid0(VALU_DEP_2) | instskip(NEXT) | instid1(VALU_DEP_2)
	;; [unrolled: 6-line block ×6, first 2 shown]
	v_xor3_b32 v4, v6, v7, v34
	v_mov_b32_e32 v6, v10
	v_cmpx_lt_i32_e32 1, v33
	s_xor_b32 s0, exec_lo, s0
	s_cbranch_execnz .LBB96_14
; %bb.9:                                ;   in Loop: Header=BB96_8 Depth=1
	s_and_not1_saveexec_b32 s0, s0
	s_cbranch_execnz .LBB96_19
.LBB96_10:                              ;   in Loop: Header=BB96_8 Depth=1
	s_or_b32 exec_lo, exec_lo, s0
	s_delay_alu instid0(SALU_CYCLE_1)
	s_mov_b32 s12, exec_lo
	v_cmpx_gt_i64_e64 s[4:5], v[13:14]
	s_cbranch_execz .LBB96_12
.LBB96_11:                              ;   in Loop: Header=BB96_8 Depth=1
	s_add_u32 s0, 0, 0x7ff00000
	s_addc_u32 s13, 0, 0
	s_mul_hi_u32 s15, s0, 0xfffff7ff
	s_add_i32 s13, s13, 0x1ffc00
	s_sub_i32 s15, s15, s0
	s_mul_i32 s16, s13, 0xfffff7ff
	s_mul_i32 s14, s0, 0xfffff7ff
	s_add_i32 s15, s15, s16
	s_mul_hi_u32 s17, s13, s14
	s_mul_i32 s16, s13, s14
	s_mul_i32 s18, s0, s15
	s_mul_hi_u32 s14, s0, s14
	s_mul_hi_u32 s19, s0, s15
	s_add_u32 s14, s14, s18
	s_addc_u32 s18, 0, s19
	s_mul_hi_u32 s19, s13, s15
	s_add_u32 s14, s14, s16
	s_addc_u32 s14, s18, s17
	s_mul_i32 s15, s13, s15
	s_addc_u32 s16, s19, 0
	s_add_u32 s14, s14, s15
	s_delay_alu instid0(SALU_CYCLE_1) | instskip(SKIP_3) | instid1(VALU_DEP_1)
	v_add_co_u32 v16, s0, s0, s14
	s_addc_u32 s14, 0, s16
	s_cmp_lg_u32 s0, 0
	s_addc_u32 s0, s13, s14
	v_mul_hi_u32 v42, v1, v16
	v_mad_u64_u32 v[7:8], null, v1, s0, 0
	v_mad_u64_u32 v[9:10], null, v0, v16, 0
	s_delay_alu instid0(VALU_DEP_2) | instskip(NEXT) | instid1(VALU_DEP_3)
	v_add_co_u32 v16, vcc_lo, v42, v7
	v_add_co_ci_u32_e32 v42, vcc_lo, 0, v8, vcc_lo
	v_mad_u64_u32 v[7:8], null, v0, s0, 0
	s_delay_alu instid0(VALU_DEP_3) | instskip(NEXT) | instid1(VALU_DEP_3)
	v_add_co_u32 v9, vcc_lo, v16, v9
	v_add_co_ci_u32_e32 v9, vcc_lo, v42, v10, vcc_lo
	s_delay_alu instid0(VALU_DEP_3) | instskip(NEXT) | instid1(VALU_DEP_2)
	v_add_co_ci_u32_e32 v8, vcc_lo, 0, v8, vcc_lo
	v_add_co_u32 v9, vcc_lo, v9, v7
	s_delay_alu instid0(VALU_DEP_2) | instskip(NEXT) | instid1(VALU_DEP_2)
	v_add_co_ci_u32_e32 v16, vcc_lo, 0, v8, vcc_lo
	v_mad_u64_u32 v[7:8], null, 0x801, v9, 0
	s_delay_alu instid0(VALU_DEP_1) | instskip(NEXT) | instid1(VALU_DEP_2)
	v_mad_u64_u32 v[9:10], null, 0x801, v16, v[8:9]
	v_sub_co_u32 v7, vcc_lo, v1, v7
	s_delay_alu instid0(VALU_DEP_2) | instskip(NEXT) | instid1(VALU_DEP_2)
	v_sub_co_ci_u32_e32 v0, vcc_lo, v0, v9, vcc_lo
	v_subrev_co_u32 v8, vcc_lo, 0x801, v7
	s_delay_alu instid0(VALU_DEP_2) | instskip(NEXT) | instid1(VALU_DEP_2)
	v_subrev_co_ci_u32_e32 v1, vcc_lo, 0, v0, vcc_lo
	v_cmp_lt_u32_e32 vcc_lo, 0x800, v8
	v_cndmask_b32_e64 v9, 0, -1, vcc_lo
	v_cmp_lt_u32_e32 vcc_lo, 0x800, v7
	v_cndmask_b32_e64 v10, 0, -1, vcc_lo
	v_cmp_eq_u32_e32 vcc_lo, 0, v1
	s_delay_alu instid0(VALU_DEP_4)
	v_cndmask_b32_e32 v9, -1, v9, vcc_lo
	v_subrev_co_u32 v16, vcc_lo, 0x801, v8
	v_subrev_co_ci_u32_e32 v42, vcc_lo, 0, v1, vcc_lo
	v_cmp_eq_u32_e32 vcc_lo, 0, v0
	v_cndmask_b32_e32 v10, -1, v10, vcc_lo
	v_cmp_ne_u32_e32 vcc_lo, 0, v9
	s_delay_alu instid0(VALU_DEP_2) | instskip(SKIP_1) | instid1(VALU_DEP_1)
	v_cmp_ne_u32_e64 s0, 0, v10
	v_cndmask_b32_e32 v1, v1, v42, vcc_lo
	v_cndmask_b32_e64 v1, v0, v1, s0
	v_cndmask_b32_e32 v0, v8, v16, vcc_lo
	s_delay_alu instid0(VALU_DEP_2) | instskip(NEXT) | instid1(VALU_DEP_2)
	v_clz_i32_u32_e32 v8, v1
	v_cndmask_b32_e64 v0, v7, v0, s0
	s_delay_alu instid0(VALU_DEP_2) | instskip(NEXT) | instid1(VALU_DEP_1)
	v_min_u32_e32 v7, 32, v8
	v_lshlrev_b64 v[0:1], v7, v[0:1]
	v_sub_nc_u32_e32 v7, 32, v7
	s_delay_alu instid0(VALU_DEP_2) | instskip(NEXT) | instid1(VALU_DEP_1)
	v_min_u32_e32 v0, 1, v0
	v_or_b32_e32 v0, v1, v0
	v_add_nc_u32_e32 v1, s11, v39
	s_delay_alu instid0(VALU_DEP_2) | instskip(NEXT) | instid1(VALU_DEP_2)
	v_cvt_f32_u32_e32 v0, v0
	v_ashrrev_i32_e32 v8, 31, v1
	s_delay_alu instid0(VALU_DEP_2) | instskip(SKIP_1) | instid1(VALU_DEP_3)
	v_ldexp_f32 v7, v0, v7
	v_add_co_u32 v0, vcc_lo, s6, v1
	v_add_co_ci_u32_e32 v1, vcc_lo, s7, v8, vcc_lo
	s_delay_alu instid0(VALU_DEP_3)
	v_cvt_f16_f32_e32 v7, v7
	global_store_b16 v[0:1], v7, off
.LBB96_12:                              ;   in Loop: Header=BB96_8 Depth=1
	s_or_b32 exec_lo, exec_lo, s12
	v_add_co_u32 v0, vcc_lo, s8, v13
	v_add_co_ci_u32_e32 v1, vcc_lo, 0, v14, vcc_lo
	s_mov_b32 s12, exec_lo
	s_delay_alu instid0(VALU_DEP_1)
	v_cmpx_gt_i64_e64 s[4:5], v[0:1]
	s_cbranch_execz .LBB96_7
; %bb.13:                               ;   in Loop: Header=BB96_8 Depth=1
	s_add_u32 s0, 0, 0x7ff00000
	s_addc_u32 s13, 0, 0
	s_mul_hi_u32 s15, s0, 0xfffff7ff
	s_add_i32 s13, s13, 0x1ffc00
	s_sub_i32 s15, s15, s0
	s_mul_i32 s16, s13, 0xfffff7ff
	s_mul_i32 s14, s0, 0xfffff7ff
	s_add_i32 s15, s15, s16
	s_mul_hi_u32 s17, s13, s14
	s_mul_i32 s16, s13, s14
	s_mul_i32 s18, s0, s15
	s_mul_hi_u32 s14, s0, s14
	s_mul_hi_u32 s19, s0, s15
	s_add_u32 s14, s14, s18
	s_addc_u32 s18, 0, s19
	s_mul_hi_u32 s19, s13, s15
	s_add_u32 s14, s14, s16
	s_addc_u32 s14, s18, s17
	s_mul_i32 s15, s13, s15
	s_addc_u32 s16, s19, 0
	s_add_u32 s14, s14, s15
	s_delay_alu instid0(SALU_CYCLE_1) | instskip(SKIP_3) | instid1(VALU_DEP_1)
	v_add_co_u32 v9, s0, s0, s14
	s_addc_u32 s14, 0, s16
	s_cmp_lg_u32 s0, 0
	s_addc_u32 s0, s13, s14
	v_mul_hi_u32 v10, v3, v9
	v_mad_u64_u32 v[0:1], null, v3, s0, 0
	v_mad_u64_u32 v[7:8], null, v2, v9, 0
	s_delay_alu instid0(VALU_DEP_2) | instskip(NEXT) | instid1(VALU_DEP_3)
	v_add_co_u32 v9, vcc_lo, v10, v0
	v_add_co_ci_u32_e32 v10, vcc_lo, 0, v1, vcc_lo
	v_mad_u64_u32 v[0:1], null, v2, s0, 0
	s_delay_alu instid0(VALU_DEP_3) | instskip(NEXT) | instid1(VALU_DEP_3)
	v_add_co_u32 v7, vcc_lo, v9, v7
	v_add_co_ci_u32_e32 v7, vcc_lo, v10, v8, vcc_lo
	s_delay_alu instid0(VALU_DEP_3) | instskip(NEXT) | instid1(VALU_DEP_2)
	v_add_co_ci_u32_e32 v1, vcc_lo, 0, v1, vcc_lo
	v_add_co_u32 v7, vcc_lo, v7, v0
	s_delay_alu instid0(VALU_DEP_2) | instskip(NEXT) | instid1(VALU_DEP_2)
	v_add_co_ci_u32_e32 v9, vcc_lo, 0, v1, vcc_lo
	v_mad_u64_u32 v[0:1], null, 0x801, v7, 0
	s_delay_alu instid0(VALU_DEP_1) | instskip(NEXT) | instid1(VALU_DEP_2)
	v_mad_u64_u32 v[7:8], null, 0x801, v9, v[1:2]
	v_sub_co_u32 v0, vcc_lo, v3, v0
	s_delay_alu instid0(VALU_DEP_2) | instskip(NEXT) | instid1(VALU_DEP_2)
	v_sub_co_ci_u32_e32 v1, vcc_lo, v2, v7, vcc_lo
	v_subrev_co_u32 v2, vcc_lo, 0x801, v0
	s_delay_alu instid0(VALU_DEP_2) | instskip(NEXT) | instid1(VALU_DEP_2)
	v_subrev_co_ci_u32_e32 v3, vcc_lo, 0, v1, vcc_lo
	v_cmp_lt_u32_e32 vcc_lo, 0x800, v2
	v_cndmask_b32_e64 v7, 0, -1, vcc_lo
	v_cmp_lt_u32_e32 vcc_lo, 0x800, v0
	v_cndmask_b32_e64 v8, 0, -1, vcc_lo
	v_cmp_eq_u32_e32 vcc_lo, 0, v3
	s_delay_alu instid0(VALU_DEP_4)
	v_cndmask_b32_e32 v7, -1, v7, vcc_lo
	v_subrev_co_u32 v9, vcc_lo, 0x801, v2
	v_subrev_co_ci_u32_e32 v10, vcc_lo, 0, v3, vcc_lo
	v_cmp_eq_u32_e32 vcc_lo, 0, v1
	v_cndmask_b32_e32 v8, -1, v8, vcc_lo
	v_cmp_ne_u32_e32 vcc_lo, 0, v7
	s_delay_alu instid0(VALU_DEP_2) | instskip(SKIP_1) | instid1(VALU_DEP_1)
	v_cmp_ne_u32_e64 s0, 0, v8
	v_dual_cndmask_b32 v3, v3, v10 :: v_dual_cndmask_b32 v2, v2, v9
	v_cndmask_b32_e64 v1, v1, v3, s0
	s_delay_alu instid0(VALU_DEP_2) | instskip(NEXT) | instid1(VALU_DEP_2)
	v_cndmask_b32_e64 v0, v0, v2, s0
	v_clz_i32_u32_e32 v3, v1
	s_delay_alu instid0(VALU_DEP_1) | instskip(NEXT) | instid1(VALU_DEP_1)
	v_min_u32_e32 v2, 32, v3
	v_lshlrev_b64 v[0:1], v2, v[0:1]
	v_sub_nc_u32_e32 v2, 32, v2
	s_delay_alu instid0(VALU_DEP_2) | instskip(NEXT) | instid1(VALU_DEP_1)
	v_min_u32_e32 v0, 1, v0
	v_or_b32_e32 v0, v1, v0
	v_add_nc_u32_e32 v1, s11, v40
	s_delay_alu instid0(VALU_DEP_2) | instskip(NEXT) | instid1(VALU_DEP_2)
	v_cvt_f32_u32_e32 v0, v0
	v_ashrrev_i32_e32 v3, 31, v1
	s_delay_alu instid0(VALU_DEP_2) | instskip(SKIP_1) | instid1(VALU_DEP_3)
	v_ldexp_f32 v2, v0, v2
	v_add_co_u32 v0, vcc_lo, s6, v1
	v_add_co_ci_u32_e32 v1, vcc_lo, s7, v3, vcc_lo
	s_delay_alu instid0(VALU_DEP_3)
	v_cvt_f16_f32_e32 v2, v2
	global_store_b16 v[0:1], v2, off
	s_branch .LBB96_7
.LBB96_14:                              ;   in Loop: Header=BB96_8 Depth=1
	s_mov_b32 s12, exec_lo
	v_cmpx_lt_i32_e32 2, v33
	s_xor_b32 s12, exec_lo, s12
; %bb.15:                               ;   in Loop: Header=BB96_8 Depth=1
	v_dual_mov_b32 v7, v3 :: v_dual_mov_b32 v8, v4
	v_mov_b32_e32 v9, v5
	s_delay_alu instid0(VALU_DEP_2) | instskip(NEXT) | instid1(VALU_DEP_2)
	v_dual_mov_b32 v0, v7 :: v_dual_mov_b32 v1, v8
	v_dual_mov_b32 v2, v9 :: v_dual_mov_b32 v3, v10
; %bb.16:                               ;   in Loop: Header=BB96_8 Depth=1
	s_and_not1_saveexec_b32 s12, s12
; %bb.17:                               ;   in Loop: Header=BB96_8 Depth=1
	s_delay_alu instid0(VALU_DEP_1)
	v_dual_mov_b32 v0, v2 :: v_dual_mov_b32 v1, v3
	v_dual_mov_b32 v2, v4 :: v_dual_mov_b32 v3, v5
; %bb.18:                               ;   in Loop: Header=BB96_8 Depth=1
	s_or_b32 exec_lo, exec_lo, s12
	s_and_not1_saveexec_b32 s0, s0
	s_cbranch_execz .LBB96_10
.LBB96_19:                              ;   in Loop: Header=BB96_8 Depth=1
	s_mov_b32 s12, exec_lo
	v_cmpx_eq_u32_e32 1, v33
; %bb.20:                               ;   in Loop: Header=BB96_8 Depth=1
	v_dual_mov_b32 v0, v1 :: v_dual_mov_b32 v1, v2
	v_dual_mov_b32 v2, v3 :: v_dual_mov_b32 v3, v4
; %bb.21:                               ;   in Loop: Header=BB96_8 Depth=1
	s_or_b32 exec_lo, exec_lo, s12
	s_delay_alu instid0(SALU_CYCLE_1) | instskip(NEXT) | instid1(SALU_CYCLE_1)
	s_or_b32 exec_lo, exec_lo, s0
	s_mov_b32 s12, exec_lo
	v_cmpx_gt_i64_e64 s[4:5], v[13:14]
	s_cbranch_execnz .LBB96_11
	s_branch .LBB96_12
.LBB96_22:
	s_endpgm
.LBB96_23:
                                        ; implicit-def: $sgpr2_sgpr3
	s_branch .LBB96_4
	.section	.rodata,"a",@progbits
	.p2align	6, 0x0
	.amdhsa_kernel _ZN2at6native12_GLOBAL__N_143distribution_elementwise_grid_stride_kernelImLi2EZZZNS0_9templates4cuda13random_kernelIPNS_17CUDAGeneratorImplEEEvRNS_18TensorIteratorBaseET_ENKUlvE_clEvENKUlvE6_clEvEUlP25hiprandStatePhilox4_32_10E_ZNS1_27distribution_nullary_kernelIN3c104HalfEm15HIP_vector_typeIyLj2EES7_SF_ZZZNS5_IS7_EEvS9_SA_ENKSB_clEvENKSC_clEvEUlmE_EEvS9_T2_RKT3_T4_EUlimE_EEvlNS_15PhiloxCudaStateET1_SM_
		.amdhsa_group_segment_fixed_size 0
		.amdhsa_private_segment_fixed_size 0
		.amdhsa_kernarg_size 320
		.amdhsa_user_sgpr_count 15
		.amdhsa_user_sgpr_dispatch_ptr 0
		.amdhsa_user_sgpr_queue_ptr 0
		.amdhsa_user_sgpr_kernarg_segment_ptr 1
		.amdhsa_user_sgpr_dispatch_id 0
		.amdhsa_user_sgpr_private_segment_size 0
		.amdhsa_wavefront_size32 1
		.amdhsa_uses_dynamic_stack 0
		.amdhsa_enable_private_segment 0
		.amdhsa_system_sgpr_workgroup_id_x 1
		.amdhsa_system_sgpr_workgroup_id_y 0
		.amdhsa_system_sgpr_workgroup_id_z 0
		.amdhsa_system_sgpr_workgroup_info 0
		.amdhsa_system_vgpr_workitem_id 0
		.amdhsa_next_free_vgpr 43
		.amdhsa_next_free_sgpr 23
		.amdhsa_reserve_vcc 1
		.amdhsa_float_round_mode_32 0
		.amdhsa_float_round_mode_16_64 0
		.amdhsa_float_denorm_mode_32 3
		.amdhsa_float_denorm_mode_16_64 3
		.amdhsa_dx10_clamp 1
		.amdhsa_ieee_mode 1
		.amdhsa_fp16_overflow 0
		.amdhsa_workgroup_processor_mode 1
		.amdhsa_memory_ordered 1
		.amdhsa_forward_progress 0
		.amdhsa_shared_vgpr_count 0
		.amdhsa_exception_fp_ieee_invalid_op 0
		.amdhsa_exception_fp_denorm_src 0
		.amdhsa_exception_fp_ieee_div_zero 0
		.amdhsa_exception_fp_ieee_overflow 0
		.amdhsa_exception_fp_ieee_underflow 0
		.amdhsa_exception_fp_ieee_inexact 0
		.amdhsa_exception_int_div_zero 0
	.end_amdhsa_kernel
	.section	.text._ZN2at6native12_GLOBAL__N_143distribution_elementwise_grid_stride_kernelImLi2EZZZNS0_9templates4cuda13random_kernelIPNS_17CUDAGeneratorImplEEEvRNS_18TensorIteratorBaseET_ENKUlvE_clEvENKUlvE6_clEvEUlP25hiprandStatePhilox4_32_10E_ZNS1_27distribution_nullary_kernelIN3c104HalfEm15HIP_vector_typeIyLj2EES7_SF_ZZZNS5_IS7_EEvS9_SA_ENKSB_clEvENKSC_clEvEUlmE_EEvS9_T2_RKT3_T4_EUlimE_EEvlNS_15PhiloxCudaStateET1_SM_,"axG",@progbits,_ZN2at6native12_GLOBAL__N_143distribution_elementwise_grid_stride_kernelImLi2EZZZNS0_9templates4cuda13random_kernelIPNS_17CUDAGeneratorImplEEEvRNS_18TensorIteratorBaseET_ENKUlvE_clEvENKUlvE6_clEvEUlP25hiprandStatePhilox4_32_10E_ZNS1_27distribution_nullary_kernelIN3c104HalfEm15HIP_vector_typeIyLj2EES7_SF_ZZZNS5_IS7_EEvS9_SA_ENKSB_clEvENKSC_clEvEUlmE_EEvS9_T2_RKT3_T4_EUlimE_EEvlNS_15PhiloxCudaStateET1_SM_,comdat
.Lfunc_end96:
	.size	_ZN2at6native12_GLOBAL__N_143distribution_elementwise_grid_stride_kernelImLi2EZZZNS0_9templates4cuda13random_kernelIPNS_17CUDAGeneratorImplEEEvRNS_18TensorIteratorBaseET_ENKUlvE_clEvENKUlvE6_clEvEUlP25hiprandStatePhilox4_32_10E_ZNS1_27distribution_nullary_kernelIN3c104HalfEm15HIP_vector_typeIyLj2EES7_SF_ZZZNS5_IS7_EEvS9_SA_ENKSB_clEvENKSC_clEvEUlmE_EEvS9_T2_RKT3_T4_EUlimE_EEvlNS_15PhiloxCudaStateET1_SM_, .Lfunc_end96-_ZN2at6native12_GLOBAL__N_143distribution_elementwise_grid_stride_kernelImLi2EZZZNS0_9templates4cuda13random_kernelIPNS_17CUDAGeneratorImplEEEvRNS_18TensorIteratorBaseET_ENKUlvE_clEvENKUlvE6_clEvEUlP25hiprandStatePhilox4_32_10E_ZNS1_27distribution_nullary_kernelIN3c104HalfEm15HIP_vector_typeIyLj2EES7_SF_ZZZNS5_IS7_EEvS9_SA_ENKSB_clEvENKSC_clEvEUlmE_EEvS9_T2_RKT3_T4_EUlimE_EEvlNS_15PhiloxCudaStateET1_SM_
                                        ; -- End function
	.section	.AMDGPU.csdata,"",@progbits
; Kernel info:
; codeLenInByte = 3516
; NumSgprs: 25
; NumVgprs: 43
; ScratchSize: 0
; MemoryBound: 0
; FloatMode: 240
; IeeeMode: 1
; LDSByteSize: 0 bytes/workgroup (compile time only)
; SGPRBlocks: 3
; VGPRBlocks: 5
; NumSGPRsForWavesPerEU: 25
; NumVGPRsForWavesPerEU: 43
; Occupancy: 16
; WaveLimiterHint : 0
; COMPUTE_PGM_RSRC2:SCRATCH_EN: 0
; COMPUTE_PGM_RSRC2:USER_SGPR: 15
; COMPUTE_PGM_RSRC2:TRAP_HANDLER: 0
; COMPUTE_PGM_RSRC2:TGID_X_EN: 1
; COMPUTE_PGM_RSRC2:TGID_Y_EN: 0
; COMPUTE_PGM_RSRC2:TGID_Z_EN: 0
; COMPUTE_PGM_RSRC2:TIDIG_COMP_CNT: 0
	.section	.text._ZN2at6native12_GLOBAL__N_143distribution_elementwise_grid_stride_kernelImLi2EZZZNS0_9templates4cuda13random_kernelIPNS_17CUDAGeneratorImplEEEvRNS_18TensorIteratorBaseET_ENKUlvE_clEvENKUlvE6_clEvEUlP25hiprandStatePhilox4_32_10E_ZNS1_27distribution_nullary_kernelIN3c104HalfEm15HIP_vector_typeIyLj2EES7_SF_ZZZNS5_IS7_EEvS9_SA_ENKSB_clEvENKSC_clEvEUlmE_EEvS9_T2_RKT3_T4_EUlimE0_EEvlNS_15PhiloxCudaStateET1_SM_,"axG",@progbits,_ZN2at6native12_GLOBAL__N_143distribution_elementwise_grid_stride_kernelImLi2EZZZNS0_9templates4cuda13random_kernelIPNS_17CUDAGeneratorImplEEEvRNS_18TensorIteratorBaseET_ENKUlvE_clEvENKUlvE6_clEvEUlP25hiprandStatePhilox4_32_10E_ZNS1_27distribution_nullary_kernelIN3c104HalfEm15HIP_vector_typeIyLj2EES7_SF_ZZZNS5_IS7_EEvS9_SA_ENKSB_clEvENKSC_clEvEUlmE_EEvS9_T2_RKT3_T4_EUlimE0_EEvlNS_15PhiloxCudaStateET1_SM_,comdat
	.globl	_ZN2at6native12_GLOBAL__N_143distribution_elementwise_grid_stride_kernelImLi2EZZZNS0_9templates4cuda13random_kernelIPNS_17CUDAGeneratorImplEEEvRNS_18TensorIteratorBaseET_ENKUlvE_clEvENKUlvE6_clEvEUlP25hiprandStatePhilox4_32_10E_ZNS1_27distribution_nullary_kernelIN3c104HalfEm15HIP_vector_typeIyLj2EES7_SF_ZZZNS5_IS7_EEvS9_SA_ENKSB_clEvENKSC_clEvEUlmE_EEvS9_T2_RKT3_T4_EUlimE0_EEvlNS_15PhiloxCudaStateET1_SM_ ; -- Begin function _ZN2at6native12_GLOBAL__N_143distribution_elementwise_grid_stride_kernelImLi2EZZZNS0_9templates4cuda13random_kernelIPNS_17CUDAGeneratorImplEEEvRNS_18TensorIteratorBaseET_ENKUlvE_clEvENKUlvE6_clEvEUlP25hiprandStatePhilox4_32_10E_ZNS1_27distribution_nullary_kernelIN3c104HalfEm15HIP_vector_typeIyLj2EES7_SF_ZZZNS5_IS7_EEvS9_SA_ENKSB_clEvENKSC_clEvEUlmE_EEvS9_T2_RKT3_T4_EUlimE0_EEvlNS_15PhiloxCudaStateET1_SM_
	.p2align	8
	.type	_ZN2at6native12_GLOBAL__N_143distribution_elementwise_grid_stride_kernelImLi2EZZZNS0_9templates4cuda13random_kernelIPNS_17CUDAGeneratorImplEEEvRNS_18TensorIteratorBaseET_ENKUlvE_clEvENKUlvE6_clEvEUlP25hiprandStatePhilox4_32_10E_ZNS1_27distribution_nullary_kernelIN3c104HalfEm15HIP_vector_typeIyLj2EES7_SF_ZZZNS5_IS7_EEvS9_SA_ENKSB_clEvENKSC_clEvEUlmE_EEvS9_T2_RKT3_T4_EUlimE0_EEvlNS_15PhiloxCudaStateET1_SM_,@function
_ZN2at6native12_GLOBAL__N_143distribution_elementwise_grid_stride_kernelImLi2EZZZNS0_9templates4cuda13random_kernelIPNS_17CUDAGeneratorImplEEEvRNS_18TensorIteratorBaseET_ENKUlvE_clEvENKUlvE6_clEvEUlP25hiprandStatePhilox4_32_10E_ZNS1_27distribution_nullary_kernelIN3c104HalfEm15HIP_vector_typeIyLj2EES7_SF_ZZZNS5_IS7_EEvS9_SA_ENKSB_clEvENKSC_clEvEUlmE_EEvS9_T2_RKT3_T4_EUlimE0_EEvlNS_15PhiloxCudaStateET1_SM_: ; @_ZN2at6native12_GLOBAL__N_143distribution_elementwise_grid_stride_kernelImLi2EZZZNS0_9templates4cuda13random_kernelIPNS_17CUDAGeneratorImplEEEvRNS_18TensorIteratorBaseET_ENKUlvE_clEvENKUlvE6_clEvEUlP25hiprandStatePhilox4_32_10E_ZNS1_27distribution_nullary_kernelIN3c104HalfEm15HIP_vector_typeIyLj2EES7_SF_ZZZNS5_IS7_EEvS9_SA_ENKSB_clEvENKSC_clEvEUlmE_EEvS9_T2_RKT3_T4_EUlimE0_EEvlNS_15PhiloxCudaStateET1_SM_
; %bb.0:
	s_clause 0x2
	s_load_b64 s[4:5], s[0:1], 0x10
	s_load_b128 s[16:19], s[0:1], 0x0
	s_load_b32 s2, s[0:1], 0x20
	s_waitcnt lgkmcnt(0)
	v_dual_mov_b32 v2, s4 :: v_dual_mov_b32 v3, s5
	v_dual_mov_b32 v11, s18 :: v_dual_mov_b32 v12, s19
	s_bitcmp0_b32 s2, 0
	s_mov_b32 s2, 0
	s_cbranch_scc1 .LBB97_2
; %bb.1:
	v_dual_mov_b32 v1, s4 :: v_dual_mov_b32 v2, s5
	v_dual_mov_b32 v4, s18 :: v_dual_mov_b32 v5, s19
	s_load_b64 s[4:5], s[0:1], 0x18
	flat_load_b64 v[2:3], v[1:2]
	flat_load_b64 v[11:12], v[4:5]
	s_waitcnt vmcnt(1) lgkmcnt(0)
	v_add_co_u32 v2, vcc_lo, v2, s4
	v_add_co_ci_u32_e32 v3, vcc_lo, s5, v3, vcc_lo
.LBB97_2:
	s_clause 0x1
	s_load_b32 s3, s[0:1], 0x154
	s_load_b32 s4, s[0:1], 0x148
	s_waitcnt lgkmcnt(0)
	s_and_b32 s5, s3, 0xffff
	s_add_u32 s6, s16, -1
	s_mul_i32 s24, s4, s5
	s_addc_u32 s3, s17, -1
	s_lshl_b32 s25, s24, 1
	s_cmp_lg_u64 s[2:3], 0
	s_cbranch_scc0 .LBB97_49
; %bb.3:
	v_cvt_f32_ubyte0_e32 v1, 0
	v_cvt_f32_u32_e32 v4, s25
	s_sub_u32 s8, 0, s25
	s_subb_u32 s9, 0, 0
	s_delay_alu instid0(VALU_DEP_1) | instskip(NEXT) | instid1(VALU_DEP_1)
	v_fmamk_f32 v1, v1, 0x4f800000, v4
	v_rcp_f32_e32 v1, v1
	s_waitcnt_depctr 0xfff
	v_mul_f32_e32 v1, 0x5f7ffffc, v1
	s_delay_alu instid0(VALU_DEP_1) | instskip(NEXT) | instid1(VALU_DEP_1)
	v_mul_f32_e32 v4, 0x2f800000, v1
	v_trunc_f32_e32 v4, v4
	s_delay_alu instid0(VALU_DEP_1) | instskip(SKIP_1) | instid1(VALU_DEP_2)
	v_fmamk_f32 v1, v4, 0xcf800000, v1
	v_cvt_u32_f32_e32 v4, v4
	v_cvt_u32_f32_e32 v1, v1
	s_delay_alu instid0(VALU_DEP_2) | instskip(NEXT) | instid1(VALU_DEP_2)
	v_readfirstlane_b32 s2, v4
	v_readfirstlane_b32 s7, v1
	s_delay_alu instid0(VALU_DEP_2) | instskip(NEXT) | instid1(VALU_DEP_1)
	s_mul_i32 s10, s8, s2
	s_mul_hi_u32 s12, s8, s7
	s_mul_i32 s11, s9, s7
	s_add_i32 s10, s12, s10
	s_mul_i32 s13, s8, s7
	s_add_i32 s10, s10, s11
	s_mul_hi_u32 s12, s7, s13
	s_mul_hi_u32 s14, s2, s13
	s_mul_i32 s11, s2, s13
	s_mul_hi_u32 s13, s7, s10
	s_mul_i32 s7, s7, s10
	s_mul_hi_u32 s18, s2, s10
	s_add_u32 s7, s12, s7
	s_addc_u32 s12, 0, s13
	s_add_u32 s7, s7, s11
	s_mul_i32 s10, s2, s10
	s_addc_u32 s7, s12, s14
	s_addc_u32 s11, s18, 0
	s_add_u32 s7, s7, s10
	s_addc_u32 s10, 0, s11
	v_add_co_u32 v1, s7, v1, s7
	s_delay_alu instid0(VALU_DEP_1) | instskip(SKIP_1) | instid1(VALU_DEP_1)
	s_cmp_lg_u32 s7, 0
	s_addc_u32 s2, s2, s10
	v_readfirstlane_b32 s7, v1
	s_mul_i32 s10, s8, s2
	s_delay_alu instid0(VALU_DEP_1)
	s_mul_hi_u32 s11, s8, s7
	s_mul_i32 s9, s9, s7
	s_add_i32 s10, s11, s10
	s_mul_i32 s8, s8, s7
	s_add_i32 s10, s10, s9
	s_mul_hi_u32 s11, s2, s8
	s_mul_i32 s12, s2, s8
	s_mul_hi_u32 s8, s7, s8
	s_mul_hi_u32 s13, s7, s10
	s_mul_i32 s7, s7, s10
	s_mul_hi_u32 s9, s2, s10
	s_add_u32 s7, s8, s7
	s_addc_u32 s8, 0, s13
	s_add_u32 s7, s7, s12
	s_mul_i32 s10, s2, s10
	s_addc_u32 s7, s8, s11
	s_addc_u32 s8, s9, 0
	s_add_u32 s7, s7, s10
	s_addc_u32 s8, 0, s8
	v_add_co_u32 v1, s7, v1, s7
	s_delay_alu instid0(VALU_DEP_1) | instskip(SKIP_2) | instid1(VALU_DEP_1)
	s_cmp_lg_u32 s7, 0
	s_addc_u32 s7, s2, s8
	s_ashr_i32 s8, s3, 31
	v_readfirstlane_b32 s10, v1
	s_add_u32 s2, s6, s8
	s_mov_b32 s9, s8
	s_addc_u32 s3, s3, s8
	s_delay_alu instid0(SALU_CYCLE_1) | instskip(NEXT) | instid1(SALU_CYCLE_1)
	s_xor_b64 s[2:3], s[2:3], s[8:9]
	s_mul_i32 s12, s2, s7
	s_mul_hi_u32 s13, s2, s10
	s_mul_hi_u32 s11, s2, s7
	;; [unrolled: 1-line block ×3, first 2 shown]
	s_mul_i32 s10, s3, s10
	s_add_u32 s12, s13, s12
	s_addc_u32 s11, 0, s11
	s_mul_hi_u32 s14, s3, s7
	s_add_u32 s10, s12, s10
	s_mul_i32 s7, s3, s7
	s_addc_u32 s10, s11, s18
	s_addc_u32 s11, s14, 0
	s_add_u32 s7, s10, s7
	s_addc_u32 s10, 0, s11
	s_mul_i32 s12, s25, s7
	s_add_u32 s11, s7, 1
	v_sub_co_u32 v1, s2, s2, s12
	s_mul_hi_u32 s12, s25, s7
	s_addc_u32 s13, s10, 0
	s_mul_i32 s14, s25, s10
	s_delay_alu instid0(VALU_DEP_1)
	v_sub_co_u32 v4, s18, v1, s25
	s_add_u32 s19, s7, 2
	s_addc_u32 s20, s10, 0
	s_add_i32 s12, s12, s14
	s_cmp_lg_u32 s2, 0
	v_readfirstlane_b32 s2, v4
	s_subb_u32 s3, s3, s12
	s_cmp_lg_u32 s18, 0
	s_subb_u32 s12, s3, 0
	s_delay_alu instid0(VALU_DEP_1) | instskip(SKIP_4) | instid1(SALU_CYCLE_1)
	s_cmp_ge_u32 s2, s25
	s_cselect_b32 s2, -1, 0
	s_cmp_eq_u32 s12, 0
	v_readfirstlane_b32 s12, v1
	s_cselect_b32 s2, s2, -1
	s_cmp_lg_u32 s2, 0
	s_cselect_b32 s2, s19, s11
	s_cselect_b32 s11, s20, s13
	s_cmp_ge_u32 s12, s25
	s_cselect_b32 s12, -1, 0
	s_cmp_eq_u32 s3, 0
	s_cselect_b32 s3, s12, -1
	s_delay_alu instid0(SALU_CYCLE_1) | instskip(SKIP_2) | instid1(SALU_CYCLE_1)
	s_cmp_lg_u32 s3, 0
	s_cselect_b32 s3, s11, s10
	s_cselect_b32 s2, s2, s7
	s_xor_b64 s[2:3], s[2:3], s[8:9]
	s_delay_alu instid0(SALU_CYCLE_1)
	s_sub_u32 s2, s2, s8
	s_subb_u32 s3, s3, s8
	s_cbranch_execnz .LBB97_5
.LBB97_4:
	v_cvt_f32_u32_e32 v1, s25
	s_sub_i32 s3, 0, s25
	s_delay_alu instid0(VALU_DEP_1) | instskip(SKIP_2) | instid1(VALU_DEP_1)
	v_rcp_iflag_f32_e32 v1, v1
	s_waitcnt_depctr 0xfff
	v_mul_f32_e32 v1, 0x4f7ffffe, v1
	v_cvt_u32_f32_e32 v1, v1
	s_delay_alu instid0(VALU_DEP_1) | instskip(NEXT) | instid1(VALU_DEP_1)
	v_readfirstlane_b32 s2, v1
	s_mul_i32 s3, s3, s2
	s_delay_alu instid0(SALU_CYCLE_1) | instskip(NEXT) | instid1(SALU_CYCLE_1)
	s_mul_hi_u32 s3, s2, s3
	s_add_i32 s2, s2, s3
	s_delay_alu instid0(SALU_CYCLE_1) | instskip(NEXT) | instid1(SALU_CYCLE_1)
	s_mul_hi_u32 s2, s6, s2
	s_mul_i32 s3, s2, s25
	s_delay_alu instid0(SALU_CYCLE_1)
	s_sub_i32 s3, s6, s3
	s_add_i32 s6, s2, 1
	s_sub_i32 s7, s3, s25
	s_cmp_ge_u32 s3, s25
	s_cselect_b32 s2, s6, s2
	s_cselect_b32 s3, s7, s3
	s_add_i32 s6, s2, 1
	s_cmp_ge_u32 s3, s25
	s_mov_b32 s3, 0
	s_cselect_b32 s2, s6, s2
.LBB97_5:
	v_mov_b32_e32 v1, 0
	s_add_u32 s2, s2, 1
	s_addc_u32 s3, s3, 0
	s_mul_hi_u32 s6, s24, s2
	s_mul_i32 s3, s24, s3
	v_mad_u64_u32 v[13:14], null, s5, s15, v[0:1]
	s_mul_hi_u32 s4, s4, s5
	s_add_i32 s3, s6, s3
	s_mul_i32 s4, s4, s2
	s_mul_i32 s2, s24, s2
	s_add_i32 s3, s3, s4
	s_mov_b32 s4, exec_lo
	s_lshl_b64 s[2:3], s[2:3], 1
	s_delay_alu instid0(SALU_CYCLE_1)
	v_cmpx_gt_i64_e64 s[2:3], v[13:14]
	s_cbranch_execz .LBB97_48
; %bb.6:
	v_alignbit_b32 v17, v3, v2, 2
	v_mad_u64_u32 v[4:5], null, 0xcd9e8d57, v13, 0
	v_lshrrev_b32_e32 v18, 2, v3
	s_waitcnt vmcnt(0)
	v_dual_mov_b32 v9, v12 :: v_dual_add_nc_u32 v28, 0x8ff34781, v11
	v_mad_u64_u32 v[0:1], null, 0xd2511f53, v17, 0
	v_add_co_u32 v20, null, 0x9e3779b9, v11
	v_xor3_b32 v3, v11, v5, v18
	s_delay_alu instid0(VALU_DEP_4) | instskip(SKIP_2) | instid1(VALU_DEP_4)
	v_add_co_u32 v19, null, 0xbb67ae85, v9
	v_add_co_u32 v21, null, 0x3c6ef372, v11
	v_xor_b32_e32 v1, v1, v12
	v_mad_u64_u32 v[5:6], null, 0xd2511f53, v3, 0
	v_add_co_u32 v22, null, 0x76cf5d0a, v9
	s_delay_alu instid0(VALU_DEP_3) | instskip(SKIP_2) | instid1(VALU_DEP_3)
	v_xor_b32_e32 v1, v1, v14
	v_add_co_u32 v23, null, 0x32370b8f, v9
	v_add_co_u32 v24, null, 0xdaa66d2b, v11
	v_mad_u64_u32 v[7:8], null, 0xcd9e8d57, v1, 0
	v_xor3_b32 v3, v19, v6, v0
	v_add_co_u32 v25, null, 0x78dde6e4, v11
	v_add_co_u32 v26, null, 0xed9eba14, v9
	s_delay_alu instid0(VALU_DEP_3) | instskip(SKIP_3) | instid1(VALU_DEP_3)
	v_mad_u64_u32 v[0:1], null, 0xcd9e8d57, v3, 0
	v_xor3_b32 v6, v20, v8, v4
	v_dual_mov_b32 v38, v13 :: v_dual_and_b32 v27, 3, v2
	v_add_co_u32 v29, null, 0xa9066899, v9
	v_mad_u64_u32 v[3:4], null, 0xd2511f53, v6, 0
	v_xor3_b32 v1, v21, v1, v7
	v_add_co_u32 v30, null, 0x1715609d, v11
	v_add_co_u32 v32, null, 0xb54cda56, v11
	;; [unrolled: 1-line block ×3, first 2 shown]
	v_xor3_b32 v8, v22, v4, v5
	v_mad_u64_u32 v[4:5], null, 0xd2511f53, v1, 0
	s_load_b256 s[4:11], s[0:1], 0x30
	v_add_co_u32 v31, null, 0x5384540f, v11
	s_delay_alu instid0(VALU_DEP_3) | instskip(SKIP_1) | instid1(VALU_DEP_4)
	v_mad_u64_u32 v[6:7], null, 0xcd9e8d57, v8, 0
	v_add_co_u32 v35, null, 0x1fd5c5a3, v9
	v_xor3_b32 v3, v23, v5, v3
	v_add_co_u32 v34, null, 0xf1bbcdc8, v11
	v_add_co_u32 v36, null, 0xdb3d7428, v9
	v_xor3_b32 v5, v24, v7, v0
	s_delay_alu instid0(VALU_DEP_4)
	v_mad_u64_u32 v[0:1], null, 0xcd9e8d57, v3, 0
	s_add_u32 s12, s0, 48
	s_clause 0x1
	s_load_b64 s[14:15], s[0:1], 0xf4
	s_load_b64 s[18:19], s[0:1], 0x138
	v_mad_u64_u32 v[7:8], null, 0xd2511f53, v5, 0
	s_addc_u32 s13, s1, 0
	s_waitcnt lgkmcnt(0)
	s_add_i32 s22, s4, -1
	v_xor3_b32 v3, v25, v1, v6
	s_cmp_gt_u32 s22, 1
	v_add_nc_u32_e32 v37, 0x96a522ad, v12
	s_cselect_b32 s11, -1, 0
	v_xor3_b32 v5, v26, v8, v4
	v_mad_u64_u32 v[1:2], null, 0xd2511f53, v3, 0
	s_cmp_lg_u32 s4, 0
	v_mov_b32_e32 v39, v14
	s_delay_alu instid0(VALU_DEP_3) | instskip(SKIP_2) | instid1(VALU_DEP_3)
	v_mad_u64_u32 v[3:4], null, 0xcd9e8d57, v5, 0
	s_cselect_b32 s27, -1, 0
	s_add_u32 s20, s0, 0xf4
	v_xor3_b32 v2, v29, v2, v7
	s_addc_u32 s21, s1, 0
	s_min_u32 s0, s22, 15
	s_cmp_gt_u32 s4, 1
	s_delay_alu instid0(VALU_DEP_2) | instskip(SKIP_3) | instid1(VALU_DEP_2)
	v_xor3_b32 v0, v30, v4, v0
	v_mad_u64_u32 v[4:5], null, 0xcd9e8d57, v2, 0
	s_cselect_b32 s4, -1, 0
	s_add_i32 s0, s0, 1
	v_mad_u64_u32 v[6:7], null, 0xd2511f53, v0, 0
	s_and_b32 s28, s0, 3
	s_cmp_lg_u32 s22, 2
	s_delay_alu instid0(VALU_DEP_2) | instskip(SKIP_3) | instid1(VALU_DEP_2)
	v_xor3_b32 v2, v32, v5, v3
	s_cselect_b32 s29, -1, 0
	s_and_b32 s30, s0, 28
	s_cmp_lg_u32 s28, 0
	v_xor3_b32 v5, v33, v7, v1
	v_mad_u64_u32 v[0:1], null, 0xd2511f53, v2, 0
	s_mov_b32 s26, 0
	s_cselect_b32 s31, -1, 0
	s_delay_alu instid0(VALU_DEP_2) | instskip(NEXT) | instid1(VALU_DEP_2)
	v_mad_u64_u32 v[2:3], null, 0xcd9e8d57, v5, 0
	v_xor3_b32 v1, v35, v1, v6
	s_delay_alu instid0(VALU_DEP_2) | instskip(NEXT) | instid1(VALU_DEP_2)
	v_xor3_b32 v3, v31, v3, v4
	v_mad_u64_u32 v[4:5], null, 0xcd9e8d57, v1, 0
	s_delay_alu instid0(VALU_DEP_2) | instskip(NEXT) | instid1(VALU_DEP_2)
	v_mad_u64_u32 v[6:7], null, 0xd2511f53, v3, 0
	v_xor3_b32 v1, v34, v5, v2
	s_delay_alu instid0(VALU_DEP_2) | instskip(NEXT) | instid1(VALU_DEP_2)
	v_xor3_b32 v0, v36, v7, v0
	v_mad_u64_u32 v[7:8], null, 0xd2511f53, v1, 0
	s_delay_alu instid0(VALU_DEP_2) | instskip(NEXT) | instid1(VALU_DEP_2)
	v_mad_u64_u32 v[1:2], null, 0xcd9e8d57, v0, 0
	v_mov_b32_e32 v3, v7
	s_delay_alu instid0(VALU_DEP_2) | instskip(NEXT) | instid1(VALU_DEP_4)
	v_xor3_b32 v0, v2, v4, v28
	v_xor3_b32 v2, v8, v6, v37
	s_branch .LBB97_9
.LBB97_7:                               ;   in Loop: Header=BB97_9 Depth=1
	s_add_u32 s0, 0, 0x7ff00000
	s_addc_u32 s1, 0, 0
	s_mul_hi_u32 s23, s0, 0xfffff7ff
	s_add_i32 s1, s1, 0x1ffc00
	s_sub_i32 s23, s23, s0
	s_mul_i32 s34, s1, 0xfffff7ff
	s_mul_i32 s22, s0, 0xfffff7ff
	s_add_i32 s23, s23, s34
	s_mul_hi_u32 s35, s1, s22
	s_mul_i32 s34, s1, s22
	s_mul_i32 s36, s0, s23
	s_mul_hi_u32 s22, s0, s22
	s_mul_hi_u32 s37, s0, s23
	s_add_u32 s22, s22, s36
	s_addc_u32 s36, 0, s37
	s_mul_hi_u32 s37, s1, s23
	s_add_u32 s22, s22, s34
	s_addc_u32 s22, s36, s35
	s_mul_i32 s23, s1, s23
	s_addc_u32 s34, s37, 0
	s_add_u32 s22, s22, s23
	s_delay_alu instid0(SALU_CYCLE_1) | instskip(SKIP_3) | instid1(VALU_DEP_1)
	v_add_co_u32 v1, s0, s0, s22
	s_addc_u32 s22, 0, s34
	s_cmp_lg_u32 s0, 0
	s_addc_u32 s0, s1, s22
	v_mul_hi_u32 v16, v3, v1
	v_mad_u64_u32 v[7:8], null, v3, s0, 0
	v_mad_u64_u32 v[9:10], null, v2, v1, 0
	s_delay_alu instid0(VALU_DEP_2) | instskip(NEXT) | instid1(VALU_DEP_3)
	v_add_co_u32 v1, vcc_lo, v16, v7
	v_add_co_ci_u32_e32 v16, vcc_lo, 0, v8, vcc_lo
	v_mad_u64_u32 v[7:8], null, v2, s0, 0
	s_delay_alu instid0(VALU_DEP_3) | instskip(NEXT) | instid1(VALU_DEP_3)
	v_add_co_u32 v1, vcc_lo, v1, v9
	v_add_co_ci_u32_e32 v1, vcc_lo, v16, v10, vcc_lo
	s_delay_alu instid0(VALU_DEP_3) | instskip(NEXT) | instid1(VALU_DEP_2)
	v_add_co_ci_u32_e32 v8, vcc_lo, 0, v8, vcc_lo
	v_add_co_u32 v1, vcc_lo, v1, v7
	s_delay_alu instid0(VALU_DEP_2) | instskip(NEXT) | instid1(VALU_DEP_2)
	v_add_co_ci_u32_e32 v10, vcc_lo, 0, v8, vcc_lo
	v_mad_u64_u32 v[7:8], null, 0x801, v1, 0
	s_delay_alu instid0(VALU_DEP_1) | instskip(NEXT) | instid1(VALU_DEP_1)
	v_mov_b32_e32 v1, v8
	v_mad_u64_u32 v[8:9], null, 0x801, v10, v[1:2]
	s_delay_alu instid0(VALU_DEP_3) | instskip(NEXT) | instid1(VALU_DEP_2)
	v_sub_co_u32 v1, vcc_lo, v3, v7
	v_sub_co_ci_u32_e32 v2, vcc_lo, v2, v8, vcc_lo
	s_delay_alu instid0(VALU_DEP_2) | instskip(NEXT) | instid1(VALU_DEP_2)
	v_subrev_co_u32 v3, vcc_lo, 0x801, v1
	v_subrev_co_ci_u32_e32 v7, vcc_lo, 0, v2, vcc_lo
	s_delay_alu instid0(VALU_DEP_2) | instskip(SKIP_4) | instid1(VALU_DEP_4)
	v_cmp_lt_u32_e32 vcc_lo, 0x800, v3
	v_cndmask_b32_e64 v8, 0, -1, vcc_lo
	v_cmp_lt_u32_e32 vcc_lo, 0x800, v1
	v_cndmask_b32_e64 v9, 0, -1, vcc_lo
	v_cmp_eq_u32_e32 vcc_lo, 0, v7
	v_cndmask_b32_e32 v8, -1, v8, vcc_lo
	v_subrev_co_u32 v10, vcc_lo, 0x801, v3
	v_subrev_co_ci_u32_e32 v16, vcc_lo, 0, v7, vcc_lo
	v_cmp_eq_u32_e32 vcc_lo, 0, v2
	v_cndmask_b32_e32 v9, -1, v9, vcc_lo
	v_cmp_ne_u32_e32 vcc_lo, 0, v8
	s_delay_alu instid0(VALU_DEP_2) | instskip(SKIP_2) | instid1(VALU_DEP_2)
	v_cmp_ne_u32_e64 s0, 0, v9
	v_cndmask_b32_e32 v7, v7, v16, vcc_lo
	v_cndmask_b32_e32 v3, v3, v10, vcc_lo
	v_cndmask_b32_e64 v2, v2, v7, s0
	s_delay_alu instid0(VALU_DEP_2) | instskip(NEXT) | instid1(VALU_DEP_2)
	v_cndmask_b32_e64 v1, v1, v3, s0
	v_clz_i32_u32_e32 v7, v2
	s_delay_alu instid0(VALU_DEP_1) | instskip(NEXT) | instid1(VALU_DEP_1)
	v_min_u32_e32 v3, 32, v7
	v_lshlrev_b64 v[1:2], v3, v[1:2]
	s_delay_alu instid0(VALU_DEP_1) | instskip(NEXT) | instid1(VALU_DEP_1)
	v_min_u32_e32 v1, 1, v1
	v_or_b32_e32 v1, v2, v1
	v_sub_nc_u32_e32 v2, 32, v3
	s_delay_alu instid0(VALU_DEP_2) | instskip(NEXT) | instid1(VALU_DEP_1)
	v_cvt_f32_u32_e32 v1, v1
	v_ldexp_f32 v1, v1, v2
	s_delay_alu instid0(VALU_DEP_1)
	v_cvt_f16_f32_e32 v1, v1
	global_store_b16 v0, v1, s[18:19]
.LBB97_8:                               ;   in Loop: Header=BB97_9 Depth=1
	s_or_b32 exec_lo, exec_lo, s33
	v_add_co_u32 v13, vcc_lo, v13, s25
	v_add_co_ci_u32_e32 v14, vcc_lo, 0, v14, vcc_lo
	v_mov_b32_e32 v7, v15
	v_dual_mov_b32 v0, v4 :: v_dual_mov_b32 v1, v5
	s_delay_alu instid0(VALU_DEP_3) | instskip(NEXT) | instid1(VALU_DEP_3)
	v_cmp_le_i64_e32 vcc_lo, s[2:3], v[13:14]
	v_dual_mov_b32 v2, v6 :: v_dual_mov_b32 v3, v7
	s_waitcnt_vscnt null, 0x0
	s_barrier
	buffer_gl0_inv
	s_or_b32 s26, vcc_lo, s26
	s_delay_alu instid0(SALU_CYCLE_1)
	s_and_not1_b32 exec_lo, exec_lo, s26
	s_cbranch_execz .LBB97_48
.LBB97_9:                               ; =>This Loop Header: Depth=1
                                        ;     Child Loop BB97_24 Depth 2
                                        ;     Child Loop BB97_29 Depth 2
	;; [unrolled: 1-line block ×4, first 2 shown]
	v_add_co_u32 v17, vcc_lo, v17, 1
	s_delay_alu instid0(VALU_DEP_1) | instskip(SKIP_2) | instid1(VALU_DEP_1)
	v_cndmask_b32_e64 v4, 0, 1, vcc_lo
	v_add_co_ci_u32_e32 v18, vcc_lo, 0, v18, vcc_lo
	s_mov_b32 s0, exec_lo
	v_cmp_eq_u32_e32 vcc_lo, 0, v18
	s_delay_alu instid0(VALU_DEP_3) | instskip(NEXT) | instid1(VALU_DEP_1)
	v_cndmask_b32_e32 v4, 0, v4, vcc_lo
	v_add_nc_u32_e32 v38, v4, v38
	s_delay_alu instid0(VALU_DEP_1) | instskip(SKIP_2) | instid1(VALU_DEP_2)
	v_cmp_eq_u32_e32 vcc_lo, 0, v38
	v_mad_u64_u32 v[6:7], null, 0xcd9e8d57, v38, 0
	v_cndmask_b32_e32 v4, 0, v4, vcc_lo
	v_xor3_b32 v9, v7, v11, v18
	s_delay_alu instid0(VALU_DEP_2) | instskip(SKIP_1) | instid1(VALU_DEP_3)
	v_add_nc_u32_e32 v39, v4, v39
	v_mad_u64_u32 v[4:5], null, 0xd2511f53, v17, 0
	v_mad_u64_u32 v[7:8], null, 0xd2511f53, v9, 0
	s_delay_alu instid0(VALU_DEP_2) | instskip(NEXT) | instid1(VALU_DEP_2)
	v_xor_b32_e32 v5, v5, v12
	v_xor3_b32 v8, v19, v8, v4
	s_delay_alu instid0(VALU_DEP_2) | instskip(NEXT) | instid1(VALU_DEP_1)
	v_xor_b32_e32 v5, v39, v5
	v_mad_u64_u32 v[9:10], null, 0xcd9e8d57, v5, 0
	s_delay_alu instid0(VALU_DEP_3) | instskip(NEXT) | instid1(VALU_DEP_2)
	v_mad_u64_u32 v[4:5], null, 0xcd9e8d57, v8, 0
	v_xor3_b32 v6, v20, v10, v6
	s_delay_alu instid0(VALU_DEP_2) | instskip(NEXT) | instid1(VALU_DEP_2)
	v_xor3_b32 v8, v21, v5, v9
	v_mad_u64_u32 v[15:16], null, 0xd2511f53, v6, 0
	s_delay_alu instid0(VALU_DEP_2) | instskip(NEXT) | instid1(VALU_DEP_2)
	v_mad_u64_u32 v[5:6], null, 0xd2511f53, v8, 0
	v_xor3_b32 v9, v22, v16, v7
	s_delay_alu instid0(VALU_DEP_2) | instskip(NEXT) | instid1(VALU_DEP_2)
	v_xor3_b32 v6, v23, v6, v15
	v_mad_u64_u32 v[7:8], null, 0xcd9e8d57, v9, 0
	s_delay_alu instid0(VALU_DEP_1) | instskip(NEXT) | instid1(VALU_DEP_3)
	v_xor3_b32 v4, v24, v8, v4
	v_mad_u64_u32 v[8:9], null, 0xcd9e8d57, v6, 0
	s_delay_alu instid0(VALU_DEP_2) | instskip(NEXT) | instid1(VALU_DEP_2)
	v_mad_u64_u32 v[15:16], null, 0xd2511f53, v4, 0
	v_xor3_b32 v6, v25, v9, v7
	s_delay_alu instid0(VALU_DEP_2) | instskip(NEXT) | instid1(VALU_DEP_2)
	v_xor3_b32 v9, v26, v16, v5
	v_mad_u64_u32 v[4:5], null, 0xd2511f53, v6, 0
	s_delay_alu instid0(VALU_DEP_2) | instskip(NEXT) | instid1(VALU_DEP_2)
	v_mad_u64_u32 v[6:7], null, 0xcd9e8d57, v9, 0
	v_xor3_b32 v5, v29, v5, v15
	s_delay_alu instid0(VALU_DEP_2) | instskip(NEXT) | instid1(VALU_DEP_2)
	v_xor3_b32 v15, v30, v7, v8
	v_mad_u64_u32 v[7:8], null, 0xcd9e8d57, v5, 0
	s_delay_alu instid0(VALU_DEP_2) | instskip(NEXT) | instid1(VALU_DEP_2)
	v_mad_u64_u32 v[9:10], null, 0xd2511f53, v15, 0
	v_xor3_b32 v6, v32, v8, v6
	s_delay_alu instid0(VALU_DEP_2) | instskip(NEXT) | instid1(VALU_DEP_2)
	v_xor3_b32 v8, v33, v10, v4
	v_mad_u64_u32 v[4:5], null, 0xd2511f53, v6, 0
	s_delay_alu instid0(VALU_DEP_2) | instskip(NEXT) | instid1(VALU_DEP_2)
	v_mad_u64_u32 v[15:16], null, 0xcd9e8d57, v8, 0
	v_xor3_b32 v5, v35, v5, v9
	s_delay_alu instid0(VALU_DEP_2) | instskip(NEXT) | instid1(VALU_DEP_2)
	v_xor3_b32 v6, v31, v16, v7
	v_mad_u64_u32 v[7:8], null, 0xcd9e8d57, v5, 0
	s_delay_alu instid0(VALU_DEP_2) | instskip(NEXT) | instid1(VALU_DEP_2)
	v_mad_u64_u32 v[9:10], null, 0xd2511f53, v6, 0
	v_xor3_b32 v5, v34, v8, v15
	s_delay_alu instid0(VALU_DEP_2) | instskip(NEXT) | instid1(VALU_DEP_2)
	v_xor3_b32 v4, v36, v10, v4
	v_mad_u64_u32 v[15:16], null, 0xd2511f53, v5, 0
	s_delay_alu instid0(VALU_DEP_2) | instskip(NEXT) | instid1(VALU_DEP_2)
	v_mad_u64_u32 v[5:6], null, 0xcd9e8d57, v4, 0
	v_xor3_b32 v10, v16, v9, v37
	s_delay_alu instid0(VALU_DEP_2) | instskip(NEXT) | instid1(VALU_DEP_2)
	v_xor3_b32 v4, v6, v7, v28
	v_mov_b32_e32 v6, v10
	v_cmpx_lt_i32_e32 1, v27
	s_xor_b32 s0, exec_lo, s0
	s_cbranch_execnz .LBB97_12
; %bb.10:                               ;   in Loop: Header=BB97_9 Depth=1
	s_and_not1_saveexec_b32 s0, s0
	s_cbranch_execnz .LBB97_17
.LBB97_11:                              ;   in Loop: Header=BB97_9 Depth=1
	s_or_b32 exec_lo, exec_lo, s0
	s_delay_alu instid0(SALU_CYCLE_1)
	s_mov_b32 s33, exec_lo
	v_cmpx_gt_i64_e64 s[16:17], v[13:14]
	s_cbranch_execnz .LBB97_20
	s_branch .LBB97_34
.LBB97_12:                              ;   in Loop: Header=BB97_9 Depth=1
	s_mov_b32 s1, exec_lo
	v_cmpx_lt_i32_e32 2, v27
	s_xor_b32 s1, exec_lo, s1
; %bb.13:                               ;   in Loop: Header=BB97_9 Depth=1
	v_dual_mov_b32 v7, v3 :: v_dual_mov_b32 v8, v4
	v_mov_b32_e32 v9, v5
	s_delay_alu instid0(VALU_DEP_2) | instskip(NEXT) | instid1(VALU_DEP_2)
	v_dual_mov_b32 v0, v7 :: v_dual_mov_b32 v1, v8
	v_dual_mov_b32 v2, v9 :: v_dual_mov_b32 v3, v10
; %bb.14:                               ;   in Loop: Header=BB97_9 Depth=1
	s_and_not1_saveexec_b32 s1, s1
; %bb.15:                               ;   in Loop: Header=BB97_9 Depth=1
	s_delay_alu instid0(VALU_DEP_1)
	v_dual_mov_b32 v0, v2 :: v_dual_mov_b32 v1, v3
	v_dual_mov_b32 v2, v4 :: v_dual_mov_b32 v3, v5
; %bb.16:                               ;   in Loop: Header=BB97_9 Depth=1
	s_or_b32 exec_lo, exec_lo, s1
	s_and_not1_saveexec_b32 s0, s0
	s_cbranch_execz .LBB97_11
.LBB97_17:                              ;   in Loop: Header=BB97_9 Depth=1
	s_mov_b32 s1, exec_lo
	v_cmpx_eq_u32_e32 1, v27
; %bb.18:                               ;   in Loop: Header=BB97_9 Depth=1
	v_dual_mov_b32 v0, v1 :: v_dual_mov_b32 v1, v2
	v_dual_mov_b32 v2, v3 :: v_dual_mov_b32 v3, v4
; %bb.19:                               ;   in Loop: Header=BB97_9 Depth=1
	s_or_b32 exec_lo, exec_lo, s1
	s_delay_alu instid0(SALU_CYCLE_1) | instskip(NEXT) | instid1(SALU_CYCLE_1)
	s_or_b32 exec_lo, exec_lo, s0
	s_mov_b32 s33, exec_lo
	v_cmpx_gt_i64_e64 s[16:17], v[13:14]
	s_cbranch_execz .LBB97_34
.LBB97_20:                              ;   in Loop: Header=BB97_9 Depth=1
	s_and_not1_b32 vcc_lo, exec_lo, s11
	s_cbranch_vccnz .LBB97_26
; %bb.21:                               ;   in Loop: Header=BB97_9 Depth=1
	v_mov_b32_e32 v7, 0
	s_and_not1_b32 vcc_lo, exec_lo, s27
	s_cbranch_vccnz .LBB97_30
; %bb.22:                               ;   in Loop: Header=BB97_9 Depth=1
	s_and_not1_b32 vcc_lo, exec_lo, s29
	s_mov_b32 s0, 0
	s_cbranch_vccnz .LBB97_27
; %bb.23:                               ;   in Loop: Header=BB97_9 Depth=1
	v_dual_mov_b32 v7, 0 :: v_dual_mov_b32 v8, v13
	s_mov_b32 s34, 0
	s_mov_b64 s[0:1], s[12:13]
	s_mov_b64 s[22:23], s[20:21]
.LBB97_24:                              ;   Parent Loop BB97_9 Depth=1
                                        ; =>  This Inner Loop Header: Depth=2
	s_clause 0x1
	s_load_b256 s[36:43], s[0:1], 0x4
	s_load_b128 s[44:47], s[0:1], 0x24
	s_load_b128 s[48:51], s[22:23], 0x0
	s_add_u32 s0, s0, 48
	s_addc_u32 s1, s1, 0
	s_add_i32 s34, s34, 4
	s_add_u32 s22, s22, 16
	s_addc_u32 s23, s23, 0
	s_cmp_lg_u32 s30, s34
	s_waitcnt lgkmcnt(0)
	v_mul_hi_u32 v9, s37, v8
	s_delay_alu instid0(VALU_DEP_1) | instskip(NEXT) | instid1(VALU_DEP_1)
	v_add_nc_u32_e32 v9, v8, v9
	v_lshrrev_b32_e32 v9, s38, v9
	s_delay_alu instid0(VALU_DEP_1) | instskip(SKIP_1) | instid1(VALU_DEP_2)
	v_mul_hi_u32 v10, s40, v9
	v_mul_lo_u32 v41, v9, s36
	v_add_nc_u32_e32 v10, v9, v10
	s_delay_alu instid0(VALU_DEP_2) | instskip(NEXT) | instid1(VALU_DEP_2)
	v_sub_nc_u32_e32 v41, v8, v41
	v_lshrrev_b32_e32 v10, s41, v10
	s_delay_alu instid0(VALU_DEP_2) | instskip(NEXT) | instid1(VALU_DEP_2)
	v_mul_lo_u32 v41, v41, s48
	v_mul_hi_u32 v16, s43, v10
	v_mul_lo_u32 v42, v10, s39
	s_delay_alu instid0(VALU_DEP_2) | instskip(NEXT) | instid1(VALU_DEP_2)
	v_add_nc_u32_e32 v16, v10, v16
	v_sub_nc_u32_e32 v9, v9, v42
	s_delay_alu instid0(VALU_DEP_2) | instskip(NEXT) | instid1(VALU_DEP_2)
	v_lshrrev_b32_e32 v16, s44, v16
	v_mul_lo_u32 v9, v9, s49
	s_delay_alu instid0(VALU_DEP_2) | instskip(NEXT) | instid1(VALU_DEP_2)
	v_mul_hi_u32 v40, s46, v16
	v_add3_u32 v7, v41, v7, v9
	s_delay_alu instid0(VALU_DEP_2) | instskip(NEXT) | instid1(VALU_DEP_1)
	v_add_nc_u32_e32 v40, v16, v40
	v_lshrrev_b32_e32 v8, s47, v40
	v_mul_lo_u32 v40, v16, s42
	s_delay_alu instid0(VALU_DEP_2) | instskip(NEXT) | instid1(VALU_DEP_2)
	v_mul_lo_u32 v43, v8, s45
	v_sub_nc_u32_e32 v10, v10, v40
	s_delay_alu instid0(VALU_DEP_2) | instskip(NEXT) | instid1(VALU_DEP_2)
	v_sub_nc_u32_e32 v16, v16, v43
	v_mul_lo_u32 v10, v10, s50
	s_delay_alu instid0(VALU_DEP_2) | instskip(NEXT) | instid1(VALU_DEP_1)
	v_mul_lo_u32 v16, v16, s51
	v_add3_u32 v7, v10, v7, v16
	s_cbranch_scc1 .LBB97_24
; %bb.25:                               ;   in Loop: Header=BB97_9 Depth=1
	s_mov_b32 s0, s30
	s_and_not1_b32 vcc_lo, exec_lo, s31
	s_cbranch_vccz .LBB97_28
	s_branch .LBB97_30
.LBB97_26:                              ;   in Loop: Header=BB97_9 Depth=1
                                        ; implicit-def: $vgpr7
	s_branch .LBB97_31
.LBB97_27:                              ;   in Loop: Header=BB97_9 Depth=1
	v_mov_b32_e32 v8, v13
	s_and_not1_b32 vcc_lo, exec_lo, s31
	s_cbranch_vccnz .LBB97_30
.LBB97_28:                              ;   in Loop: Header=BB97_9 Depth=1
	s_lshl_b32 s1, s0, 2
	s_mul_i32 s22, s0, 12
	s_add_u32 s0, s20, s1
	s_addc_u32 s1, s21, 0
	s_add_u32 s22, s12, s22
	s_addc_u32 s23, s13, 0
	s_mov_b32 s34, s28
	.p2align	6
.LBB97_29:                              ;   Parent Loop BB97_9 Depth=1
                                        ; =>  This Inner Loop Header: Depth=2
	s_clause 0x1
	s_load_b64 s[36:37], s[22:23], 0x4
	s_load_b32 s35, s[22:23], 0xc
	s_add_u32 s22, s22, 12
	s_addc_u32 s23, s23, 0
	s_waitcnt lgkmcnt(0)
	v_mul_hi_u32 v9, s37, v8
	s_load_b32 s37, s[0:1], 0x0
	s_add_u32 s0, s0, 4
	s_addc_u32 s1, s1, 0
	s_add_i32 s34, s34, -1
	s_delay_alu instid0(SALU_CYCLE_1) | instskip(NEXT) | instid1(VALU_DEP_1)
	s_cmp_lg_u32 s34, 0
	v_add_nc_u32_e32 v9, v8, v9
	s_delay_alu instid0(VALU_DEP_1) | instskip(NEXT) | instid1(VALU_DEP_1)
	v_lshrrev_b32_e32 v16, s35, v9
	v_mul_lo_u32 v9, v16, s36
	s_delay_alu instid0(VALU_DEP_1) | instskip(SKIP_1) | instid1(VALU_DEP_1)
	v_sub_nc_u32_e32 v8, v8, v9
	s_waitcnt lgkmcnt(0)
	v_mad_u64_u32 v[9:10], null, v8, s37, v[7:8]
	s_delay_alu instid0(VALU_DEP_1)
	v_dual_mov_b32 v8, v16 :: v_dual_mov_b32 v7, v9
	s_cbranch_scc1 .LBB97_29
.LBB97_30:                              ;   in Loop: Header=BB97_9 Depth=1
	s_cbranch_execnz .LBB97_33
.LBB97_31:                              ;   in Loop: Header=BB97_9 Depth=1
	v_mul_hi_u32 v7, v13, s6
	s_and_not1_b32 vcc_lo, exec_lo, s4
	s_delay_alu instid0(VALU_DEP_1) | instskip(NEXT) | instid1(VALU_DEP_1)
	v_add_nc_u32_e32 v7, v7, v13
	v_lshrrev_b32_e32 v8, s7, v7
	s_delay_alu instid0(VALU_DEP_1) | instskip(NEXT) | instid1(VALU_DEP_1)
	v_mul_lo_u32 v7, v8, s5
	v_sub_nc_u32_e32 v7, v13, v7
	s_delay_alu instid0(VALU_DEP_1)
	v_mul_lo_u32 v7, v7, s14
	s_cbranch_vccnz .LBB97_33
; %bb.32:                               ;   in Loop: Header=BB97_9 Depth=1
	v_mul_hi_u32 v9, s9, v8
	s_delay_alu instid0(VALU_DEP_1) | instskip(NEXT) | instid1(VALU_DEP_1)
	v_add_nc_u32_e32 v9, v8, v9
	v_lshrrev_b32_e32 v9, s10, v9
	s_delay_alu instid0(VALU_DEP_1) | instskip(NEXT) | instid1(VALU_DEP_1)
	v_mul_lo_u32 v9, v9, s8
	v_sub_nc_u32_e32 v10, v8, v9
	s_delay_alu instid0(VALU_DEP_1) | instskip(NEXT) | instid1(VALU_DEP_1)
	v_mad_u64_u32 v[8:9], null, v10, s15, v[7:8]
	v_mov_b32_e32 v7, v8
.LBB97_33:                              ;   in Loop: Header=BB97_9 Depth=1
	s_add_u32 s0, 0, 0x7ff00000
	s_addc_u32 s1, 0, 0
	s_mul_hi_u32 s23, s0, 0xfffff7ff
	s_add_i32 s1, s1, 0x1ffc00
	s_sub_i32 s23, s23, s0
	s_mul_i32 s34, s1, 0xfffff7ff
	s_mul_i32 s22, s0, 0xfffff7ff
	s_add_i32 s23, s23, s34
	s_mul_hi_u32 s35, s1, s22
	s_mul_i32 s34, s1, s22
	s_mul_i32 s36, s0, s23
	s_mul_hi_u32 s22, s0, s22
	s_mul_hi_u32 s37, s0, s23
	s_add_u32 s22, s22, s36
	s_addc_u32 s36, 0, s37
	s_mul_hi_u32 s37, s1, s23
	s_add_u32 s22, s22, s34
	s_addc_u32 s22, s36, s35
	s_mul_i32 s23, s1, s23
	s_addc_u32 s34, s37, 0
	s_add_u32 s22, s22, s23
	s_delay_alu instid0(SALU_CYCLE_1) | instskip(SKIP_3) | instid1(VALU_DEP_1)
	v_add_co_u32 v10, s0, s0, s22
	s_addc_u32 s22, 0, s34
	s_cmp_lg_u32 s0, 0
	s_addc_u32 s0, s1, s22
	v_mul_hi_u32 v16, v1, v10
	v_mad_u64_u32 v[8:9], null, v1, s0, 0
	v_mad_u64_u32 v[40:41], null, v0, v10, 0
	s_delay_alu instid0(VALU_DEP_2) | instskip(NEXT) | instid1(VALU_DEP_3)
	v_add_co_u32 v10, vcc_lo, v16, v8
	v_add_co_ci_u32_e32 v16, vcc_lo, 0, v9, vcc_lo
	v_mad_u64_u32 v[8:9], null, v0, s0, 0
	s_delay_alu instid0(VALU_DEP_3) | instskip(NEXT) | instid1(VALU_DEP_3)
	v_add_co_u32 v10, vcc_lo, v10, v40
	v_add_co_ci_u32_e32 v10, vcc_lo, v16, v41, vcc_lo
	s_delay_alu instid0(VALU_DEP_3) | instskip(NEXT) | instid1(VALU_DEP_2)
	v_add_co_ci_u32_e32 v9, vcc_lo, 0, v9, vcc_lo
	v_add_co_u32 v10, vcc_lo, v10, v8
	s_delay_alu instid0(VALU_DEP_2) | instskip(NEXT) | instid1(VALU_DEP_2)
	v_add_co_ci_u32_e32 v16, vcc_lo, 0, v9, vcc_lo
	v_mad_u64_u32 v[8:9], null, 0x801, v10, 0
	s_delay_alu instid0(VALU_DEP_1) | instskip(NEXT) | instid1(VALU_DEP_2)
	v_mad_u64_u32 v[40:41], null, 0x801, v16, v[9:10]
	v_sub_co_u32 v8, vcc_lo, v1, v8
	s_delay_alu instid0(VALU_DEP_2) | instskip(NEXT) | instid1(VALU_DEP_2)
	v_sub_co_ci_u32_e32 v0, vcc_lo, v0, v40, vcc_lo
	v_subrev_co_u32 v9, vcc_lo, 0x801, v8
	s_delay_alu instid0(VALU_DEP_2) | instskip(NEXT) | instid1(VALU_DEP_2)
	v_subrev_co_ci_u32_e32 v1, vcc_lo, 0, v0, vcc_lo
	v_cmp_lt_u32_e32 vcc_lo, 0x800, v9
	v_cndmask_b32_e64 v10, 0, -1, vcc_lo
	v_cmp_lt_u32_e32 vcc_lo, 0x800, v8
	v_cndmask_b32_e64 v16, 0, -1, vcc_lo
	v_cmp_eq_u32_e32 vcc_lo, 0, v1
	s_delay_alu instid0(VALU_DEP_4)
	v_cndmask_b32_e32 v10, -1, v10, vcc_lo
	v_subrev_co_u32 v40, vcc_lo, 0x801, v9
	v_subrev_co_ci_u32_e32 v41, vcc_lo, 0, v1, vcc_lo
	v_cmp_eq_u32_e32 vcc_lo, 0, v0
	v_cndmask_b32_e32 v16, -1, v16, vcc_lo
	v_cmp_ne_u32_e32 vcc_lo, 0, v10
	s_delay_alu instid0(VALU_DEP_2) | instskip(SKIP_1) | instid1(VALU_DEP_1)
	v_cmp_ne_u32_e64 s0, 0, v16
	v_cndmask_b32_e32 v1, v1, v41, vcc_lo
	v_cndmask_b32_e64 v1, v0, v1, s0
	v_cndmask_b32_e32 v0, v9, v40, vcc_lo
	s_delay_alu instid0(VALU_DEP_2) | instskip(NEXT) | instid1(VALU_DEP_2)
	v_clz_i32_u32_e32 v9, v1
	v_cndmask_b32_e64 v0, v8, v0, s0
	s_delay_alu instid0(VALU_DEP_2) | instskip(NEXT) | instid1(VALU_DEP_1)
	v_min_u32_e32 v8, 32, v9
	v_lshlrev_b64 v[0:1], v8, v[0:1]
	s_delay_alu instid0(VALU_DEP_1) | instskip(NEXT) | instid1(VALU_DEP_1)
	v_min_u32_e32 v0, 1, v0
	v_or_b32_e32 v0, v1, v0
	v_sub_nc_u32_e32 v1, 32, v8
	s_delay_alu instid0(VALU_DEP_2) | instskip(NEXT) | instid1(VALU_DEP_1)
	v_cvt_f32_u32_e32 v0, v0
	v_ldexp_f32 v0, v0, v1
	s_delay_alu instid0(VALU_DEP_1)
	v_cvt_f16_f32_e32 v0, v0
	global_store_b16 v7, v0, s[18:19]
.LBB97_34:                              ;   in Loop: Header=BB97_9 Depth=1
	s_or_b32 exec_lo, exec_lo, s33
	v_add_co_u32 v7, vcc_lo, v13, s24
	v_add_co_ci_u32_e32 v8, vcc_lo, 0, v14, vcc_lo
	s_mov_b32 s33, exec_lo
	s_delay_alu instid0(VALU_DEP_1)
	v_cmpx_gt_i64_e64 s[16:17], v[7:8]
	s_cbranch_execz .LBB97_8
; %bb.35:                               ;   in Loop: Header=BB97_9 Depth=1
	s_and_not1_b32 vcc_lo, exec_lo, s11
	s_cbranch_vccnz .LBB97_41
; %bb.36:                               ;   in Loop: Header=BB97_9 Depth=1
	v_mov_b32_e32 v0, 0
	s_and_not1_b32 vcc_lo, exec_lo, s27
	s_cbranch_vccnz .LBB97_45
; %bb.37:                               ;   in Loop: Header=BB97_9 Depth=1
	s_and_not1_b32 vcc_lo, exec_lo, s29
	s_mov_b32 s0, 0
	s_cbranch_vccnz .LBB97_42
; %bb.38:                               ;   in Loop: Header=BB97_9 Depth=1
	v_dual_mov_b32 v0, 0 :: v_dual_mov_b32 v1, v7
	s_mov_b32 s34, 0
	s_mov_b64 s[0:1], s[12:13]
	s_mov_b64 s[22:23], s[20:21]
.LBB97_39:                              ;   Parent Loop BB97_9 Depth=1
                                        ; =>  This Inner Loop Header: Depth=2
	s_clause 0x1
	s_load_b256 s[36:43], s[0:1], 0x4
	s_load_b128 s[44:47], s[0:1], 0x24
	s_load_b128 s[48:51], s[22:23], 0x0
	s_add_u32 s0, s0, 48
	s_addc_u32 s1, s1, 0
	s_add_i32 s34, s34, 4
	s_add_u32 s22, s22, 16
	s_addc_u32 s23, s23, 0
	s_cmp_eq_u32 s30, s34
	s_waitcnt lgkmcnt(0)
	v_mul_hi_u32 v8, s37, v1
	s_delay_alu instid0(VALU_DEP_1) | instskip(NEXT) | instid1(VALU_DEP_1)
	v_add_nc_u32_e32 v8, v1, v8
	v_lshrrev_b32_e32 v8, s38, v8
	s_delay_alu instid0(VALU_DEP_1) | instskip(SKIP_1) | instid1(VALU_DEP_2)
	v_mul_hi_u32 v9, s40, v8
	v_mul_lo_u32 v40, v8, s36
	v_add_nc_u32_e32 v9, v8, v9
	s_delay_alu instid0(VALU_DEP_2) | instskip(NEXT) | instid1(VALU_DEP_2)
	v_sub_nc_u32_e32 v40, v1, v40
	v_lshrrev_b32_e32 v9, s41, v9
	s_delay_alu instid0(VALU_DEP_2) | instskip(NEXT) | instid1(VALU_DEP_2)
	v_mul_lo_u32 v40, v40, s48
	v_mul_hi_u32 v10, s43, v9
	v_mul_lo_u32 v41, v9, s39
	s_delay_alu instid0(VALU_DEP_2) | instskip(NEXT) | instid1(VALU_DEP_2)
	v_add_nc_u32_e32 v10, v9, v10
	v_sub_nc_u32_e32 v8, v8, v41
	s_delay_alu instid0(VALU_DEP_2) | instskip(NEXT) | instid1(VALU_DEP_2)
	v_lshrrev_b32_e32 v10, s44, v10
	v_mul_lo_u32 v8, v8, s49
	s_delay_alu instid0(VALU_DEP_2) | instskip(NEXT) | instid1(VALU_DEP_2)
	v_mul_hi_u32 v16, s46, v10
	v_add3_u32 v0, v40, v0, v8
	s_delay_alu instid0(VALU_DEP_2) | instskip(NEXT) | instid1(VALU_DEP_1)
	v_add_nc_u32_e32 v16, v10, v16
	v_lshrrev_b32_e32 v1, s47, v16
	v_mul_lo_u32 v16, v10, s42
	s_delay_alu instid0(VALU_DEP_2) | instskip(NEXT) | instid1(VALU_DEP_2)
	v_mul_lo_u32 v42, v1, s45
	v_sub_nc_u32_e32 v9, v9, v16
	s_delay_alu instid0(VALU_DEP_2) | instskip(NEXT) | instid1(VALU_DEP_2)
	v_sub_nc_u32_e32 v10, v10, v42
	v_mul_lo_u32 v9, v9, s50
	s_delay_alu instid0(VALU_DEP_2) | instskip(NEXT) | instid1(VALU_DEP_1)
	v_mul_lo_u32 v10, v10, s51
	v_add3_u32 v0, v9, v0, v10
	s_cbranch_scc0 .LBB97_39
; %bb.40:                               ;   in Loop: Header=BB97_9 Depth=1
	s_mov_b32 s0, s30
	s_and_not1_b32 vcc_lo, exec_lo, s31
	s_cbranch_vccz .LBB97_43
	s_branch .LBB97_45
.LBB97_41:                              ;   in Loop: Header=BB97_9 Depth=1
                                        ; implicit-def: $vgpr0
	s_branch .LBB97_46
.LBB97_42:                              ;   in Loop: Header=BB97_9 Depth=1
	v_mov_b32_e32 v1, v7
	s_and_not1_b32 vcc_lo, exec_lo, s31
	s_cbranch_vccnz .LBB97_45
.LBB97_43:                              ;   in Loop: Header=BB97_9 Depth=1
	s_lshl_b32 s1, s0, 2
	s_mul_i32 s22, s0, 12
	s_add_u32 s0, s20, s1
	s_addc_u32 s1, s21, 0
	s_add_u32 s22, s12, s22
	s_addc_u32 s23, s13, 0
	s_mov_b32 s34, s28
	.p2align	6
.LBB97_44:                              ;   Parent Loop BB97_9 Depth=1
                                        ; =>  This Inner Loop Header: Depth=2
	s_clause 0x1
	s_load_b64 s[36:37], s[22:23], 0x4
	s_load_b32 s35, s[22:23], 0xc
	s_add_u32 s22, s22, 12
	s_addc_u32 s23, s23, 0
	s_waitcnt lgkmcnt(0)
	v_mul_hi_u32 v8, s37, v1
	s_load_b32 s37, s[0:1], 0x0
	s_add_u32 s0, s0, 4
	s_addc_u32 s1, s1, 0
	s_add_i32 s34, s34, -1
	s_delay_alu instid0(SALU_CYCLE_1) | instskip(NEXT) | instid1(VALU_DEP_1)
	s_cmp_lg_u32 s34, 0
	v_add_nc_u32_e32 v8, v1, v8
	s_delay_alu instid0(VALU_DEP_1) | instskip(NEXT) | instid1(VALU_DEP_1)
	v_lshrrev_b32_e32 v10, s35, v8
	v_mul_lo_u32 v8, v10, s36
	s_delay_alu instid0(VALU_DEP_1) | instskip(SKIP_1) | instid1(VALU_DEP_1)
	v_sub_nc_u32_e32 v1, v1, v8
	s_waitcnt lgkmcnt(0)
	v_mad_u64_u32 v[8:9], null, v1, s37, v[0:1]
	s_delay_alu instid0(VALU_DEP_1)
	v_dual_mov_b32 v1, v10 :: v_dual_mov_b32 v0, v8
	s_cbranch_scc1 .LBB97_44
.LBB97_45:                              ;   in Loop: Header=BB97_9 Depth=1
	s_cbranch_execnz .LBB97_7
.LBB97_46:                              ;   in Loop: Header=BB97_9 Depth=1
	v_mul_hi_u32 v0, v7, s6
	s_and_not1_b32 vcc_lo, exec_lo, s4
	s_delay_alu instid0(VALU_DEP_1) | instskip(NEXT) | instid1(VALU_DEP_1)
	v_add_nc_u32_e32 v0, v0, v7
	v_lshrrev_b32_e32 v1, s7, v0
	s_delay_alu instid0(VALU_DEP_1) | instskip(NEXT) | instid1(VALU_DEP_1)
	v_mul_lo_u32 v0, v1, s5
	v_sub_nc_u32_e32 v0, v7, v0
	s_delay_alu instid0(VALU_DEP_1)
	v_mul_lo_u32 v0, v0, s14
	s_cbranch_vccnz .LBB97_7
; %bb.47:                               ;   in Loop: Header=BB97_9 Depth=1
	v_mul_hi_u32 v7, s9, v1
	s_delay_alu instid0(VALU_DEP_1) | instskip(NEXT) | instid1(VALU_DEP_1)
	v_add_nc_u32_e32 v7, v1, v7
	v_lshrrev_b32_e32 v7, s10, v7
	s_delay_alu instid0(VALU_DEP_1) | instskip(NEXT) | instid1(VALU_DEP_1)
	v_mul_lo_u32 v7, v7, s8
	v_sub_nc_u32_e32 v1, v1, v7
	s_delay_alu instid0(VALU_DEP_1) | instskip(NEXT) | instid1(VALU_DEP_1)
	v_mad_u64_u32 v[7:8], null, v1, s15, v[0:1]
	v_mov_b32_e32 v0, v7
	s_branch .LBB97_7
.LBB97_48:
	s_endpgm
.LBB97_49:
                                        ; implicit-def: $sgpr2_sgpr3
	s_branch .LBB97_4
	.section	.rodata,"a",@progbits
	.p2align	6, 0x0
	.amdhsa_kernel _ZN2at6native12_GLOBAL__N_143distribution_elementwise_grid_stride_kernelImLi2EZZZNS0_9templates4cuda13random_kernelIPNS_17CUDAGeneratorImplEEEvRNS_18TensorIteratorBaseET_ENKUlvE_clEvENKUlvE6_clEvEUlP25hiprandStatePhilox4_32_10E_ZNS1_27distribution_nullary_kernelIN3c104HalfEm15HIP_vector_typeIyLj2EES7_SF_ZZZNS5_IS7_EEvS9_SA_ENKSB_clEvENKSC_clEvEUlmE_EEvS9_T2_RKT3_T4_EUlimE0_EEvlNS_15PhiloxCudaStateET1_SM_
		.amdhsa_group_segment_fixed_size 0
		.amdhsa_private_segment_fixed_size 0
		.amdhsa_kernarg_size 584
		.amdhsa_user_sgpr_count 15
		.amdhsa_user_sgpr_dispatch_ptr 0
		.amdhsa_user_sgpr_queue_ptr 0
		.amdhsa_user_sgpr_kernarg_segment_ptr 1
		.amdhsa_user_sgpr_dispatch_id 0
		.amdhsa_user_sgpr_private_segment_size 0
		.amdhsa_wavefront_size32 1
		.amdhsa_uses_dynamic_stack 0
		.amdhsa_enable_private_segment 0
		.amdhsa_system_sgpr_workgroup_id_x 1
		.amdhsa_system_sgpr_workgroup_id_y 0
		.amdhsa_system_sgpr_workgroup_id_z 0
		.amdhsa_system_sgpr_workgroup_info 0
		.amdhsa_system_vgpr_workitem_id 0
		.amdhsa_next_free_vgpr 44
		.amdhsa_next_free_sgpr 52
		.amdhsa_reserve_vcc 1
		.amdhsa_float_round_mode_32 0
		.amdhsa_float_round_mode_16_64 0
		.amdhsa_float_denorm_mode_32 3
		.amdhsa_float_denorm_mode_16_64 3
		.amdhsa_dx10_clamp 1
		.amdhsa_ieee_mode 1
		.amdhsa_fp16_overflow 0
		.amdhsa_workgroup_processor_mode 1
		.amdhsa_memory_ordered 1
		.amdhsa_forward_progress 0
		.amdhsa_shared_vgpr_count 0
		.amdhsa_exception_fp_ieee_invalid_op 0
		.amdhsa_exception_fp_denorm_src 0
		.amdhsa_exception_fp_ieee_div_zero 0
		.amdhsa_exception_fp_ieee_overflow 0
		.amdhsa_exception_fp_ieee_underflow 0
		.amdhsa_exception_fp_ieee_inexact 0
		.amdhsa_exception_int_div_zero 0
	.end_amdhsa_kernel
	.section	.text._ZN2at6native12_GLOBAL__N_143distribution_elementwise_grid_stride_kernelImLi2EZZZNS0_9templates4cuda13random_kernelIPNS_17CUDAGeneratorImplEEEvRNS_18TensorIteratorBaseET_ENKUlvE_clEvENKUlvE6_clEvEUlP25hiprandStatePhilox4_32_10E_ZNS1_27distribution_nullary_kernelIN3c104HalfEm15HIP_vector_typeIyLj2EES7_SF_ZZZNS5_IS7_EEvS9_SA_ENKSB_clEvENKSC_clEvEUlmE_EEvS9_T2_RKT3_T4_EUlimE0_EEvlNS_15PhiloxCudaStateET1_SM_,"axG",@progbits,_ZN2at6native12_GLOBAL__N_143distribution_elementwise_grid_stride_kernelImLi2EZZZNS0_9templates4cuda13random_kernelIPNS_17CUDAGeneratorImplEEEvRNS_18TensorIteratorBaseET_ENKUlvE_clEvENKUlvE6_clEvEUlP25hiprandStatePhilox4_32_10E_ZNS1_27distribution_nullary_kernelIN3c104HalfEm15HIP_vector_typeIyLj2EES7_SF_ZZZNS5_IS7_EEvS9_SA_ENKSB_clEvENKSC_clEvEUlmE_EEvS9_T2_RKT3_T4_EUlimE0_EEvlNS_15PhiloxCudaStateET1_SM_,comdat
.Lfunc_end97:
	.size	_ZN2at6native12_GLOBAL__N_143distribution_elementwise_grid_stride_kernelImLi2EZZZNS0_9templates4cuda13random_kernelIPNS_17CUDAGeneratorImplEEEvRNS_18TensorIteratorBaseET_ENKUlvE_clEvENKUlvE6_clEvEUlP25hiprandStatePhilox4_32_10E_ZNS1_27distribution_nullary_kernelIN3c104HalfEm15HIP_vector_typeIyLj2EES7_SF_ZZZNS5_IS7_EEvS9_SA_ENKSB_clEvENKSC_clEvEUlmE_EEvS9_T2_RKT3_T4_EUlimE0_EEvlNS_15PhiloxCudaStateET1_SM_, .Lfunc_end97-_ZN2at6native12_GLOBAL__N_143distribution_elementwise_grid_stride_kernelImLi2EZZZNS0_9templates4cuda13random_kernelIPNS_17CUDAGeneratorImplEEEvRNS_18TensorIteratorBaseET_ENKUlvE_clEvENKUlvE6_clEvEUlP25hiprandStatePhilox4_32_10E_ZNS1_27distribution_nullary_kernelIN3c104HalfEm15HIP_vector_typeIyLj2EES7_SF_ZZZNS5_IS7_EEvS9_SA_ENKSB_clEvENKSC_clEvEUlmE_EEvS9_T2_RKT3_T4_EUlimE0_EEvlNS_15PhiloxCudaStateET1_SM_
                                        ; -- End function
	.section	.AMDGPU.csdata,"",@progbits
; Kernel info:
; codeLenInByte = 4720
; NumSgprs: 54
; NumVgprs: 44
; ScratchSize: 0
; MemoryBound: 0
; FloatMode: 240
; IeeeMode: 1
; LDSByteSize: 0 bytes/workgroup (compile time only)
; SGPRBlocks: 6
; VGPRBlocks: 5
; NumSGPRsForWavesPerEU: 54
; NumVGPRsForWavesPerEU: 44
; Occupancy: 16
; WaveLimiterHint : 1
; COMPUTE_PGM_RSRC2:SCRATCH_EN: 0
; COMPUTE_PGM_RSRC2:USER_SGPR: 15
; COMPUTE_PGM_RSRC2:TRAP_HANDLER: 0
; COMPUTE_PGM_RSRC2:TGID_X_EN: 1
; COMPUTE_PGM_RSRC2:TGID_Y_EN: 0
; COMPUTE_PGM_RSRC2:TGID_Z_EN: 0
; COMPUTE_PGM_RSRC2:TIDIG_COMP_CNT: 0
	.section	.text._ZN2at6native12_GLOBAL__N_143distribution_elementwise_grid_stride_kernelIjLi4EZZZNS0_9templates4cuda13random_kernelIPNS_17CUDAGeneratorImplEEEvRNS_18TensorIteratorBaseET_ENKUlvE_clEvENKUlvE6_clEvEUlP25hiprandStatePhilox4_32_10E0_ZNS1_27distribution_nullary_kernelIN3c104HalfEj15HIP_vector_typeIjLj4EES7_SF_ZZZNS5_IS7_EEvS9_SA_ENKSB_clEvENKSC_clEvEUljE_EEvS9_T2_RKT3_T4_EUlijE_EEvlNS_15PhiloxCudaStateET1_SM_,"axG",@progbits,_ZN2at6native12_GLOBAL__N_143distribution_elementwise_grid_stride_kernelIjLi4EZZZNS0_9templates4cuda13random_kernelIPNS_17CUDAGeneratorImplEEEvRNS_18TensorIteratorBaseET_ENKUlvE_clEvENKUlvE6_clEvEUlP25hiprandStatePhilox4_32_10E0_ZNS1_27distribution_nullary_kernelIN3c104HalfEj15HIP_vector_typeIjLj4EES7_SF_ZZZNS5_IS7_EEvS9_SA_ENKSB_clEvENKSC_clEvEUljE_EEvS9_T2_RKT3_T4_EUlijE_EEvlNS_15PhiloxCudaStateET1_SM_,comdat
	.globl	_ZN2at6native12_GLOBAL__N_143distribution_elementwise_grid_stride_kernelIjLi4EZZZNS0_9templates4cuda13random_kernelIPNS_17CUDAGeneratorImplEEEvRNS_18TensorIteratorBaseET_ENKUlvE_clEvENKUlvE6_clEvEUlP25hiprandStatePhilox4_32_10E0_ZNS1_27distribution_nullary_kernelIN3c104HalfEj15HIP_vector_typeIjLj4EES7_SF_ZZZNS5_IS7_EEvS9_SA_ENKSB_clEvENKSC_clEvEUljE_EEvS9_T2_RKT3_T4_EUlijE_EEvlNS_15PhiloxCudaStateET1_SM_ ; -- Begin function _ZN2at6native12_GLOBAL__N_143distribution_elementwise_grid_stride_kernelIjLi4EZZZNS0_9templates4cuda13random_kernelIPNS_17CUDAGeneratorImplEEEvRNS_18TensorIteratorBaseET_ENKUlvE_clEvENKUlvE6_clEvEUlP25hiprandStatePhilox4_32_10E0_ZNS1_27distribution_nullary_kernelIN3c104HalfEj15HIP_vector_typeIjLj4EES7_SF_ZZZNS5_IS7_EEvS9_SA_ENKSB_clEvENKSC_clEvEUljE_EEvS9_T2_RKT3_T4_EUlijE_EEvlNS_15PhiloxCudaStateET1_SM_
	.p2align	8
	.type	_ZN2at6native12_GLOBAL__N_143distribution_elementwise_grid_stride_kernelIjLi4EZZZNS0_9templates4cuda13random_kernelIPNS_17CUDAGeneratorImplEEEvRNS_18TensorIteratorBaseET_ENKUlvE_clEvENKUlvE6_clEvEUlP25hiprandStatePhilox4_32_10E0_ZNS1_27distribution_nullary_kernelIN3c104HalfEj15HIP_vector_typeIjLj4EES7_SF_ZZZNS5_IS7_EEvS9_SA_ENKSB_clEvENKSC_clEvEUljE_EEvS9_T2_RKT3_T4_EUlijE_EEvlNS_15PhiloxCudaStateET1_SM_,@function
_ZN2at6native12_GLOBAL__N_143distribution_elementwise_grid_stride_kernelIjLi4EZZZNS0_9templates4cuda13random_kernelIPNS_17CUDAGeneratorImplEEEvRNS_18TensorIteratorBaseET_ENKUlvE_clEvENKUlvE6_clEvEUlP25hiprandStatePhilox4_32_10E0_ZNS1_27distribution_nullary_kernelIN3c104HalfEj15HIP_vector_typeIjLj4EES7_SF_ZZZNS5_IS7_EEvS9_SA_ENKSB_clEvENKSC_clEvEUljE_EEvS9_T2_RKT3_T4_EUlijE_EEvlNS_15PhiloxCudaStateET1_SM_: ; @_ZN2at6native12_GLOBAL__N_143distribution_elementwise_grid_stride_kernelIjLi4EZZZNS0_9templates4cuda13random_kernelIPNS_17CUDAGeneratorImplEEEvRNS_18TensorIteratorBaseET_ENKUlvE_clEvENKUlvE6_clEvEUlP25hiprandStatePhilox4_32_10E0_ZNS1_27distribution_nullary_kernelIN3c104HalfEj15HIP_vector_typeIjLj4EES7_SF_ZZZNS5_IS7_EEvS9_SA_ENKSB_clEvENKSC_clEvEUljE_EEvS9_T2_RKT3_T4_EUlijE_EEvlNS_15PhiloxCudaStateET1_SM_
; %bb.0:
	s_clause 0x2
	s_load_b64 s[8:9], s[0:1], 0x10
	s_load_b128 s[4:7], s[0:1], 0x0
	s_load_b32 s2, s[0:1], 0x20
	s_waitcnt lgkmcnt(0)
	v_dual_mov_b32 v2, s8 :: v_dual_mov_b32 v3, s9
	v_dual_mov_b32 v12, s7 :: v_dual_mov_b32 v11, s6
	s_bitcmp0_b32 s2, 0
	s_mov_b32 s2, 0
	s_cbranch_scc1 .LBB98_2
; %bb.1:
	v_dual_mov_b32 v1, s8 :: v_dual_mov_b32 v2, s9
	v_dual_mov_b32 v4, s6 :: v_dual_mov_b32 v5, s7
	s_load_b64 s[6:7], s[0:1], 0x18
	flat_load_b64 v[2:3], v[1:2]
	flat_load_b64 v[11:12], v[4:5]
	s_waitcnt vmcnt(1) lgkmcnt(0)
	v_add_co_u32 v2, vcc_lo, v2, s6
	v_add_co_ci_u32_e32 v3, vcc_lo, s7, v3, vcc_lo
.LBB98_2:
	s_clause 0x1
	s_load_b32 s3, s[0:1], 0x4c
	s_load_b32 s11, s[0:1], 0x40
	s_waitcnt lgkmcnt(0)
	s_and_b32 s10, s3, 0xffff
	s_add_u32 s6, s4, -1
	s_mul_i32 s8, s11, s10
	s_addc_u32 s3, s5, -1
	s_lshl_b32 s9, s8, 2
	s_cmp_lg_u64 s[2:3], 0
	s_cbranch_scc0 .LBB98_27
; %bb.3:
	v_cvt_f32_ubyte0_e32 v1, 0
	v_cvt_f32_u32_e32 v4, s9
	s_sub_u32 s12, 0, s9
	s_subb_u32 s13, 0, 0
	s_delay_alu instid0(VALU_DEP_1) | instskip(NEXT) | instid1(VALU_DEP_1)
	v_fmamk_f32 v1, v1, 0x4f800000, v4
	v_rcp_f32_e32 v1, v1
	s_waitcnt_depctr 0xfff
	v_mul_f32_e32 v1, 0x5f7ffffc, v1
	s_delay_alu instid0(VALU_DEP_1) | instskip(NEXT) | instid1(VALU_DEP_1)
	v_mul_f32_e32 v4, 0x2f800000, v1
	v_trunc_f32_e32 v4, v4
	s_delay_alu instid0(VALU_DEP_1) | instskip(SKIP_1) | instid1(VALU_DEP_2)
	v_fmamk_f32 v1, v4, 0xcf800000, v1
	v_cvt_u32_f32_e32 v4, v4
	v_cvt_u32_f32_e32 v1, v1
	s_delay_alu instid0(VALU_DEP_2) | instskip(NEXT) | instid1(VALU_DEP_2)
	v_readfirstlane_b32 s2, v4
	v_readfirstlane_b32 s7, v1
	s_delay_alu instid0(VALU_DEP_2) | instskip(NEXT) | instid1(VALU_DEP_1)
	s_mul_i32 s14, s12, s2
	s_mul_hi_u32 s17, s12, s7
	s_mul_i32 s16, s13, s7
	s_add_i32 s14, s17, s14
	s_mul_i32 s18, s12, s7
	s_add_i32 s14, s14, s16
	s_mul_hi_u32 s17, s7, s18
	s_mul_hi_u32 s19, s2, s18
	s_mul_i32 s16, s2, s18
	s_mul_hi_u32 s18, s7, s14
	s_mul_i32 s7, s7, s14
	s_mul_hi_u32 s20, s2, s14
	s_add_u32 s7, s17, s7
	s_addc_u32 s17, 0, s18
	s_add_u32 s7, s7, s16
	s_mul_i32 s14, s2, s14
	s_addc_u32 s7, s17, s19
	s_addc_u32 s16, s20, 0
	s_add_u32 s7, s7, s14
	s_addc_u32 s14, 0, s16
	v_add_co_u32 v1, s7, v1, s7
	s_delay_alu instid0(VALU_DEP_1) | instskip(SKIP_1) | instid1(VALU_DEP_1)
	s_cmp_lg_u32 s7, 0
	s_addc_u32 s2, s2, s14
	v_readfirstlane_b32 s7, v1
	s_mul_i32 s14, s12, s2
	s_delay_alu instid0(VALU_DEP_1)
	s_mul_hi_u32 s16, s12, s7
	s_mul_i32 s13, s13, s7
	s_add_i32 s14, s16, s14
	s_mul_i32 s12, s12, s7
	s_add_i32 s14, s14, s13
	s_mul_hi_u32 s16, s2, s12
	s_mul_i32 s17, s2, s12
	s_mul_hi_u32 s12, s7, s12
	s_mul_hi_u32 s18, s7, s14
	s_mul_i32 s7, s7, s14
	s_mul_hi_u32 s13, s2, s14
	s_add_u32 s7, s12, s7
	s_addc_u32 s12, 0, s18
	s_add_u32 s7, s7, s17
	s_mul_i32 s14, s2, s14
	s_addc_u32 s7, s12, s16
	s_addc_u32 s12, s13, 0
	s_add_u32 s7, s7, s14
	s_addc_u32 s12, 0, s12
	v_add_co_u32 v1, s7, v1, s7
	s_delay_alu instid0(VALU_DEP_1) | instskip(SKIP_2) | instid1(VALU_DEP_1)
	s_cmp_lg_u32 s7, 0
	s_addc_u32 s7, s2, s12
	s_ashr_i32 s12, s3, 31
	v_readfirstlane_b32 s14, v1
	s_add_u32 s2, s6, s12
	s_mov_b32 s13, s12
	s_addc_u32 s3, s3, s12
	s_delay_alu instid0(SALU_CYCLE_1) | instskip(NEXT) | instid1(SALU_CYCLE_1)
	s_xor_b64 s[2:3], s[2:3], s[12:13]
	s_mul_i32 s17, s2, s7
	s_mul_hi_u32 s18, s2, s14
	s_mul_hi_u32 s16, s2, s7
	s_mul_hi_u32 s20, s3, s14
	s_mul_i32 s14, s3, s14
	s_add_u32 s17, s18, s17
	s_addc_u32 s16, 0, s16
	s_mul_hi_u32 s19, s3, s7
	s_add_u32 s14, s17, s14
	s_mul_i32 s7, s3, s7
	s_addc_u32 s14, s16, s20
	s_addc_u32 s16, s19, 0
	s_add_u32 s7, s14, s7
	s_addc_u32 s14, 0, s16
	s_mul_i32 s17, s9, s7
	s_add_u32 s16, s7, 1
	v_sub_co_u32 v1, s2, s2, s17
	s_mul_hi_u32 s17, s9, s7
	s_addc_u32 s18, s14, 0
	s_mul_i32 s19, s9, s14
	s_delay_alu instid0(VALU_DEP_1)
	v_sub_co_u32 v4, s20, v1, s9
	s_add_u32 s21, s7, 2
	s_addc_u32 s22, s14, 0
	s_add_i32 s17, s17, s19
	s_cmp_lg_u32 s2, 0
	v_readfirstlane_b32 s2, v4
	s_subb_u32 s3, s3, s17
	s_cmp_lg_u32 s20, 0
	s_subb_u32 s17, s3, 0
	s_delay_alu instid0(VALU_DEP_1) | instskip(SKIP_4) | instid1(SALU_CYCLE_1)
	s_cmp_ge_u32 s2, s9
	s_cselect_b32 s2, -1, 0
	s_cmp_eq_u32 s17, 0
	v_readfirstlane_b32 s17, v1
	s_cselect_b32 s2, s2, -1
	s_cmp_lg_u32 s2, 0
	s_cselect_b32 s2, s21, s16
	s_cselect_b32 s16, s22, s18
	s_cmp_ge_u32 s17, s9
	s_cselect_b32 s17, -1, 0
	s_cmp_eq_u32 s3, 0
	s_cselect_b32 s3, s17, -1
	s_delay_alu instid0(SALU_CYCLE_1) | instskip(SKIP_2) | instid1(SALU_CYCLE_1)
	s_cmp_lg_u32 s3, 0
	s_cselect_b32 s3, s16, s14
	s_cselect_b32 s2, s2, s7
	s_xor_b64 s[2:3], s[2:3], s[12:13]
	s_delay_alu instid0(SALU_CYCLE_1)
	s_sub_u32 s2, s2, s12
	s_subb_u32 s3, s3, s12
	s_cbranch_execnz .LBB98_5
.LBB98_4:
	v_cvt_f32_u32_e32 v1, s9
	s_sub_i32 s3, 0, s9
	s_delay_alu instid0(VALU_DEP_1) | instskip(SKIP_2) | instid1(VALU_DEP_1)
	v_rcp_iflag_f32_e32 v1, v1
	s_waitcnt_depctr 0xfff
	v_mul_f32_e32 v1, 0x4f7ffffe, v1
	v_cvt_u32_f32_e32 v1, v1
	s_delay_alu instid0(VALU_DEP_1) | instskip(NEXT) | instid1(VALU_DEP_1)
	v_readfirstlane_b32 s2, v1
	s_mul_i32 s3, s3, s2
	s_delay_alu instid0(SALU_CYCLE_1) | instskip(NEXT) | instid1(SALU_CYCLE_1)
	s_mul_hi_u32 s3, s2, s3
	s_add_i32 s2, s2, s3
	s_delay_alu instid0(SALU_CYCLE_1) | instskip(NEXT) | instid1(SALU_CYCLE_1)
	s_mul_hi_u32 s2, s6, s2
	s_mul_i32 s3, s2, s9
	s_delay_alu instid0(SALU_CYCLE_1)
	s_sub_i32 s3, s6, s3
	s_add_i32 s6, s2, 1
	s_sub_i32 s7, s3, s9
	s_cmp_ge_u32 s3, s9
	s_cselect_b32 s2, s6, s2
	s_cselect_b32 s3, s7, s3
	s_add_i32 s6, s2, 1
	s_cmp_ge_u32 s3, s9
	s_mov_b32 s3, 0
	s_cselect_b32 s2, s6, s2
.LBB98_5:
	v_mov_b32_e32 v1, 0
	s_add_u32 s2, s2, 1
	s_addc_u32 s3, s3, 0
	s_mul_hi_u32 s6, s8, s2
	s_mul_i32 s3, s8, s3
	v_mad_u64_u32 v[13:14], null, s10, s15, v[0:1]
	s_mul_hi_u32 s7, s11, s10
	s_add_i32 s3, s6, s3
	s_mul_i32 s7, s7, s2
	s_mul_i32 s2, s8, s2
	s_add_i32 s3, s3, s7
	s_mov_b32 s6, exec_lo
	s_lshl_b64 s[2:3], s[2:3], 2
	s_delay_alu instid0(SALU_CYCLE_1)
	v_cmpx_gt_i64_e64 s[2:3], v[13:14]
	s_cbranch_execz .LBB98_26
; %bb.6:
	v_alignbit_b32 v17, v3, v2, 2
	v_mad_u64_u32 v[6:7], null, 0xcd9e8d57, v13, 0
	v_lshrrev_b32_e32 v18, 2, v3
	s_waitcnt vmcnt(0)
	v_dual_mov_b32 v15, v12 :: v_dual_add_nc_u32 v30, 0x8ff34781, v11
	v_mad_u64_u32 v[4:5], null, 0xd2511f53, v17, 0
	v_add_co_u32 v20, null, 0x9e3779b9, v11
	v_xor3_b32 v3, v11, v7, v18
	s_delay_alu instid0(VALU_DEP_4) | instskip(SKIP_2) | instid1(VALU_DEP_4)
	v_add_co_u32 v19, null, 0xbb67ae85, v15
	v_add_co_u32 v21, null, 0x3c6ef372, v11
	v_xor_b32_e32 v1, v5, v12
	v_mad_u64_u32 v[7:8], null, 0xd2511f53, v3, 0
	v_add_co_u32 v22, null, 0x76cf5d0a, v15
	s_delay_alu instid0(VALU_DEP_3) | instskip(SKIP_2) | instid1(VALU_DEP_3)
	v_xor_b32_e32 v1, v1, v14
	v_add_co_u32 v23, null, 0x32370b8f, v15
	v_add_co_u32 v24, null, 0xdaa66d2b, v11
	v_mad_u64_u32 v[9:10], null, 0xcd9e8d57, v1, 0
	v_xor3_b32 v1, v19, v8, v4
	v_add_co_u32 v25, null, 0x78dde6e4, v11
	v_add_co_u32 v26, null, 0xed9eba14, v15
	s_delay_alu instid0(VALU_DEP_3) | instskip(SKIP_3) | instid1(VALU_DEP_3)
	v_mad_u64_u32 v[3:4], null, 0xcd9e8d57, v1, 0
	v_xor3_b32 v8, v20, v10, v6
	v_add_co_u32 v27, null, 0xa9066899, v15
	v_add_co_u32 v28, null, 0x1715609d, v11
	v_mad_u64_u32 v[5:6], null, 0xd2511f53, v8, 0
	v_xor3_b32 v1, v21, v4, v9
	v_and_b32_e32 v29, 3, v2
	v_add_co_u32 v33, null, 0xb54cda56, v11
	v_add_co_u32 v34, null, 0x646e171e, v15
	v_xor3_b32 v4, v22, v6, v7
	v_mad_u64_u32 v[6:7], null, 0xd2511f53, v1, 0
	v_add_co_u32 v36, null, 0x1fd5c5a3, v15
	s_delay_alu instid0(VALU_DEP_3) | instskip(SKIP_1) | instid1(VALU_DEP_4)
	v_mad_u64_u32 v[8:9], null, 0xcd9e8d57, v4, 0
	v_add_co_u32 v32, null, 0x5384540f, v11
	v_xor3_b32 v1, v23, v7, v5
	s_clause 0x1
	s_load_b64 s[6:7], s[0:1], 0x30
	s_load_b32 s12, s[0:1], 0x38
	v_add_co_u32 v35, null, 0xf1bbcdc8, v11
	s_delay_alu instid0(VALU_DEP_4) | instskip(SKIP_3) | instid1(VALU_DEP_2)
	v_xor3_b32 v5, v24, v9, v3
	v_mad_u64_u32 v[3:4], null, 0xcd9e8d57, v1, 0
	s_mul_i32 s13, s11, 3
	s_add_i32 s16, s15, s11
	v_mad_u64_u32 v[9:10], null, 0xd2511f53, v5, 0
	s_add_i32 s13, s15, s13
	v_add_co_u32 v38, null, 0xdb3d7428, v15
	s_delay_alu instid0(VALU_DEP_3) | instskip(SKIP_2) | instid1(VALU_DEP_4)
	v_xor3_b32 v1, v25, v4, v8
	s_lshl_b32 s14, s11, 1
	v_add_nc_u32_e32 v31, 0x96a522ad, v12
	v_xor3_b32 v8, v26, v10, v6
	v_mov_b32_e32 v37, v13
	v_mad_u64_u32 v[4:5], null, 0xd2511f53, v1, 0
	s_waitcnt lgkmcnt(0)
	s_mul_i32 s11, s11, s12
	v_mad_u64_u32 v[6:7], null, 0xcd9e8d57, v8, 0
	v_mov_b32_e32 v43, v14
	s_mul_i32 s11, s11, s10
	s_mov_b32 s0, 0
	s_delay_alu instid0(VALU_DEP_3) | instskip(SKIP_2) | instid1(VALU_DEP_3)
	v_xor3_b32 v5, v27, v5, v9
	s_lshl_b32 s1, s8, 1
	s_lshl_b32 s11, s11, 2
	v_xor3_b32 v3, v28, v7, v3
	s_delay_alu instid0(VALU_DEP_2) | instskip(NEXT) | instid1(VALU_DEP_2)
	v_mad_u64_u32 v[1:2], null, 0xcd9e8d57, v5, 0
	v_mad_u64_u32 v[7:8], null, 0xd2511f53, v3, 0
	s_delay_alu instid0(VALU_DEP_2) | instskip(NEXT) | instid1(VALU_DEP_2)
	v_xor3_b32 v2, v33, v2, v6
	v_xor3_b32 v6, v34, v8, v4
	s_delay_alu instid0(VALU_DEP_4) | instskip(NEXT) | instid1(VALU_DEP_3)
	v_mad_u64_u32 v[3:4], null, s15, s10, v[0:1]
	v_mad_u64_u32 v[4:5], null, 0xd2511f53, v2, 0
	s_delay_alu instid0(VALU_DEP_3) | instskip(SKIP_1) | instid1(VALU_DEP_3)
	v_mad_u64_u32 v[8:9], null, 0xcd9e8d57, v6, 0
	s_add_i32 s15, s15, s14
	v_mul_lo_u32 v39, s12, v3
	s_delay_alu instid0(VALU_DEP_3) | instskip(NEXT) | instid1(VALU_DEP_3)
	v_xor3_b32 v2, v36, v5, v7
	v_xor3_b32 v1, v32, v9, v1
	s_delay_alu instid0(VALU_DEP_2) | instskip(NEXT) | instid1(VALU_DEP_2)
	v_mad_u64_u32 v[5:6], null, 0xcd9e8d57, v2, 0
	v_mad_u64_u32 v[9:10], null, 0xd2511f53, v1, 0
	;; [unrolled: 1-line block ×4, first 2 shown]
	s_delay_alu instid0(VALU_DEP_4) | instskip(NEXT) | instid1(VALU_DEP_4)
	v_xor3_b32 v1, v35, v6, v8
	v_xor3_b32 v4, v38, v10, v4
	s_delay_alu instid0(VALU_DEP_4) | instskip(NEXT) | instid1(VALU_DEP_3)
	v_mul_lo_u32 v42, s12, v15
	v_mad_u64_u32 v[6:7], null, s15, s10, v[0:1]
	v_mad_u64_u32 v[7:8], null, 0xd2511f53, v1, 0
	s_delay_alu instid0(VALU_DEP_4) | instskip(SKIP_2) | instid1(VALU_DEP_4)
	v_mad_u64_u32 v[1:2], null, 0xcd9e8d57, v4, 0
	v_mul_lo_u32 v40, s12, v40
	s_mul_i32 s10, s8, 3
	v_mul_lo_u32 v41, s12, v6
	s_mov_b32 s12, 0
	s_delay_alu instid0(VALU_DEP_4) | instskip(NEXT) | instid1(VALU_DEP_4)
	v_mov_b32_e32 v3, v7
	v_xor3_b32 v0, v2, v5, v30
	v_xor3_b32 v2, v8, v9, v31
	s_branch .LBB98_8
.LBB98_7:                               ;   in Loop: Header=BB98_8 Depth=1
	s_or_b32 exec_lo, exec_lo, s13
	v_add_co_u32 v13, vcc_lo, v13, s9
	v_add_co_ci_u32_e32 v14, vcc_lo, 0, v14, vcc_lo
	v_mov_b32_e32 v7, v15
	v_dual_mov_b32 v0, v4 :: v_dual_mov_b32 v1, v5
	s_delay_alu instid0(VALU_DEP_3) | instskip(NEXT) | instid1(VALU_DEP_3)
	v_cmp_le_i64_e32 vcc_lo, s[2:3], v[13:14]
	v_dual_mov_b32 v2, v6 :: v_dual_mov_b32 v3, v7
	s_add_i32 s12, s12, s11
	s_waitcnt_vscnt null, 0x0
	s_barrier
	s_or_b32 s0, vcc_lo, s0
	buffer_gl0_inv
	s_and_not1_b32 exec_lo, exec_lo, s0
	s_cbranch_execz .LBB98_26
.LBB98_8:                               ; =>This Inner Loop Header: Depth=1
	v_add_co_u32 v17, vcc_lo, v17, 1
	s_delay_alu instid0(VALU_DEP_1) | instskip(SKIP_2) | instid1(VALU_DEP_1)
	v_cndmask_b32_e64 v4, 0, 1, vcc_lo
	v_add_co_ci_u32_e32 v18, vcc_lo, 0, v18, vcc_lo
	s_mov_b32 s13, exec_lo
	v_cmp_eq_u32_e32 vcc_lo, 0, v18
	s_delay_alu instid0(VALU_DEP_3) | instskip(NEXT) | instid1(VALU_DEP_1)
	v_cndmask_b32_e32 v4, 0, v4, vcc_lo
	v_add_nc_u32_e32 v37, v4, v37
	s_delay_alu instid0(VALU_DEP_1) | instskip(SKIP_2) | instid1(VALU_DEP_2)
	v_cmp_eq_u32_e32 vcc_lo, 0, v37
	v_cndmask_b32_e32 v4, 0, v4, vcc_lo
	v_mad_u64_u32 v[6:7], null, 0xcd9e8d57, v37, 0
	v_add_nc_u32_e32 v43, v4, v43
	v_mad_u64_u32 v[4:5], null, 0xd2511f53, v17, 0
	s_delay_alu instid0(VALU_DEP_3) | instskip(NEXT) | instid1(VALU_DEP_2)
	v_xor3_b32 v9, v7, v11, v18
	v_xor_b32_e32 v5, v5, v12
	s_delay_alu instid0(VALU_DEP_2) | instskip(NEXT) | instid1(VALU_DEP_2)
	v_mad_u64_u32 v[7:8], null, 0xd2511f53, v9, 0
	v_xor_b32_e32 v5, v43, v5
	s_delay_alu instid0(VALU_DEP_2) | instskip(NEXT) | instid1(VALU_DEP_2)
	v_xor3_b32 v8, v19, v8, v4
	v_mad_u64_u32 v[9:10], null, 0xcd9e8d57, v5, 0
	s_delay_alu instid0(VALU_DEP_2) | instskip(NEXT) | instid1(VALU_DEP_2)
	v_mad_u64_u32 v[4:5], null, 0xcd9e8d57, v8, 0
	v_xor3_b32 v6, v20, v10, v6
	s_delay_alu instid0(VALU_DEP_2) | instskip(NEXT) | instid1(VALU_DEP_2)
	v_xor3_b32 v8, v21, v5, v9
	v_mad_u64_u32 v[15:16], null, 0xd2511f53, v6, 0
	s_delay_alu instid0(VALU_DEP_2) | instskip(NEXT) | instid1(VALU_DEP_2)
	v_mad_u64_u32 v[5:6], null, 0xd2511f53, v8, 0
	v_xor3_b32 v9, v22, v16, v7
	s_delay_alu instid0(VALU_DEP_2) | instskip(NEXT) | instid1(VALU_DEP_2)
	v_xor3_b32 v6, v23, v6, v15
	v_mad_u64_u32 v[7:8], null, 0xcd9e8d57, v9, 0
	s_delay_alu instid0(VALU_DEP_1) | instskip(NEXT) | instid1(VALU_DEP_3)
	v_xor3_b32 v4, v24, v8, v4
	v_mad_u64_u32 v[8:9], null, 0xcd9e8d57, v6, 0
	s_delay_alu instid0(VALU_DEP_2) | instskip(NEXT) | instid1(VALU_DEP_2)
	v_mad_u64_u32 v[15:16], null, 0xd2511f53, v4, 0
	v_xor3_b32 v6, v25, v9, v7
	s_delay_alu instid0(VALU_DEP_2) | instskip(NEXT) | instid1(VALU_DEP_2)
	v_xor3_b32 v9, v26, v16, v5
	v_mad_u64_u32 v[4:5], null, 0xd2511f53, v6, 0
	s_delay_alu instid0(VALU_DEP_2) | instskip(NEXT) | instid1(VALU_DEP_2)
	v_mad_u64_u32 v[6:7], null, 0xcd9e8d57, v9, 0
	v_xor3_b32 v5, v27, v5, v15
	s_delay_alu instid0(VALU_DEP_2) | instskip(NEXT) | instid1(VALU_DEP_2)
	;; [unrolled: 6-line block ×6, first 2 shown]
	v_xor3_b32 v4, v6, v7, v30
	v_mov_b32_e32 v6, v10
	v_cmpx_lt_i32_e32 1, v29
	s_xor_b32 s13, exec_lo, s13
	s_cbranch_execnz .LBB98_18
; %bb.9:                                ;   in Loop: Header=BB98_8 Depth=1
	s_and_not1_saveexec_b32 s13, s13
	s_cbranch_execnz .LBB98_23
.LBB98_10:                              ;   in Loop: Header=BB98_8 Depth=1
	s_or_b32 exec_lo, exec_lo, s13
	s_delay_alu instid0(SALU_CYCLE_1)
	s_mov_b32 s13, exec_lo
	v_cmpx_gt_i64_e64 s[4:5], v[13:14]
	s_cbranch_execz .LBB98_12
.LBB98_11:                              ;   in Loop: Header=BB98_8 Depth=1
	v_mul_hi_u32 v7, 0x3ff801, v0
	v_add_nc_u32_e32 v8, s12, v39
	s_delay_alu instid0(VALU_DEP_1) | instskip(NEXT) | instid1(VALU_DEP_3)
	v_ashrrev_i32_e32 v9, 31, v8
	v_lshrrev_b32_e32 v7, 1, v7
	s_delay_alu instid0(VALU_DEP_1) | instskip(NEXT) | instid1(VALU_DEP_1)
	v_mul_u32_u24_e32 v7, 0x801, v7
	v_sub_nc_u32_e32 v0, v0, v7
	v_add_co_u32 v7, vcc_lo, s6, v8
	v_add_co_ci_u32_e32 v8, vcc_lo, s7, v9, vcc_lo
	s_delay_alu instid0(VALU_DEP_3) | instskip(NEXT) | instid1(VALU_DEP_1)
	v_cvt_f32_u32_e32 v0, v0
	v_cvt_f16_f32_e32 v0, v0
	global_store_b16 v[7:8], v0, off
.LBB98_12:                              ;   in Loop: Header=BB98_8 Depth=1
	s_or_b32 exec_lo, exec_lo, s13
	v_add_co_u32 v7, vcc_lo, s8, v13
	v_add_co_ci_u32_e32 v8, vcc_lo, 0, v14, vcc_lo
	s_mov_b32 s13, exec_lo
	s_delay_alu instid0(VALU_DEP_1)
	v_cmpx_gt_i64_e64 s[4:5], v[7:8]
	s_cbranch_execz .LBB98_14
; %bb.13:                               ;   in Loop: Header=BB98_8 Depth=1
	v_mul_hi_u32 v0, 0x3ff801, v1
	v_add_nc_u32_e32 v7, s12, v42
	s_delay_alu instid0(VALU_DEP_2) | instskip(NEXT) | instid1(VALU_DEP_1)
	v_lshrrev_b32_e32 v0, 1, v0
	v_mul_u32_u24_e32 v0, 0x801, v0
	s_delay_alu instid0(VALU_DEP_1) | instskip(NEXT) | instid1(VALU_DEP_4)
	v_sub_nc_u32_e32 v0, v1, v0
	v_ashrrev_i32_e32 v1, 31, v7
	s_delay_alu instid0(VALU_DEP_2) | instskip(SKIP_1) | instid1(VALU_DEP_3)
	v_cvt_f32_u32_e32 v8, v0
	v_add_co_u32 v0, vcc_lo, s6, v7
	v_add_co_ci_u32_e32 v1, vcc_lo, s7, v1, vcc_lo
	s_delay_alu instid0(VALU_DEP_3)
	v_cvt_f16_f32_e32 v7, v8
	global_store_b16 v[0:1], v7, off
.LBB98_14:                              ;   in Loop: Header=BB98_8 Depth=1
	s_or_b32 exec_lo, exec_lo, s13
	v_add_co_u32 v0, vcc_lo, s1, v13
	v_add_co_ci_u32_e32 v1, vcc_lo, 0, v14, vcc_lo
	s_mov_b32 s13, exec_lo
	s_delay_alu instid0(VALU_DEP_1)
	v_cmpx_gt_i64_e64 s[4:5], v[0:1]
	s_cbranch_execz .LBB98_16
; %bb.15:                               ;   in Loop: Header=BB98_8 Depth=1
	v_mul_hi_u32 v0, 0x3ff801, v2
	v_add_nc_u32_e32 v1, s12, v41
	s_delay_alu instid0(VALU_DEP_2) | instskip(NEXT) | instid1(VALU_DEP_1)
	v_lshrrev_b32_e32 v0, 1, v0
	v_mul_u32_u24_e32 v0, 0x801, v0
	s_delay_alu instid0(VALU_DEP_1) | instskip(NEXT) | instid1(VALU_DEP_4)
	v_sub_nc_u32_e32 v0, v2, v0
	v_ashrrev_i32_e32 v2, 31, v1
	s_delay_alu instid0(VALU_DEP_2) | instskip(SKIP_1) | instid1(VALU_DEP_3)
	v_cvt_f32_u32_e32 v7, v0
	v_add_co_u32 v0, vcc_lo, s6, v1
	v_add_co_ci_u32_e32 v1, vcc_lo, s7, v2, vcc_lo
	s_delay_alu instid0(VALU_DEP_3)
	v_cvt_f16_f32_e32 v2, v7
	global_store_b16 v[0:1], v2, off
.LBB98_16:                              ;   in Loop: Header=BB98_8 Depth=1
	s_or_b32 exec_lo, exec_lo, s13
	v_add_co_u32 v0, vcc_lo, s10, v13
	v_add_co_ci_u32_e32 v1, vcc_lo, 0, v14, vcc_lo
	s_mov_b32 s13, exec_lo
	s_delay_alu instid0(VALU_DEP_1)
	v_cmpx_gt_i64_e64 s[4:5], v[0:1]
	s_cbranch_execz .LBB98_7
; %bb.17:                               ;   in Loop: Header=BB98_8 Depth=1
	v_mul_hi_u32 v0, 0x3ff801, v3
	v_add_nc_u32_e32 v1, s12, v40
	s_delay_alu instid0(VALU_DEP_1) | instskip(NEXT) | instid1(VALU_DEP_3)
	v_ashrrev_i32_e32 v2, 31, v1
	v_lshrrev_b32_e32 v0, 1, v0
	s_delay_alu instid0(VALU_DEP_1) | instskip(NEXT) | instid1(VALU_DEP_1)
	v_mul_u32_u24_e32 v0, 0x801, v0
	v_sub_nc_u32_e32 v0, v3, v0
	s_delay_alu instid0(VALU_DEP_1) | instskip(SKIP_2) | instid1(VALU_DEP_3)
	v_cvt_f32_u32_e32 v3, v0
	v_add_co_u32 v0, vcc_lo, s6, v1
	v_add_co_ci_u32_e32 v1, vcc_lo, s7, v2, vcc_lo
	v_cvt_f16_f32_e32 v2, v3
	global_store_b16 v[0:1], v2, off
	s_branch .LBB98_7
.LBB98_18:                              ;   in Loop: Header=BB98_8 Depth=1
	s_mov_b32 s14, exec_lo
	v_cmpx_lt_i32_e32 2, v29
	s_xor_b32 s14, exec_lo, s14
; %bb.19:                               ;   in Loop: Header=BB98_8 Depth=1
	v_dual_mov_b32 v7, v3 :: v_dual_mov_b32 v8, v4
	v_mov_b32_e32 v9, v5
	s_delay_alu instid0(VALU_DEP_2) | instskip(NEXT) | instid1(VALU_DEP_2)
	v_dual_mov_b32 v0, v7 :: v_dual_mov_b32 v1, v8
	v_dual_mov_b32 v2, v9 :: v_dual_mov_b32 v3, v10
; %bb.20:                               ;   in Loop: Header=BB98_8 Depth=1
	s_and_not1_saveexec_b32 s14, s14
; %bb.21:                               ;   in Loop: Header=BB98_8 Depth=1
	s_delay_alu instid0(VALU_DEP_1)
	v_dual_mov_b32 v0, v2 :: v_dual_mov_b32 v1, v3
	v_dual_mov_b32 v2, v4 :: v_dual_mov_b32 v3, v5
; %bb.22:                               ;   in Loop: Header=BB98_8 Depth=1
	s_or_b32 exec_lo, exec_lo, s14
	s_and_not1_saveexec_b32 s13, s13
	s_cbranch_execz .LBB98_10
.LBB98_23:                              ;   in Loop: Header=BB98_8 Depth=1
	s_mov_b32 s14, exec_lo
	v_cmpx_eq_u32_e32 1, v29
; %bb.24:                               ;   in Loop: Header=BB98_8 Depth=1
	v_dual_mov_b32 v0, v1 :: v_dual_mov_b32 v1, v2
	v_dual_mov_b32 v2, v3 :: v_dual_mov_b32 v3, v4
; %bb.25:                               ;   in Loop: Header=BB98_8 Depth=1
	s_or_b32 exec_lo, exec_lo, s14
	s_delay_alu instid0(SALU_CYCLE_1) | instskip(NEXT) | instid1(SALU_CYCLE_1)
	s_or_b32 exec_lo, exec_lo, s13
	s_mov_b32 s13, exec_lo
	v_cmpx_gt_i64_e64 s[4:5], v[13:14]
	s_cbranch_execnz .LBB98_11
	s_branch .LBB98_12
.LBB98_26:
	s_endpgm
.LBB98_27:
                                        ; implicit-def: $sgpr2_sgpr3
	s_branch .LBB98_4
	.section	.rodata,"a",@progbits
	.p2align	6, 0x0
	.amdhsa_kernel _ZN2at6native12_GLOBAL__N_143distribution_elementwise_grid_stride_kernelIjLi4EZZZNS0_9templates4cuda13random_kernelIPNS_17CUDAGeneratorImplEEEvRNS_18TensorIteratorBaseET_ENKUlvE_clEvENKUlvE6_clEvEUlP25hiprandStatePhilox4_32_10E0_ZNS1_27distribution_nullary_kernelIN3c104HalfEj15HIP_vector_typeIjLj4EES7_SF_ZZZNS5_IS7_EEvS9_SA_ENKSB_clEvENKSC_clEvEUljE_EEvS9_T2_RKT3_T4_EUlijE_EEvlNS_15PhiloxCudaStateET1_SM_
		.amdhsa_group_segment_fixed_size 0
		.amdhsa_private_segment_fixed_size 0
		.amdhsa_kernarg_size 320
		.amdhsa_user_sgpr_count 15
		.amdhsa_user_sgpr_dispatch_ptr 0
		.amdhsa_user_sgpr_queue_ptr 0
		.amdhsa_user_sgpr_kernarg_segment_ptr 1
		.amdhsa_user_sgpr_dispatch_id 0
		.amdhsa_user_sgpr_private_segment_size 0
		.amdhsa_wavefront_size32 1
		.amdhsa_uses_dynamic_stack 0
		.amdhsa_enable_private_segment 0
		.amdhsa_system_sgpr_workgroup_id_x 1
		.amdhsa_system_sgpr_workgroup_id_y 0
		.amdhsa_system_sgpr_workgroup_id_z 0
		.amdhsa_system_sgpr_workgroup_info 0
		.amdhsa_system_vgpr_workitem_id 0
		.amdhsa_next_free_vgpr 44
		.amdhsa_next_free_sgpr 23
		.amdhsa_reserve_vcc 1
		.amdhsa_float_round_mode_32 0
		.amdhsa_float_round_mode_16_64 0
		.amdhsa_float_denorm_mode_32 3
		.amdhsa_float_denorm_mode_16_64 3
		.amdhsa_dx10_clamp 1
		.amdhsa_ieee_mode 1
		.amdhsa_fp16_overflow 0
		.amdhsa_workgroup_processor_mode 1
		.amdhsa_memory_ordered 1
		.amdhsa_forward_progress 0
		.amdhsa_shared_vgpr_count 0
		.amdhsa_exception_fp_ieee_invalid_op 0
		.amdhsa_exception_fp_denorm_src 0
		.amdhsa_exception_fp_ieee_div_zero 0
		.amdhsa_exception_fp_ieee_overflow 0
		.amdhsa_exception_fp_ieee_underflow 0
		.amdhsa_exception_fp_ieee_inexact 0
		.amdhsa_exception_int_div_zero 0
	.end_amdhsa_kernel
	.section	.text._ZN2at6native12_GLOBAL__N_143distribution_elementwise_grid_stride_kernelIjLi4EZZZNS0_9templates4cuda13random_kernelIPNS_17CUDAGeneratorImplEEEvRNS_18TensorIteratorBaseET_ENKUlvE_clEvENKUlvE6_clEvEUlP25hiprandStatePhilox4_32_10E0_ZNS1_27distribution_nullary_kernelIN3c104HalfEj15HIP_vector_typeIjLj4EES7_SF_ZZZNS5_IS7_EEvS9_SA_ENKSB_clEvENKSC_clEvEUljE_EEvS9_T2_RKT3_T4_EUlijE_EEvlNS_15PhiloxCudaStateET1_SM_,"axG",@progbits,_ZN2at6native12_GLOBAL__N_143distribution_elementwise_grid_stride_kernelIjLi4EZZZNS0_9templates4cuda13random_kernelIPNS_17CUDAGeneratorImplEEEvRNS_18TensorIteratorBaseET_ENKUlvE_clEvENKUlvE6_clEvEUlP25hiprandStatePhilox4_32_10E0_ZNS1_27distribution_nullary_kernelIN3c104HalfEj15HIP_vector_typeIjLj4EES7_SF_ZZZNS5_IS7_EEvS9_SA_ENKSB_clEvENKSC_clEvEUljE_EEvS9_T2_RKT3_T4_EUlijE_EEvlNS_15PhiloxCudaStateET1_SM_,comdat
.Lfunc_end98:
	.size	_ZN2at6native12_GLOBAL__N_143distribution_elementwise_grid_stride_kernelIjLi4EZZZNS0_9templates4cuda13random_kernelIPNS_17CUDAGeneratorImplEEEvRNS_18TensorIteratorBaseET_ENKUlvE_clEvENKUlvE6_clEvEUlP25hiprandStatePhilox4_32_10E0_ZNS1_27distribution_nullary_kernelIN3c104HalfEj15HIP_vector_typeIjLj4EES7_SF_ZZZNS5_IS7_EEvS9_SA_ENKSB_clEvENKSC_clEvEUljE_EEvS9_T2_RKT3_T4_EUlijE_EEvlNS_15PhiloxCudaStateET1_SM_, .Lfunc_end98-_ZN2at6native12_GLOBAL__N_143distribution_elementwise_grid_stride_kernelIjLi4EZZZNS0_9templates4cuda13random_kernelIPNS_17CUDAGeneratorImplEEEvRNS_18TensorIteratorBaseET_ENKUlvE_clEvENKUlvE6_clEvEUlP25hiprandStatePhilox4_32_10E0_ZNS1_27distribution_nullary_kernelIN3c104HalfEj15HIP_vector_typeIjLj4EES7_SF_ZZZNS5_IS7_EEvS9_SA_ENKSB_clEvENKSC_clEvEUljE_EEvS9_T2_RKT3_T4_EUlijE_EEvlNS_15PhiloxCudaStateET1_SM_
                                        ; -- End function
	.section	.AMDGPU.csdata,"",@progbits
; Kernel info:
; codeLenInByte = 2988
; NumSgprs: 25
; NumVgprs: 44
; ScratchSize: 0
; MemoryBound: 0
; FloatMode: 240
; IeeeMode: 1
; LDSByteSize: 0 bytes/workgroup (compile time only)
; SGPRBlocks: 3
; VGPRBlocks: 5
; NumSGPRsForWavesPerEU: 25
; NumVGPRsForWavesPerEU: 44
; Occupancy: 16
; WaveLimiterHint : 0
; COMPUTE_PGM_RSRC2:SCRATCH_EN: 0
; COMPUTE_PGM_RSRC2:USER_SGPR: 15
; COMPUTE_PGM_RSRC2:TRAP_HANDLER: 0
; COMPUTE_PGM_RSRC2:TGID_X_EN: 1
; COMPUTE_PGM_RSRC2:TGID_Y_EN: 0
; COMPUTE_PGM_RSRC2:TGID_Z_EN: 0
; COMPUTE_PGM_RSRC2:TIDIG_COMP_CNT: 0
	.section	.text._ZN2at6native12_GLOBAL__N_143distribution_elementwise_grid_stride_kernelIjLi4EZZZNS0_9templates4cuda13random_kernelIPNS_17CUDAGeneratorImplEEEvRNS_18TensorIteratorBaseET_ENKUlvE_clEvENKUlvE6_clEvEUlP25hiprandStatePhilox4_32_10E0_ZNS1_27distribution_nullary_kernelIN3c104HalfEj15HIP_vector_typeIjLj4EES7_SF_ZZZNS5_IS7_EEvS9_SA_ENKSB_clEvENKSC_clEvEUljE_EEvS9_T2_RKT3_T4_EUlijE0_EEvlNS_15PhiloxCudaStateET1_SM_,"axG",@progbits,_ZN2at6native12_GLOBAL__N_143distribution_elementwise_grid_stride_kernelIjLi4EZZZNS0_9templates4cuda13random_kernelIPNS_17CUDAGeneratorImplEEEvRNS_18TensorIteratorBaseET_ENKUlvE_clEvENKUlvE6_clEvEUlP25hiprandStatePhilox4_32_10E0_ZNS1_27distribution_nullary_kernelIN3c104HalfEj15HIP_vector_typeIjLj4EES7_SF_ZZZNS5_IS7_EEvS9_SA_ENKSB_clEvENKSC_clEvEUljE_EEvS9_T2_RKT3_T4_EUlijE0_EEvlNS_15PhiloxCudaStateET1_SM_,comdat
	.globl	_ZN2at6native12_GLOBAL__N_143distribution_elementwise_grid_stride_kernelIjLi4EZZZNS0_9templates4cuda13random_kernelIPNS_17CUDAGeneratorImplEEEvRNS_18TensorIteratorBaseET_ENKUlvE_clEvENKUlvE6_clEvEUlP25hiprandStatePhilox4_32_10E0_ZNS1_27distribution_nullary_kernelIN3c104HalfEj15HIP_vector_typeIjLj4EES7_SF_ZZZNS5_IS7_EEvS9_SA_ENKSB_clEvENKSC_clEvEUljE_EEvS9_T2_RKT3_T4_EUlijE0_EEvlNS_15PhiloxCudaStateET1_SM_ ; -- Begin function _ZN2at6native12_GLOBAL__N_143distribution_elementwise_grid_stride_kernelIjLi4EZZZNS0_9templates4cuda13random_kernelIPNS_17CUDAGeneratorImplEEEvRNS_18TensorIteratorBaseET_ENKUlvE_clEvENKUlvE6_clEvEUlP25hiprandStatePhilox4_32_10E0_ZNS1_27distribution_nullary_kernelIN3c104HalfEj15HIP_vector_typeIjLj4EES7_SF_ZZZNS5_IS7_EEvS9_SA_ENKSB_clEvENKSC_clEvEUljE_EEvS9_T2_RKT3_T4_EUlijE0_EEvlNS_15PhiloxCudaStateET1_SM_
	.p2align	8
	.type	_ZN2at6native12_GLOBAL__N_143distribution_elementwise_grid_stride_kernelIjLi4EZZZNS0_9templates4cuda13random_kernelIPNS_17CUDAGeneratorImplEEEvRNS_18TensorIteratorBaseET_ENKUlvE_clEvENKUlvE6_clEvEUlP25hiprandStatePhilox4_32_10E0_ZNS1_27distribution_nullary_kernelIN3c104HalfEj15HIP_vector_typeIjLj4EES7_SF_ZZZNS5_IS7_EEvS9_SA_ENKSB_clEvENKSC_clEvEUljE_EEvS9_T2_RKT3_T4_EUlijE0_EEvlNS_15PhiloxCudaStateET1_SM_,@function
_ZN2at6native12_GLOBAL__N_143distribution_elementwise_grid_stride_kernelIjLi4EZZZNS0_9templates4cuda13random_kernelIPNS_17CUDAGeneratorImplEEEvRNS_18TensorIteratorBaseET_ENKUlvE_clEvENKUlvE6_clEvEUlP25hiprandStatePhilox4_32_10E0_ZNS1_27distribution_nullary_kernelIN3c104HalfEj15HIP_vector_typeIjLj4EES7_SF_ZZZNS5_IS7_EEvS9_SA_ENKSB_clEvENKSC_clEvEUljE_EEvS9_T2_RKT3_T4_EUlijE0_EEvlNS_15PhiloxCudaStateET1_SM_: ; @_ZN2at6native12_GLOBAL__N_143distribution_elementwise_grid_stride_kernelIjLi4EZZZNS0_9templates4cuda13random_kernelIPNS_17CUDAGeneratorImplEEEvRNS_18TensorIteratorBaseET_ENKUlvE_clEvENKUlvE6_clEvEUlP25hiprandStatePhilox4_32_10E0_ZNS1_27distribution_nullary_kernelIN3c104HalfEj15HIP_vector_typeIjLj4EES7_SF_ZZZNS5_IS7_EEvS9_SA_ENKSB_clEvENKSC_clEvEUljE_EEvS9_T2_RKT3_T4_EUlijE0_EEvlNS_15PhiloxCudaStateET1_SM_
; %bb.0:
	s_clause 0x2
	s_load_b64 s[4:5], s[0:1], 0x10
	s_load_b128 s[16:19], s[0:1], 0x0
	s_load_b32 s2, s[0:1], 0x20
	s_waitcnt lgkmcnt(0)
	v_dual_mov_b32 v2, s4 :: v_dual_mov_b32 v3, s5
	v_dual_mov_b32 v11, s18 :: v_dual_mov_b32 v12, s19
	s_bitcmp0_b32 s2, 0
	s_mov_b32 s2, 0
	s_cbranch_scc1 .LBB99_2
; %bb.1:
	v_dual_mov_b32 v1, s4 :: v_dual_mov_b32 v2, s5
	v_dual_mov_b32 v4, s18 :: v_dual_mov_b32 v5, s19
	s_load_b64 s[4:5], s[0:1], 0x18
	flat_load_b64 v[2:3], v[1:2]
	flat_load_b64 v[11:12], v[4:5]
	s_waitcnt vmcnt(1) lgkmcnt(0)
	v_add_co_u32 v2, vcc_lo, v2, s4
	v_add_co_ci_u32_e32 v3, vcc_lo, s5, v3, vcc_lo
.LBB99_2:
	s_clause 0x1
	s_load_b32 s3, s[0:1], 0x154
	s_load_b32 s4, s[0:1], 0x148
	s_waitcnt lgkmcnt(0)
	s_and_b32 s5, s3, 0xffff
	s_add_u32 s6, s16, -1
	s_mul_i32 s24, s4, s5
	s_addc_u32 s3, s17, -1
	s_lshl_b32 s25, s24, 2
	s_cmp_lg_u64 s[2:3], 0
	s_cbranch_scc0 .LBB99_79
; %bb.3:
	v_cvt_f32_ubyte0_e32 v1, 0
	v_cvt_f32_u32_e32 v4, s25
	s_sub_u32 s8, 0, s25
	s_subb_u32 s9, 0, 0
	s_delay_alu instid0(VALU_DEP_1) | instskip(NEXT) | instid1(VALU_DEP_1)
	v_fmamk_f32 v1, v1, 0x4f800000, v4
	v_rcp_f32_e32 v1, v1
	s_waitcnt_depctr 0xfff
	v_mul_f32_e32 v1, 0x5f7ffffc, v1
	s_delay_alu instid0(VALU_DEP_1) | instskip(NEXT) | instid1(VALU_DEP_1)
	v_mul_f32_e32 v4, 0x2f800000, v1
	v_trunc_f32_e32 v4, v4
	s_delay_alu instid0(VALU_DEP_1) | instskip(SKIP_1) | instid1(VALU_DEP_2)
	v_fmamk_f32 v1, v4, 0xcf800000, v1
	v_cvt_u32_f32_e32 v4, v4
	v_cvt_u32_f32_e32 v1, v1
	s_delay_alu instid0(VALU_DEP_2) | instskip(NEXT) | instid1(VALU_DEP_2)
	v_readfirstlane_b32 s2, v4
	v_readfirstlane_b32 s7, v1
	s_delay_alu instid0(VALU_DEP_2) | instskip(NEXT) | instid1(VALU_DEP_1)
	s_mul_i32 s10, s8, s2
	s_mul_hi_u32 s12, s8, s7
	s_mul_i32 s11, s9, s7
	s_add_i32 s10, s12, s10
	s_mul_i32 s13, s8, s7
	s_add_i32 s10, s10, s11
	s_mul_hi_u32 s12, s7, s13
	s_mul_hi_u32 s14, s2, s13
	s_mul_i32 s11, s2, s13
	s_mul_hi_u32 s13, s7, s10
	s_mul_i32 s7, s7, s10
	s_mul_hi_u32 s18, s2, s10
	s_add_u32 s7, s12, s7
	s_addc_u32 s12, 0, s13
	s_add_u32 s7, s7, s11
	s_mul_i32 s10, s2, s10
	s_addc_u32 s7, s12, s14
	s_addc_u32 s11, s18, 0
	s_add_u32 s7, s7, s10
	s_addc_u32 s10, 0, s11
	v_add_co_u32 v1, s7, v1, s7
	s_delay_alu instid0(VALU_DEP_1) | instskip(SKIP_1) | instid1(VALU_DEP_1)
	s_cmp_lg_u32 s7, 0
	s_addc_u32 s2, s2, s10
	v_readfirstlane_b32 s7, v1
	s_mul_i32 s10, s8, s2
	s_delay_alu instid0(VALU_DEP_1)
	s_mul_hi_u32 s11, s8, s7
	s_mul_i32 s9, s9, s7
	s_add_i32 s10, s11, s10
	s_mul_i32 s8, s8, s7
	s_add_i32 s10, s10, s9
	s_mul_hi_u32 s11, s2, s8
	s_mul_i32 s12, s2, s8
	s_mul_hi_u32 s8, s7, s8
	s_mul_hi_u32 s13, s7, s10
	s_mul_i32 s7, s7, s10
	s_mul_hi_u32 s9, s2, s10
	s_add_u32 s7, s8, s7
	s_addc_u32 s8, 0, s13
	s_add_u32 s7, s7, s12
	s_mul_i32 s10, s2, s10
	s_addc_u32 s7, s8, s11
	s_addc_u32 s8, s9, 0
	s_add_u32 s7, s7, s10
	s_addc_u32 s8, 0, s8
	v_add_co_u32 v1, s7, v1, s7
	s_delay_alu instid0(VALU_DEP_1) | instskip(SKIP_2) | instid1(VALU_DEP_1)
	s_cmp_lg_u32 s7, 0
	s_addc_u32 s7, s2, s8
	s_ashr_i32 s8, s3, 31
	v_readfirstlane_b32 s10, v1
	s_add_u32 s2, s6, s8
	s_mov_b32 s9, s8
	s_addc_u32 s3, s3, s8
	s_delay_alu instid0(SALU_CYCLE_1) | instskip(NEXT) | instid1(SALU_CYCLE_1)
	s_xor_b64 s[2:3], s[2:3], s[8:9]
	s_mul_i32 s12, s2, s7
	s_mul_hi_u32 s13, s2, s10
	s_mul_hi_u32 s11, s2, s7
	;; [unrolled: 1-line block ×3, first 2 shown]
	s_mul_i32 s10, s3, s10
	s_add_u32 s12, s13, s12
	s_addc_u32 s11, 0, s11
	s_mul_hi_u32 s14, s3, s7
	s_add_u32 s10, s12, s10
	s_mul_i32 s7, s3, s7
	s_addc_u32 s10, s11, s18
	s_addc_u32 s11, s14, 0
	s_add_u32 s7, s10, s7
	s_addc_u32 s10, 0, s11
	s_mul_i32 s12, s25, s7
	s_add_u32 s11, s7, 1
	v_sub_co_u32 v1, s2, s2, s12
	s_mul_hi_u32 s12, s25, s7
	s_addc_u32 s13, s10, 0
	s_mul_i32 s14, s25, s10
	s_delay_alu instid0(VALU_DEP_1)
	v_sub_co_u32 v4, s18, v1, s25
	s_add_u32 s19, s7, 2
	s_addc_u32 s20, s10, 0
	s_add_i32 s12, s12, s14
	s_cmp_lg_u32 s2, 0
	v_readfirstlane_b32 s2, v4
	s_subb_u32 s3, s3, s12
	s_cmp_lg_u32 s18, 0
	s_subb_u32 s12, s3, 0
	s_delay_alu instid0(VALU_DEP_1) | instskip(SKIP_4) | instid1(SALU_CYCLE_1)
	s_cmp_ge_u32 s2, s25
	s_cselect_b32 s2, -1, 0
	s_cmp_eq_u32 s12, 0
	v_readfirstlane_b32 s12, v1
	s_cselect_b32 s2, s2, -1
	s_cmp_lg_u32 s2, 0
	s_cselect_b32 s2, s19, s11
	s_cselect_b32 s11, s20, s13
	s_cmp_ge_u32 s12, s25
	s_cselect_b32 s12, -1, 0
	s_cmp_eq_u32 s3, 0
	s_cselect_b32 s3, s12, -1
	s_delay_alu instid0(SALU_CYCLE_1) | instskip(SKIP_2) | instid1(SALU_CYCLE_1)
	s_cmp_lg_u32 s3, 0
	s_cselect_b32 s3, s11, s10
	s_cselect_b32 s2, s2, s7
	s_xor_b64 s[2:3], s[2:3], s[8:9]
	s_delay_alu instid0(SALU_CYCLE_1)
	s_sub_u32 s2, s2, s8
	s_subb_u32 s3, s3, s8
	s_cbranch_execnz .LBB99_5
.LBB99_4:
	v_cvt_f32_u32_e32 v1, s25
	s_sub_i32 s3, 0, s25
	s_delay_alu instid0(VALU_DEP_1) | instskip(SKIP_2) | instid1(VALU_DEP_1)
	v_rcp_iflag_f32_e32 v1, v1
	s_waitcnt_depctr 0xfff
	v_mul_f32_e32 v1, 0x4f7ffffe, v1
	v_cvt_u32_f32_e32 v1, v1
	s_delay_alu instid0(VALU_DEP_1) | instskip(NEXT) | instid1(VALU_DEP_1)
	v_readfirstlane_b32 s2, v1
	s_mul_i32 s3, s3, s2
	s_delay_alu instid0(SALU_CYCLE_1) | instskip(NEXT) | instid1(SALU_CYCLE_1)
	s_mul_hi_u32 s3, s2, s3
	s_add_i32 s2, s2, s3
	s_delay_alu instid0(SALU_CYCLE_1) | instskip(NEXT) | instid1(SALU_CYCLE_1)
	s_mul_hi_u32 s2, s6, s2
	s_mul_i32 s3, s2, s25
	s_delay_alu instid0(SALU_CYCLE_1)
	s_sub_i32 s3, s6, s3
	s_add_i32 s6, s2, 1
	s_sub_i32 s7, s3, s25
	s_cmp_ge_u32 s3, s25
	s_cselect_b32 s2, s6, s2
	s_cselect_b32 s3, s7, s3
	s_add_i32 s6, s2, 1
	s_cmp_ge_u32 s3, s25
	s_mov_b32 s3, 0
	s_cselect_b32 s2, s6, s2
.LBB99_5:
	v_mov_b32_e32 v1, 0
	s_add_u32 s2, s2, 1
	s_addc_u32 s3, s3, 0
	s_mul_hi_u32 s6, s24, s2
	s_mul_i32 s3, s24, s3
	v_mad_u64_u32 v[13:14], null, s5, s15, v[0:1]
	s_mul_hi_u32 s4, s4, s5
	s_add_i32 s3, s6, s3
	s_mul_i32 s4, s4, s2
	s_mul_i32 s2, s24, s2
	s_add_i32 s3, s3, s4
	s_mov_b32 s4, exec_lo
	s_lshl_b64 s[2:3], s[2:3], 2
	s_delay_alu instid0(SALU_CYCLE_1)
	v_cmpx_gt_i64_e64 s[2:3], v[13:14]
	s_cbranch_execz .LBB99_78
; %bb.6:
	v_alignbit_b32 v17, v3, v2, 2
	v_mad_u64_u32 v[4:5], null, 0xcd9e8d57, v13, 0
	v_lshrrev_b32_e32 v18, 2, v3
	s_waitcnt vmcnt(0)
	v_dual_mov_b32 v9, v12 :: v_dual_and_b32 v26, 3, v2
	v_mad_u64_u32 v[0:1], null, 0xd2511f53, v17, 0
	v_add_co_u32 v20, null, 0x9e3779b9, v11
	v_xor3_b32 v3, v11, v5, v18
	s_delay_alu instid0(VALU_DEP_4) | instskip(SKIP_2) | instid1(VALU_DEP_4)
	v_add_co_u32 v19, null, 0xbb67ae85, v9
	v_add_co_u32 v21, null, 0x3c6ef372, v11
	v_xor_b32_e32 v1, v1, v12
	v_mad_u64_u32 v[5:6], null, 0xd2511f53, v3, 0
	v_add_co_u32 v22, null, 0x76cf5d0a, v9
	s_delay_alu instid0(VALU_DEP_3) | instskip(SKIP_2) | instid1(VALU_DEP_3)
	v_xor_b32_e32 v1, v1, v14
	v_add_co_u32 v23, null, 0x32370b8f, v9
	v_add_co_u32 v24, null, 0xdaa66d2b, v11
	v_mad_u64_u32 v[7:8], null, 0xcd9e8d57, v1, 0
	v_xor3_b32 v3, v19, v6, v0
	v_add_co_u32 v25, null, 0x78dde6e4, v11
	v_add_co_u32 v27, null, 0xed9eba14, v9
	s_delay_alu instid0(VALU_DEP_3) | instskip(SKIP_3) | instid1(VALU_DEP_3)
	v_mad_u64_u32 v[0:1], null, 0xcd9e8d57, v3, 0
	v_xor3_b32 v6, v20, v8, v4
	v_add_co_u32 v30, null, 0xa9066899, v9
	v_add_co_u32 v31, null, 0x1715609d, v11
	v_mad_u64_u32 v[3:4], null, 0xd2511f53, v6, 0
	v_xor3_b32 v1, v21, v1, v7
	v_add_co_u32 v33, null, 0xb54cda56, v11
	v_add_co_u32 v35, null, 0x646e171e, v9
	s_load_b256 s[4:11], s[0:1], 0x30
	s_delay_alu instid0(VALU_DEP_4) | instskip(SKIP_2) | instid1(VALU_DEP_3)
	v_xor3_b32 v8, v22, v4, v5
	v_mad_u64_u32 v[4:5], null, 0xd2511f53, v1, 0
	v_add_co_u32 v32, null, 0x5384540f, v11
	v_mad_u64_u32 v[6:7], null, 0xcd9e8d57, v8, 0
	v_add_co_u32 v37, null, 0x1fd5c5a3, v9
	s_delay_alu instid0(VALU_DEP_4) | instskip(SKIP_3) | instid1(VALU_DEP_4)
	v_xor3_b32 v3, v23, v5, v3
	v_add_co_u32 v34, null, 0xf1bbcdc8, v11
	v_add_co_u32 v38, null, 0xdb3d7428, v9
	v_xor3_b32 v5, v24, v7, v0
	v_mad_u64_u32 v[0:1], null, 0xcd9e8d57, v3, 0
	s_add_u32 s12, s0, 48
	s_clause 0x1
	s_load_b64 s[14:15], s[0:1], 0xf4
	s_load_b64 s[18:19], s[0:1], 0x138
	v_mad_u64_u32 v[7:8], null, 0xd2511f53, v5, 0
	s_addc_u32 s13, s1, 0
	s_waitcnt lgkmcnt(0)
	s_add_i32 s20, s4, -1
	v_xor3_b32 v3, v25, v1, v6
	s_cmp_gt_u32 s20, 1
	v_dual_mov_b32 v36, v13 :: v_dual_add_nc_u32 v29, 0x96a522ad, v12
	s_delay_alu instid0(VALU_DEP_3) | instskip(NEXT) | instid1(VALU_DEP_3)
	v_xor3_b32 v5, v27, v8, v4
	v_mad_u64_u32 v[1:2], null, 0xd2511f53, v3, 0
	s_cselect_b32 s11, -1, 0
	s_cmp_lg_u32 s4, 0
	s_delay_alu instid0(VALU_DEP_2) | instskip(SKIP_2) | instid1(VALU_DEP_2)
	v_mad_u64_u32 v[3:4], null, 0xcd9e8d57, v5, 0
	s_cselect_b32 s27, -1, 0
	s_add_u32 s0, s0, 0xf4
	v_xor3_b32 v2, v30, v2, v7
	s_addc_u32 s1, s1, 0
	s_min_u32 s21, s20, 15
	s_cmp_gt_u32 s4, 1
	s_delay_alu instid0(VALU_DEP_2) | instskip(SKIP_3) | instid1(VALU_DEP_2)
	v_xor3_b32 v0, v31, v4, v0
	v_mad_u64_u32 v[4:5], null, 0xcd9e8d57, v2, 0
	s_cselect_b32 s4, -1, 0
	s_add_i32 s21, s21, 1
	v_mad_u64_u32 v[6:7], null, 0xd2511f53, v0, 0
	s_lshl_b32 s28, s24, 1
	s_and_b32 s29, s21, 3
	s_delay_alu instid0(VALU_DEP_2) | instskip(SKIP_3) | instid1(VALU_DEP_3)
	v_xor3_b32 v2, v33, v5, v3
	s_cmp_lg_u32 s20, 2
	v_mov_b32_e32 v39, v14
	s_cselect_b32 s30, -1, 0
	v_xor3_b32 v5, v35, v7, v1
	v_mad_u64_u32 v[0:1], null, 0xd2511f53, v2, 0
	s_and_b32 s31, s21, 28
	s_cmp_lg_u32 s29, 0
	s_delay_alu instid0(VALU_DEP_2) | instskip(SKIP_2) | instid1(VALU_DEP_2)
	v_mad_u64_u32 v[2:3], null, 0xcd9e8d57, v5, 0
	s_mov_b32 s26, 0
	s_mul_i32 s33, s24, 3
	v_xor3_b32 v1, v37, v1, v6
	s_cselect_b32 s34, -1, 0
	s_delay_alu instid0(VALU_DEP_2) | instskip(NEXT) | instid1(VALU_DEP_2)
	v_xor3_b32 v3, v32, v3, v4
	v_mad_u64_u32 v[4:5], null, 0xcd9e8d57, v1, 0
	s_delay_alu instid0(VALU_DEP_2) | instskip(NEXT) | instid1(VALU_DEP_2)
	v_mad_u64_u32 v[6:7], null, 0xd2511f53, v3, 0
	v_xor3_b32 v1, v34, v5, v2
	s_delay_alu instid0(VALU_DEP_2) | instskip(NEXT) | instid1(VALU_DEP_2)
	v_xor3_b32 v0, v38, v7, v0
	v_mad_u64_u32 v[7:8], null, 0xd2511f53, v1, 0
	v_add_nc_u32_e32 v28, 0x8ff34781, v11
	s_delay_alu instid0(VALU_DEP_3) | instskip(NEXT) | instid1(VALU_DEP_3)
	v_mad_u64_u32 v[1:2], null, 0xcd9e8d57, v0, 0
	v_mov_b32_e32 v3, v7
	s_delay_alu instid0(VALU_DEP_2)
	v_xor3_b32 v0, v2, v4, v28
	v_xor3_b32 v2, v8, v6, v29
	s_branch .LBB99_9
.LBB99_7:                               ;   in Loop: Header=BB99_9 Depth=1
	v_mul_hi_u32 v0, 0x3ff801, v3
	s_delay_alu instid0(VALU_DEP_1) | instskip(NEXT) | instid1(VALU_DEP_1)
	v_lshrrev_b32_e32 v0, 1, v0
	v_mul_u32_u24_e32 v0, 0x801, v0
	s_delay_alu instid0(VALU_DEP_1) | instskip(NEXT) | instid1(VALU_DEP_1)
	v_sub_nc_u32_e32 v0, v3, v0
	v_cvt_f32_u32_e32 v0, v0
	s_delay_alu instid0(VALU_DEP_1)
	v_cvt_f16_f32_e32 v0, v0
	global_store_b16 v1, v0, s[18:19]
.LBB99_8:                               ;   in Loop: Header=BB99_9 Depth=1
	s_or_b32 exec_lo, exec_lo, s35
	v_add_co_u32 v13, vcc_lo, v13, s25
	v_add_co_ci_u32_e32 v14, vcc_lo, 0, v14, vcc_lo
	v_mov_b32_e32 v7, v15
	v_dual_mov_b32 v0, v4 :: v_dual_mov_b32 v1, v5
	s_delay_alu instid0(VALU_DEP_3) | instskip(NEXT) | instid1(VALU_DEP_3)
	v_cmp_le_i64_e32 vcc_lo, s[2:3], v[13:14]
	v_dual_mov_b32 v2, v6 :: v_dual_mov_b32 v3, v7
	s_waitcnt_vscnt null, 0x0
	s_barrier
	buffer_gl0_inv
	s_or_b32 s26, vcc_lo, s26
	s_delay_alu instid0(SALU_CYCLE_1)
	s_and_not1_b32 exec_lo, exec_lo, s26
	s_cbranch_execz .LBB99_78
.LBB99_9:                               ; =>This Loop Header: Depth=1
                                        ;     Child Loop BB99_24 Depth 2
                                        ;     Child Loop BB99_29 Depth 2
	;; [unrolled: 1-line block ×8, first 2 shown]
	v_add_co_u32 v17, vcc_lo, v17, 1
	s_delay_alu instid0(VALU_DEP_1) | instskip(SKIP_2) | instid1(VALU_DEP_1)
	v_cndmask_b32_e64 v4, 0, 1, vcc_lo
	v_add_co_ci_u32_e32 v18, vcc_lo, 0, v18, vcc_lo
	s_mov_b32 s20, exec_lo
	v_cmp_eq_u32_e32 vcc_lo, 0, v18
	s_delay_alu instid0(VALU_DEP_3) | instskip(NEXT) | instid1(VALU_DEP_1)
	v_cndmask_b32_e32 v4, 0, v4, vcc_lo
	v_add_nc_u32_e32 v36, v4, v36
	s_delay_alu instid0(VALU_DEP_1) | instskip(SKIP_2) | instid1(VALU_DEP_2)
	v_cmp_eq_u32_e32 vcc_lo, 0, v36
	v_mad_u64_u32 v[6:7], null, 0xcd9e8d57, v36, 0
	v_cndmask_b32_e32 v4, 0, v4, vcc_lo
	v_xor3_b32 v9, v7, v11, v18
	s_delay_alu instid0(VALU_DEP_2) | instskip(SKIP_1) | instid1(VALU_DEP_3)
	v_add_nc_u32_e32 v39, v4, v39
	v_mad_u64_u32 v[4:5], null, 0xd2511f53, v17, 0
	v_mad_u64_u32 v[7:8], null, 0xd2511f53, v9, 0
	s_delay_alu instid0(VALU_DEP_2) | instskip(NEXT) | instid1(VALU_DEP_2)
	v_xor_b32_e32 v5, v5, v12
	v_xor3_b32 v8, v19, v8, v4
	s_delay_alu instid0(VALU_DEP_2) | instskip(NEXT) | instid1(VALU_DEP_1)
	v_xor_b32_e32 v5, v39, v5
	v_mad_u64_u32 v[9:10], null, 0xcd9e8d57, v5, 0
	s_delay_alu instid0(VALU_DEP_3) | instskip(NEXT) | instid1(VALU_DEP_2)
	v_mad_u64_u32 v[4:5], null, 0xcd9e8d57, v8, 0
	v_xor3_b32 v6, v20, v10, v6
	s_delay_alu instid0(VALU_DEP_2) | instskip(NEXT) | instid1(VALU_DEP_2)
	v_xor3_b32 v8, v21, v5, v9
	v_mad_u64_u32 v[15:16], null, 0xd2511f53, v6, 0
	s_delay_alu instid0(VALU_DEP_2) | instskip(NEXT) | instid1(VALU_DEP_2)
	v_mad_u64_u32 v[5:6], null, 0xd2511f53, v8, 0
	v_xor3_b32 v9, v22, v16, v7
	s_delay_alu instid0(VALU_DEP_2) | instskip(NEXT) | instid1(VALU_DEP_2)
	v_xor3_b32 v6, v23, v6, v15
	v_mad_u64_u32 v[7:8], null, 0xcd9e8d57, v9, 0
	s_delay_alu instid0(VALU_DEP_1) | instskip(NEXT) | instid1(VALU_DEP_3)
	v_xor3_b32 v4, v24, v8, v4
	v_mad_u64_u32 v[8:9], null, 0xcd9e8d57, v6, 0
	s_delay_alu instid0(VALU_DEP_2) | instskip(NEXT) | instid1(VALU_DEP_2)
	v_mad_u64_u32 v[15:16], null, 0xd2511f53, v4, 0
	v_xor3_b32 v6, v25, v9, v7
	s_delay_alu instid0(VALU_DEP_2) | instskip(NEXT) | instid1(VALU_DEP_2)
	v_xor3_b32 v9, v27, v16, v5
	v_mad_u64_u32 v[4:5], null, 0xd2511f53, v6, 0
	s_delay_alu instid0(VALU_DEP_2) | instskip(NEXT) | instid1(VALU_DEP_2)
	v_mad_u64_u32 v[6:7], null, 0xcd9e8d57, v9, 0
	v_xor3_b32 v5, v30, v5, v15
	s_delay_alu instid0(VALU_DEP_2) | instskip(NEXT) | instid1(VALU_DEP_2)
	;; [unrolled: 6-line block ×6, first 2 shown]
	v_xor3_b32 v4, v6, v7, v28
	v_mov_b32_e32 v6, v10
	v_cmpx_lt_i32_e32 1, v26
	s_xor_b32 s20, exec_lo, s20
	s_cbranch_execnz .LBB99_12
; %bb.10:                               ;   in Loop: Header=BB99_9 Depth=1
	s_and_not1_saveexec_b32 s20, s20
	s_cbranch_execnz .LBB99_17
.LBB99_11:                              ;   in Loop: Header=BB99_9 Depth=1
	s_or_b32 exec_lo, exec_lo, s20
	s_delay_alu instid0(SALU_CYCLE_1)
	s_mov_b32 s35, exec_lo
	v_cmpx_gt_i64_e64 s[16:17], v[13:14]
	s_cbranch_execnz .LBB99_20
	s_branch .LBB99_34
.LBB99_12:                              ;   in Loop: Header=BB99_9 Depth=1
	s_mov_b32 s21, exec_lo
	v_cmpx_lt_i32_e32 2, v26
	s_xor_b32 s21, exec_lo, s21
; %bb.13:                               ;   in Loop: Header=BB99_9 Depth=1
	v_dual_mov_b32 v7, v3 :: v_dual_mov_b32 v8, v4
	v_mov_b32_e32 v9, v5
	s_delay_alu instid0(VALU_DEP_2) | instskip(NEXT) | instid1(VALU_DEP_2)
	v_dual_mov_b32 v0, v7 :: v_dual_mov_b32 v1, v8
	v_dual_mov_b32 v2, v9 :: v_dual_mov_b32 v3, v10
; %bb.14:                               ;   in Loop: Header=BB99_9 Depth=1
	s_and_not1_saveexec_b32 s21, s21
; %bb.15:                               ;   in Loop: Header=BB99_9 Depth=1
	s_delay_alu instid0(VALU_DEP_1)
	v_dual_mov_b32 v0, v2 :: v_dual_mov_b32 v1, v3
	v_dual_mov_b32 v2, v4 :: v_dual_mov_b32 v3, v5
; %bb.16:                               ;   in Loop: Header=BB99_9 Depth=1
	s_or_b32 exec_lo, exec_lo, s21
	s_and_not1_saveexec_b32 s20, s20
	s_cbranch_execz .LBB99_11
.LBB99_17:                              ;   in Loop: Header=BB99_9 Depth=1
	s_mov_b32 s21, exec_lo
	v_cmpx_eq_u32_e32 1, v26
; %bb.18:                               ;   in Loop: Header=BB99_9 Depth=1
	v_dual_mov_b32 v0, v1 :: v_dual_mov_b32 v1, v2
	v_dual_mov_b32 v2, v3 :: v_dual_mov_b32 v3, v4
; %bb.19:                               ;   in Loop: Header=BB99_9 Depth=1
	s_or_b32 exec_lo, exec_lo, s21
	s_delay_alu instid0(SALU_CYCLE_1) | instskip(NEXT) | instid1(SALU_CYCLE_1)
	s_or_b32 exec_lo, exec_lo, s20
	s_mov_b32 s35, exec_lo
	v_cmpx_gt_i64_e64 s[16:17], v[13:14]
	s_cbranch_execz .LBB99_34
.LBB99_20:                              ;   in Loop: Header=BB99_9 Depth=1
	s_and_not1_b32 vcc_lo, exec_lo, s11
	s_cbranch_vccnz .LBB99_26
; %bb.21:                               ;   in Loop: Header=BB99_9 Depth=1
	v_mov_b32_e32 v7, 0
	s_and_not1_b32 vcc_lo, exec_lo, s27
	s_cbranch_vccnz .LBB99_30
; %bb.22:                               ;   in Loop: Header=BB99_9 Depth=1
	s_and_not1_b32 vcc_lo, exec_lo, s30
	s_mov_b32 s20, 0
	s_cbranch_vccnz .LBB99_27
; %bb.23:                               ;   in Loop: Header=BB99_9 Depth=1
	v_dual_mov_b32 v7, 0 :: v_dual_mov_b32 v8, v13
	s_mov_b32 s36, 0
	s_mov_b64 s[20:21], s[12:13]
	s_mov_b64 s[22:23], s[0:1]
.LBB99_24:                              ;   Parent Loop BB99_9 Depth=1
                                        ; =>  This Inner Loop Header: Depth=2
	s_clause 0x1
	s_load_b256 s[40:47], s[20:21], 0x4
	s_load_b128 s[48:51], s[20:21], 0x24
	s_load_b128 s[52:55], s[22:23], 0x0
	s_add_u32 s20, s20, 48
	s_addc_u32 s21, s21, 0
	s_add_i32 s36, s36, 4
	s_add_u32 s22, s22, 16
	s_addc_u32 s23, s23, 0
	s_cmp_lg_u32 s31, s36
	s_waitcnt lgkmcnt(0)
	v_mul_hi_u32 v9, s41, v8
	s_delay_alu instid0(VALU_DEP_1) | instskip(NEXT) | instid1(VALU_DEP_1)
	v_add_nc_u32_e32 v9, v8, v9
	v_lshrrev_b32_e32 v9, s42, v9
	s_delay_alu instid0(VALU_DEP_1) | instskip(SKIP_1) | instid1(VALU_DEP_2)
	v_mul_hi_u32 v10, s44, v9
	v_mul_lo_u32 v41, v9, s40
	v_add_nc_u32_e32 v10, v9, v10
	s_delay_alu instid0(VALU_DEP_2) | instskip(NEXT) | instid1(VALU_DEP_2)
	v_sub_nc_u32_e32 v41, v8, v41
	v_lshrrev_b32_e32 v10, s45, v10
	s_delay_alu instid0(VALU_DEP_2) | instskip(NEXT) | instid1(VALU_DEP_2)
	v_mul_lo_u32 v41, v41, s52
	v_mul_hi_u32 v16, s47, v10
	v_mul_lo_u32 v42, v10, s43
	s_delay_alu instid0(VALU_DEP_2) | instskip(NEXT) | instid1(VALU_DEP_2)
	v_add_nc_u32_e32 v16, v10, v16
	v_sub_nc_u32_e32 v9, v9, v42
	s_delay_alu instid0(VALU_DEP_2) | instskip(NEXT) | instid1(VALU_DEP_2)
	v_lshrrev_b32_e32 v16, s48, v16
	v_mul_lo_u32 v9, v9, s53
	s_delay_alu instid0(VALU_DEP_2) | instskip(NEXT) | instid1(VALU_DEP_2)
	v_mul_hi_u32 v40, s50, v16
	v_add3_u32 v7, v41, v7, v9
	s_delay_alu instid0(VALU_DEP_2) | instskip(NEXT) | instid1(VALU_DEP_1)
	v_add_nc_u32_e32 v40, v16, v40
	v_lshrrev_b32_e32 v8, s51, v40
	v_mul_lo_u32 v40, v16, s46
	s_delay_alu instid0(VALU_DEP_2) | instskip(NEXT) | instid1(VALU_DEP_2)
	v_mul_lo_u32 v43, v8, s49
	v_sub_nc_u32_e32 v10, v10, v40
	s_delay_alu instid0(VALU_DEP_2) | instskip(NEXT) | instid1(VALU_DEP_2)
	v_sub_nc_u32_e32 v16, v16, v43
	v_mul_lo_u32 v10, v10, s54
	s_delay_alu instid0(VALU_DEP_2) | instskip(NEXT) | instid1(VALU_DEP_1)
	v_mul_lo_u32 v16, v16, s55
	v_add3_u32 v7, v10, v7, v16
	s_cbranch_scc1 .LBB99_24
; %bb.25:                               ;   in Loop: Header=BB99_9 Depth=1
	s_mov_b32 s20, s31
	s_and_not1_b32 vcc_lo, exec_lo, s34
	s_cbranch_vccz .LBB99_28
	s_branch .LBB99_30
.LBB99_26:                              ;   in Loop: Header=BB99_9 Depth=1
                                        ; implicit-def: $vgpr7
	s_branch .LBB99_31
.LBB99_27:                              ;   in Loop: Header=BB99_9 Depth=1
	v_mov_b32_e32 v8, v13
	s_and_not1_b32 vcc_lo, exec_lo, s34
	s_cbranch_vccnz .LBB99_30
.LBB99_28:                              ;   in Loop: Header=BB99_9 Depth=1
	s_lshl_b32 s21, s20, 2
	s_mul_i32 s22, s20, 12
	s_add_u32 s20, s0, s21
	s_addc_u32 s21, s1, 0
	s_add_u32 s22, s12, s22
	s_addc_u32 s23, s13, 0
	s_mov_b32 s36, s29
	.p2align	6
.LBB99_29:                              ;   Parent Loop BB99_9 Depth=1
                                        ; =>  This Inner Loop Header: Depth=2
	s_clause 0x1
	s_load_b64 s[38:39], s[22:23], 0x4
	s_load_b32 s37, s[22:23], 0xc
	s_add_u32 s22, s22, 12
	s_addc_u32 s23, s23, 0
	s_waitcnt lgkmcnt(0)
	v_mul_hi_u32 v9, s39, v8
	s_load_b32 s39, s[20:21], 0x0
	s_add_u32 s20, s20, 4
	s_addc_u32 s21, s21, 0
	s_add_i32 s36, s36, -1
	s_delay_alu instid0(SALU_CYCLE_1) | instskip(NEXT) | instid1(VALU_DEP_1)
	s_cmp_lg_u32 s36, 0
	v_add_nc_u32_e32 v9, v8, v9
	s_delay_alu instid0(VALU_DEP_1) | instskip(NEXT) | instid1(VALU_DEP_1)
	v_lshrrev_b32_e32 v16, s37, v9
	v_mul_lo_u32 v9, v16, s38
	s_delay_alu instid0(VALU_DEP_1) | instskip(SKIP_1) | instid1(VALU_DEP_1)
	v_sub_nc_u32_e32 v8, v8, v9
	s_waitcnt lgkmcnt(0)
	v_mad_u64_u32 v[9:10], null, v8, s39, v[7:8]
	s_delay_alu instid0(VALU_DEP_1)
	v_dual_mov_b32 v8, v16 :: v_dual_mov_b32 v7, v9
	s_cbranch_scc1 .LBB99_29
.LBB99_30:                              ;   in Loop: Header=BB99_9 Depth=1
	s_cbranch_execnz .LBB99_33
.LBB99_31:                              ;   in Loop: Header=BB99_9 Depth=1
	v_mul_hi_u32 v7, v13, s6
	s_and_not1_b32 vcc_lo, exec_lo, s4
	s_delay_alu instid0(VALU_DEP_1) | instskip(NEXT) | instid1(VALU_DEP_1)
	v_add_nc_u32_e32 v7, v7, v13
	v_lshrrev_b32_e32 v8, s7, v7
	s_delay_alu instid0(VALU_DEP_1) | instskip(NEXT) | instid1(VALU_DEP_1)
	v_mul_lo_u32 v7, v8, s5
	v_sub_nc_u32_e32 v7, v13, v7
	s_delay_alu instid0(VALU_DEP_1)
	v_mul_lo_u32 v7, v7, s14
	s_cbranch_vccnz .LBB99_33
; %bb.32:                               ;   in Loop: Header=BB99_9 Depth=1
	v_mul_hi_u32 v9, s9, v8
	s_delay_alu instid0(VALU_DEP_1) | instskip(NEXT) | instid1(VALU_DEP_1)
	v_add_nc_u32_e32 v9, v8, v9
	v_lshrrev_b32_e32 v9, s10, v9
	s_delay_alu instid0(VALU_DEP_1) | instskip(NEXT) | instid1(VALU_DEP_1)
	v_mul_lo_u32 v9, v9, s8
	v_sub_nc_u32_e32 v10, v8, v9
	s_delay_alu instid0(VALU_DEP_1) | instskip(NEXT) | instid1(VALU_DEP_1)
	v_mad_u64_u32 v[8:9], null, v10, s15, v[7:8]
	v_mov_b32_e32 v7, v8
.LBB99_33:                              ;   in Loop: Header=BB99_9 Depth=1
	v_mul_hi_u32 v8, 0x3ff801, v0
	s_delay_alu instid0(VALU_DEP_1) | instskip(NEXT) | instid1(VALU_DEP_1)
	v_lshrrev_b32_e32 v8, 1, v8
	v_mul_u32_u24_e32 v8, 0x801, v8
	s_delay_alu instid0(VALU_DEP_1) | instskip(NEXT) | instid1(VALU_DEP_1)
	v_sub_nc_u32_e32 v0, v0, v8
	v_cvt_f32_u32_e32 v0, v0
	s_delay_alu instid0(VALU_DEP_1)
	v_cvt_f16_f32_e32 v0, v0
	global_store_b16 v7, v0, s[18:19]
.LBB99_34:                              ;   in Loop: Header=BB99_9 Depth=1
	s_or_b32 exec_lo, exec_lo, s35
	v_add_co_u32 v7, vcc_lo, v13, s24
	v_add_co_ci_u32_e32 v8, vcc_lo, 0, v14, vcc_lo
	s_mov_b32 s35, exec_lo
	s_delay_alu instid0(VALU_DEP_1)
	v_cmpx_gt_i64_e64 s[16:17], v[7:8]
	s_cbranch_execz .LBB99_49
; %bb.35:                               ;   in Loop: Header=BB99_9 Depth=1
	s_and_not1_b32 vcc_lo, exec_lo, s11
	s_cbranch_vccnz .LBB99_41
; %bb.36:                               ;   in Loop: Header=BB99_9 Depth=1
	v_mov_b32_e32 v0, 0
	s_and_not1_b32 vcc_lo, exec_lo, s27
	s_cbranch_vccnz .LBB99_45
; %bb.37:                               ;   in Loop: Header=BB99_9 Depth=1
	s_and_not1_b32 vcc_lo, exec_lo, s30
	s_mov_b32 s20, 0
	s_cbranch_vccnz .LBB99_42
; %bb.38:                               ;   in Loop: Header=BB99_9 Depth=1
	v_mov_b32_e32 v0, 0
	v_mov_b32_e32 v8, v7
	s_mov_b32 s36, 0
	s_mov_b64 s[20:21], s[12:13]
	s_mov_b64 s[22:23], s[0:1]
.LBB99_39:                              ;   Parent Loop BB99_9 Depth=1
                                        ; =>  This Inner Loop Header: Depth=2
	s_clause 0x1
	s_load_b256 s[40:47], s[20:21], 0x4
	s_load_b128 s[48:51], s[20:21], 0x24
	s_load_b128 s[52:55], s[22:23], 0x0
	s_add_u32 s20, s20, 48
	s_addc_u32 s21, s21, 0
	s_add_i32 s36, s36, 4
	s_add_u32 s22, s22, 16
	s_addc_u32 s23, s23, 0
	s_cmp_eq_u32 s31, s36
	s_waitcnt lgkmcnt(0)
	v_mul_hi_u32 v9, s41, v8
	s_delay_alu instid0(VALU_DEP_1) | instskip(NEXT) | instid1(VALU_DEP_1)
	v_add_nc_u32_e32 v9, v8, v9
	v_lshrrev_b32_e32 v9, s42, v9
	s_delay_alu instid0(VALU_DEP_1) | instskip(SKIP_1) | instid1(VALU_DEP_2)
	v_mul_hi_u32 v10, s44, v9
	v_mul_lo_u32 v41, v9, s40
	v_add_nc_u32_e32 v10, v9, v10
	s_delay_alu instid0(VALU_DEP_2) | instskip(NEXT) | instid1(VALU_DEP_2)
	v_sub_nc_u32_e32 v41, v8, v41
	v_lshrrev_b32_e32 v10, s45, v10
	s_delay_alu instid0(VALU_DEP_2) | instskip(NEXT) | instid1(VALU_DEP_2)
	v_mul_lo_u32 v41, v41, s52
	v_mul_hi_u32 v16, s47, v10
	v_mul_lo_u32 v42, v10, s43
	s_delay_alu instid0(VALU_DEP_2) | instskip(NEXT) | instid1(VALU_DEP_2)
	v_add_nc_u32_e32 v16, v10, v16
	v_sub_nc_u32_e32 v9, v9, v42
	s_delay_alu instid0(VALU_DEP_2) | instskip(NEXT) | instid1(VALU_DEP_2)
	v_lshrrev_b32_e32 v16, s48, v16
	v_mul_lo_u32 v9, v9, s53
	s_delay_alu instid0(VALU_DEP_2) | instskip(NEXT) | instid1(VALU_DEP_2)
	v_mul_hi_u32 v40, s50, v16
	v_add3_u32 v0, v41, v0, v9
	s_delay_alu instid0(VALU_DEP_2) | instskip(NEXT) | instid1(VALU_DEP_1)
	v_add_nc_u32_e32 v40, v16, v40
	v_lshrrev_b32_e32 v8, s51, v40
	v_mul_lo_u32 v40, v16, s46
	s_delay_alu instid0(VALU_DEP_2) | instskip(NEXT) | instid1(VALU_DEP_2)
	v_mul_lo_u32 v43, v8, s49
	v_sub_nc_u32_e32 v10, v10, v40
	s_delay_alu instid0(VALU_DEP_2) | instskip(NEXT) | instid1(VALU_DEP_2)
	v_sub_nc_u32_e32 v16, v16, v43
	v_mul_lo_u32 v10, v10, s54
	s_delay_alu instid0(VALU_DEP_2) | instskip(NEXT) | instid1(VALU_DEP_1)
	v_mul_lo_u32 v16, v16, s55
	v_add3_u32 v0, v10, v0, v16
	s_cbranch_scc0 .LBB99_39
; %bb.40:                               ;   in Loop: Header=BB99_9 Depth=1
	s_mov_b32 s20, s31
	s_and_not1_b32 vcc_lo, exec_lo, s34
	s_cbranch_vccz .LBB99_43
	s_branch .LBB99_45
.LBB99_41:                              ;   in Loop: Header=BB99_9 Depth=1
                                        ; implicit-def: $vgpr0
	s_branch .LBB99_46
.LBB99_42:                              ;   in Loop: Header=BB99_9 Depth=1
	v_mov_b32_e32 v8, v7
	s_and_not1_b32 vcc_lo, exec_lo, s34
	s_cbranch_vccnz .LBB99_45
.LBB99_43:                              ;   in Loop: Header=BB99_9 Depth=1
	s_lshl_b32 s21, s20, 2
	s_mul_i32 s22, s20, 12
	s_add_u32 s20, s0, s21
	s_addc_u32 s21, s1, 0
	s_add_u32 s22, s12, s22
	s_addc_u32 s23, s13, 0
	s_mov_b32 s36, s29
	.p2align	6
.LBB99_44:                              ;   Parent Loop BB99_9 Depth=1
                                        ; =>  This Inner Loop Header: Depth=2
	s_clause 0x1
	s_load_b64 s[38:39], s[22:23], 0x4
	s_load_b32 s37, s[22:23], 0xc
	s_add_u32 s22, s22, 12
	s_addc_u32 s23, s23, 0
	s_waitcnt lgkmcnt(0)
	v_mul_hi_u32 v9, s39, v8
	s_load_b32 s39, s[20:21], 0x0
	s_add_u32 s20, s20, 4
	s_addc_u32 s21, s21, 0
	s_add_i32 s36, s36, -1
	s_delay_alu instid0(SALU_CYCLE_1) | instskip(NEXT) | instid1(VALU_DEP_1)
	s_cmp_lg_u32 s36, 0
	v_add_nc_u32_e32 v9, v8, v9
	s_delay_alu instid0(VALU_DEP_1) | instskip(NEXT) | instid1(VALU_DEP_1)
	v_lshrrev_b32_e32 v16, s37, v9
	v_mul_lo_u32 v9, v16, s38
	s_delay_alu instid0(VALU_DEP_1) | instskip(SKIP_1) | instid1(VALU_DEP_1)
	v_sub_nc_u32_e32 v8, v8, v9
	s_waitcnt lgkmcnt(0)
	v_mad_u64_u32 v[9:10], null, v8, s39, v[0:1]
	v_mov_b32_e32 v8, v16
	s_delay_alu instid0(VALU_DEP_2)
	v_mov_b32_e32 v0, v9
	s_cbranch_scc1 .LBB99_44
.LBB99_45:                              ;   in Loop: Header=BB99_9 Depth=1
	s_cbranch_execnz .LBB99_48
.LBB99_46:                              ;   in Loop: Header=BB99_9 Depth=1
	v_mul_hi_u32 v0, v7, s6
	s_and_not1_b32 vcc_lo, exec_lo, s4
	s_delay_alu instid0(VALU_DEP_1) | instskip(NEXT) | instid1(VALU_DEP_1)
	v_add_nc_u32_e32 v0, v0, v7
	v_lshrrev_b32_e32 v8, s7, v0
	s_delay_alu instid0(VALU_DEP_1) | instskip(NEXT) | instid1(VALU_DEP_1)
	v_mul_lo_u32 v0, v8, s5
	v_sub_nc_u32_e32 v0, v7, v0
	s_delay_alu instid0(VALU_DEP_1)
	v_mul_lo_u32 v0, v0, s14
	s_cbranch_vccnz .LBB99_48
; %bb.47:                               ;   in Loop: Header=BB99_9 Depth=1
	v_mul_hi_u32 v7, s9, v8
	s_delay_alu instid0(VALU_DEP_1) | instskip(NEXT) | instid1(VALU_DEP_1)
	v_add_nc_u32_e32 v7, v8, v7
	v_lshrrev_b32_e32 v7, s10, v7
	s_delay_alu instid0(VALU_DEP_1) | instskip(NEXT) | instid1(VALU_DEP_1)
	v_mul_lo_u32 v7, v7, s8
	v_sub_nc_u32_e32 v9, v8, v7
	s_delay_alu instid0(VALU_DEP_1) | instskip(NEXT) | instid1(VALU_DEP_1)
	v_mad_u64_u32 v[7:8], null, v9, s15, v[0:1]
	v_mov_b32_e32 v0, v7
.LBB99_48:                              ;   in Loop: Header=BB99_9 Depth=1
	v_mul_hi_u32 v7, 0x3ff801, v1
	s_delay_alu instid0(VALU_DEP_1) | instskip(NEXT) | instid1(VALU_DEP_1)
	v_lshrrev_b32_e32 v7, 1, v7
	v_mul_u32_u24_e32 v7, 0x801, v7
	s_delay_alu instid0(VALU_DEP_1) | instskip(NEXT) | instid1(VALU_DEP_1)
	v_sub_nc_u32_e32 v1, v1, v7
	v_cvt_f32_u32_e32 v1, v1
	s_delay_alu instid0(VALU_DEP_1)
	v_cvt_f16_f32_e32 v1, v1
	global_store_b16 v0, v1, s[18:19]
.LBB99_49:                              ;   in Loop: Header=BB99_9 Depth=1
	s_or_b32 exec_lo, exec_lo, s35
	v_add_co_u32 v0, vcc_lo, v13, s28
	v_add_co_ci_u32_e32 v1, vcc_lo, 0, v14, vcc_lo
	s_mov_b32 s35, exec_lo
	s_delay_alu instid0(VALU_DEP_1)
	v_cmpx_gt_i64_e64 s[16:17], v[0:1]
	s_cbranch_execz .LBB99_64
; %bb.50:                               ;   in Loop: Header=BB99_9 Depth=1
	s_and_not1_b32 vcc_lo, exec_lo, s11
	s_cbranch_vccnz .LBB99_56
; %bb.51:                               ;   in Loop: Header=BB99_9 Depth=1
	v_mov_b32_e32 v1, 0
	s_and_not1_b32 vcc_lo, exec_lo, s27
	s_cbranch_vccnz .LBB99_60
; %bb.52:                               ;   in Loop: Header=BB99_9 Depth=1
	s_and_not1_b32 vcc_lo, exec_lo, s30
	s_mov_b32 s20, 0
	s_cbranch_vccnz .LBB99_57
; %bb.53:                               ;   in Loop: Header=BB99_9 Depth=1
	v_mov_b32_e32 v1, 0
	v_mov_b32_e32 v7, v0
	s_mov_b32 s36, 0
	s_mov_b64 s[20:21], s[12:13]
	s_mov_b64 s[22:23], s[0:1]
.LBB99_54:                              ;   Parent Loop BB99_9 Depth=1
                                        ; =>  This Inner Loop Header: Depth=2
	s_clause 0x1
	s_load_b256 s[40:47], s[20:21], 0x4
	s_load_b128 s[48:51], s[20:21], 0x24
	s_load_b128 s[52:55], s[22:23], 0x0
	s_add_u32 s20, s20, 48
	s_addc_u32 s21, s21, 0
	s_add_i32 s36, s36, 4
	s_add_u32 s22, s22, 16
	s_addc_u32 s23, s23, 0
	s_cmp_eq_u32 s31, s36
	s_waitcnt lgkmcnt(0)
	v_mul_hi_u32 v8, s41, v7
	s_delay_alu instid0(VALU_DEP_1) | instskip(NEXT) | instid1(VALU_DEP_1)
	v_add_nc_u32_e32 v8, v7, v8
	v_lshrrev_b32_e32 v8, s42, v8
	s_delay_alu instid0(VALU_DEP_1) | instskip(SKIP_1) | instid1(VALU_DEP_2)
	v_mul_hi_u32 v9, s44, v8
	v_mul_lo_u32 v40, v8, s40
	v_add_nc_u32_e32 v9, v8, v9
	s_delay_alu instid0(VALU_DEP_2) | instskip(NEXT) | instid1(VALU_DEP_2)
	v_sub_nc_u32_e32 v40, v7, v40
	v_lshrrev_b32_e32 v9, s45, v9
	s_delay_alu instid0(VALU_DEP_2) | instskip(NEXT) | instid1(VALU_DEP_2)
	v_mul_lo_u32 v40, v40, s52
	v_mul_hi_u32 v10, s47, v9
	v_mul_lo_u32 v41, v9, s43
	s_delay_alu instid0(VALU_DEP_2) | instskip(NEXT) | instid1(VALU_DEP_2)
	v_add_nc_u32_e32 v10, v9, v10
	v_sub_nc_u32_e32 v8, v8, v41
	s_delay_alu instid0(VALU_DEP_2) | instskip(NEXT) | instid1(VALU_DEP_2)
	v_lshrrev_b32_e32 v10, s48, v10
	v_mul_lo_u32 v8, v8, s53
	s_delay_alu instid0(VALU_DEP_2) | instskip(NEXT) | instid1(VALU_DEP_2)
	v_mul_hi_u32 v16, s50, v10
	v_add3_u32 v1, v40, v1, v8
	s_delay_alu instid0(VALU_DEP_2) | instskip(NEXT) | instid1(VALU_DEP_1)
	v_add_nc_u32_e32 v16, v10, v16
	v_lshrrev_b32_e32 v7, s51, v16
	v_mul_lo_u32 v16, v10, s46
	s_delay_alu instid0(VALU_DEP_2) | instskip(NEXT) | instid1(VALU_DEP_2)
	v_mul_lo_u32 v42, v7, s49
	v_sub_nc_u32_e32 v9, v9, v16
	s_delay_alu instid0(VALU_DEP_2) | instskip(NEXT) | instid1(VALU_DEP_2)
	v_sub_nc_u32_e32 v10, v10, v42
	v_mul_lo_u32 v9, v9, s54
	s_delay_alu instid0(VALU_DEP_2) | instskip(NEXT) | instid1(VALU_DEP_1)
	v_mul_lo_u32 v10, v10, s55
	v_add3_u32 v1, v9, v1, v10
	s_cbranch_scc0 .LBB99_54
; %bb.55:                               ;   in Loop: Header=BB99_9 Depth=1
	s_mov_b32 s20, s31
	s_and_not1_b32 vcc_lo, exec_lo, s34
	s_cbranch_vccz .LBB99_58
	s_branch .LBB99_60
.LBB99_56:                              ;   in Loop: Header=BB99_9 Depth=1
                                        ; implicit-def: $vgpr1
	s_branch .LBB99_61
.LBB99_57:                              ;   in Loop: Header=BB99_9 Depth=1
	v_mov_b32_e32 v7, v0
	s_and_not1_b32 vcc_lo, exec_lo, s34
	s_cbranch_vccnz .LBB99_60
.LBB99_58:                              ;   in Loop: Header=BB99_9 Depth=1
	s_lshl_b32 s21, s20, 2
	s_mul_i32 s22, s20, 12
	s_add_u32 s20, s0, s21
	s_addc_u32 s21, s1, 0
	s_add_u32 s22, s12, s22
	s_addc_u32 s23, s13, 0
	s_mov_b32 s36, s29
	.p2align	6
.LBB99_59:                              ;   Parent Loop BB99_9 Depth=1
                                        ; =>  This Inner Loop Header: Depth=2
	s_clause 0x1
	s_load_b64 s[38:39], s[22:23], 0x4
	s_load_b32 s37, s[22:23], 0xc
	s_add_u32 s22, s22, 12
	s_addc_u32 s23, s23, 0
	s_waitcnt lgkmcnt(0)
	v_mul_hi_u32 v8, s39, v7
	s_load_b32 s39, s[20:21], 0x0
	s_add_u32 s20, s20, 4
	s_addc_u32 s21, s21, 0
	s_add_i32 s36, s36, -1
	s_delay_alu instid0(SALU_CYCLE_1) | instskip(NEXT) | instid1(VALU_DEP_1)
	s_cmp_lg_u32 s36, 0
	v_add_nc_u32_e32 v8, v7, v8
	s_delay_alu instid0(VALU_DEP_1) | instskip(NEXT) | instid1(VALU_DEP_1)
	v_lshrrev_b32_e32 v10, s37, v8
	v_mul_lo_u32 v8, v10, s38
	s_delay_alu instid0(VALU_DEP_1) | instskip(SKIP_1) | instid1(VALU_DEP_1)
	v_sub_nc_u32_e32 v7, v7, v8
	s_waitcnt lgkmcnt(0)
	v_mad_u64_u32 v[8:9], null, v7, s39, v[1:2]
	v_mov_b32_e32 v7, v10
	s_delay_alu instid0(VALU_DEP_2)
	v_mov_b32_e32 v1, v8
	s_cbranch_scc1 .LBB99_59
.LBB99_60:                              ;   in Loop: Header=BB99_9 Depth=1
	s_cbranch_execnz .LBB99_63
.LBB99_61:                              ;   in Loop: Header=BB99_9 Depth=1
	v_mul_hi_u32 v1, v0, s6
	s_and_not1_b32 vcc_lo, exec_lo, s4
	s_delay_alu instid0(VALU_DEP_1) | instskip(NEXT) | instid1(VALU_DEP_1)
	v_add_nc_u32_e32 v1, v1, v0
	v_lshrrev_b32_e32 v7, s7, v1
	s_delay_alu instid0(VALU_DEP_1) | instskip(NEXT) | instid1(VALU_DEP_1)
	v_mul_lo_u32 v1, v7, s5
	v_sub_nc_u32_e32 v0, v0, v1
	s_delay_alu instid0(VALU_DEP_1)
	v_mul_lo_u32 v1, v0, s14
	s_cbranch_vccnz .LBB99_63
; %bb.62:                               ;   in Loop: Header=BB99_9 Depth=1
	v_mul_hi_u32 v0, s9, v7
	s_delay_alu instid0(VALU_DEP_1) | instskip(NEXT) | instid1(VALU_DEP_1)
	v_add_nc_u32_e32 v0, v7, v0
	v_lshrrev_b32_e32 v0, s10, v0
	s_delay_alu instid0(VALU_DEP_1) | instskip(NEXT) | instid1(VALU_DEP_1)
	v_mul_lo_u32 v0, v0, s8
	v_sub_nc_u32_e32 v0, v7, v0
	s_delay_alu instid0(VALU_DEP_1) | instskip(NEXT) | instid1(VALU_DEP_1)
	v_mad_u64_u32 v[7:8], null, v0, s15, v[1:2]
	v_mov_b32_e32 v1, v7
.LBB99_63:                              ;   in Loop: Header=BB99_9 Depth=1
	v_mul_hi_u32 v0, 0x3ff801, v2
	s_delay_alu instid0(VALU_DEP_1) | instskip(NEXT) | instid1(VALU_DEP_1)
	v_lshrrev_b32_e32 v0, 1, v0
	v_mul_u32_u24_e32 v0, 0x801, v0
	s_delay_alu instid0(VALU_DEP_1) | instskip(NEXT) | instid1(VALU_DEP_1)
	v_sub_nc_u32_e32 v0, v2, v0
	v_cvt_f32_u32_e32 v0, v0
	s_delay_alu instid0(VALU_DEP_1)
	v_cvt_f16_f32_e32 v0, v0
	global_store_b16 v1, v0, s[18:19]
.LBB99_64:                              ;   in Loop: Header=BB99_9 Depth=1
	s_or_b32 exec_lo, exec_lo, s35
	v_add_co_u32 v0, vcc_lo, v13, s33
	v_add_co_ci_u32_e32 v1, vcc_lo, 0, v14, vcc_lo
	s_mov_b32 s35, exec_lo
	s_delay_alu instid0(VALU_DEP_1)
	v_cmpx_gt_i64_e64 s[16:17], v[0:1]
	s_cbranch_execz .LBB99_8
; %bb.65:                               ;   in Loop: Header=BB99_9 Depth=1
	s_and_not1_b32 vcc_lo, exec_lo, s11
	s_cbranch_vccnz .LBB99_71
; %bb.66:                               ;   in Loop: Header=BB99_9 Depth=1
	v_mov_b32_e32 v1, 0
	s_and_not1_b32 vcc_lo, exec_lo, s27
	s_cbranch_vccnz .LBB99_75
; %bb.67:                               ;   in Loop: Header=BB99_9 Depth=1
	s_and_not1_b32 vcc_lo, exec_lo, s30
	s_mov_b32 s20, 0
	s_cbranch_vccnz .LBB99_72
; %bb.68:                               ;   in Loop: Header=BB99_9 Depth=1
	v_dual_mov_b32 v1, 0 :: v_dual_mov_b32 v2, v0
	s_mov_b32 s36, 0
	s_mov_b64 s[20:21], s[12:13]
	s_mov_b64 s[22:23], s[0:1]
.LBB99_69:                              ;   Parent Loop BB99_9 Depth=1
                                        ; =>  This Inner Loop Header: Depth=2
	s_clause 0x1
	s_load_b256 s[40:47], s[20:21], 0x4
	s_load_b128 s[48:51], s[20:21], 0x24
	s_load_b128 s[52:55], s[22:23], 0x0
	s_add_u32 s20, s20, 48
	s_addc_u32 s21, s21, 0
	s_add_i32 s36, s36, 4
	s_add_u32 s22, s22, 16
	s_addc_u32 s23, s23, 0
	s_cmp_eq_u32 s31, s36
	s_waitcnt lgkmcnt(0)
	v_mul_hi_u32 v7, s41, v2
	s_delay_alu instid0(VALU_DEP_1) | instskip(NEXT) | instid1(VALU_DEP_1)
	v_add_nc_u32_e32 v7, v2, v7
	v_lshrrev_b32_e32 v7, s42, v7
	s_delay_alu instid0(VALU_DEP_1) | instskip(SKIP_1) | instid1(VALU_DEP_2)
	v_mul_hi_u32 v8, s44, v7
	v_mul_lo_u32 v16, v7, s40
	v_add_nc_u32_e32 v8, v7, v8
	s_delay_alu instid0(VALU_DEP_2) | instskip(NEXT) | instid1(VALU_DEP_2)
	v_sub_nc_u32_e32 v16, v2, v16
	v_lshrrev_b32_e32 v8, s45, v8
	s_delay_alu instid0(VALU_DEP_2) | instskip(NEXT) | instid1(VALU_DEP_2)
	v_mul_lo_u32 v16, v16, s52
	v_mul_hi_u32 v9, s47, v8
	v_mul_lo_u32 v40, v8, s43
	s_delay_alu instid0(VALU_DEP_2) | instskip(NEXT) | instid1(VALU_DEP_2)
	v_add_nc_u32_e32 v9, v8, v9
	v_sub_nc_u32_e32 v7, v7, v40
	s_delay_alu instid0(VALU_DEP_2) | instskip(NEXT) | instid1(VALU_DEP_2)
	v_lshrrev_b32_e32 v9, s48, v9
	v_mul_lo_u32 v7, v7, s53
	s_delay_alu instid0(VALU_DEP_2) | instskip(NEXT) | instid1(VALU_DEP_2)
	v_mul_hi_u32 v10, s50, v9
	v_add3_u32 v1, v16, v1, v7
	s_delay_alu instid0(VALU_DEP_2) | instskip(NEXT) | instid1(VALU_DEP_1)
	v_add_nc_u32_e32 v10, v9, v10
	v_lshrrev_b32_e32 v2, s51, v10
	v_mul_lo_u32 v10, v9, s46
	s_delay_alu instid0(VALU_DEP_2) | instskip(NEXT) | instid1(VALU_DEP_2)
	v_mul_lo_u32 v41, v2, s49
	v_sub_nc_u32_e32 v8, v8, v10
	s_delay_alu instid0(VALU_DEP_2) | instskip(NEXT) | instid1(VALU_DEP_2)
	v_sub_nc_u32_e32 v9, v9, v41
	v_mul_lo_u32 v8, v8, s54
	s_delay_alu instid0(VALU_DEP_2) | instskip(NEXT) | instid1(VALU_DEP_1)
	v_mul_lo_u32 v9, v9, s55
	v_add3_u32 v1, v8, v1, v9
	s_cbranch_scc0 .LBB99_69
; %bb.70:                               ;   in Loop: Header=BB99_9 Depth=1
	s_mov_b32 s20, s31
	s_and_not1_b32 vcc_lo, exec_lo, s34
	s_cbranch_vccz .LBB99_73
	s_branch .LBB99_75
.LBB99_71:                              ;   in Loop: Header=BB99_9 Depth=1
                                        ; implicit-def: $vgpr1
	s_branch .LBB99_76
.LBB99_72:                              ;   in Loop: Header=BB99_9 Depth=1
	v_mov_b32_e32 v2, v0
	s_and_not1_b32 vcc_lo, exec_lo, s34
	s_cbranch_vccnz .LBB99_75
.LBB99_73:                              ;   in Loop: Header=BB99_9 Depth=1
	s_lshl_b32 s21, s20, 2
	s_mul_i32 s22, s20, 12
	s_add_u32 s20, s0, s21
	s_addc_u32 s21, s1, 0
	s_add_u32 s22, s12, s22
	s_addc_u32 s23, s13, 0
	s_mov_b32 s36, s29
	.p2align	6
.LBB99_74:                              ;   Parent Loop BB99_9 Depth=1
                                        ; =>  This Inner Loop Header: Depth=2
	s_clause 0x1
	s_load_b64 s[38:39], s[22:23], 0x4
	s_load_b32 s37, s[22:23], 0xc
	s_add_u32 s22, s22, 12
	s_addc_u32 s23, s23, 0
	s_waitcnt lgkmcnt(0)
	v_mul_hi_u32 v7, s39, v2
	s_load_b32 s39, s[20:21], 0x0
	s_add_u32 s20, s20, 4
	s_addc_u32 s21, s21, 0
	s_add_i32 s36, s36, -1
	s_delay_alu instid0(SALU_CYCLE_1) | instskip(NEXT) | instid1(VALU_DEP_1)
	s_cmp_lg_u32 s36, 0
	v_add_nc_u32_e32 v7, v2, v7
	s_delay_alu instid0(VALU_DEP_1) | instskip(NEXT) | instid1(VALU_DEP_1)
	v_lshrrev_b32_e32 v9, s37, v7
	v_mul_lo_u32 v7, v9, s38
	s_delay_alu instid0(VALU_DEP_1) | instskip(SKIP_1) | instid1(VALU_DEP_1)
	v_sub_nc_u32_e32 v2, v2, v7
	s_waitcnt lgkmcnt(0)
	v_mad_u64_u32 v[7:8], null, v2, s39, v[1:2]
	s_delay_alu instid0(VALU_DEP_1)
	v_dual_mov_b32 v2, v9 :: v_dual_mov_b32 v1, v7
	s_cbranch_scc1 .LBB99_74
.LBB99_75:                              ;   in Loop: Header=BB99_9 Depth=1
	s_cbranch_execnz .LBB99_7
.LBB99_76:                              ;   in Loop: Header=BB99_9 Depth=1
	v_mul_hi_u32 v1, v0, s6
	s_and_not1_b32 vcc_lo, exec_lo, s4
	s_delay_alu instid0(VALU_DEP_1) | instskip(NEXT) | instid1(VALU_DEP_1)
	v_add_nc_u32_e32 v1, v1, v0
	v_lshrrev_b32_e32 v2, s7, v1
	s_delay_alu instid0(VALU_DEP_1) | instskip(NEXT) | instid1(VALU_DEP_1)
	v_mul_lo_u32 v1, v2, s5
	v_sub_nc_u32_e32 v0, v0, v1
	s_delay_alu instid0(VALU_DEP_1)
	v_mul_lo_u32 v1, v0, s14
	s_cbranch_vccnz .LBB99_7
; %bb.77:                               ;   in Loop: Header=BB99_9 Depth=1
	v_mul_hi_u32 v0, s9, v2
	s_delay_alu instid0(VALU_DEP_1) | instskip(NEXT) | instid1(VALU_DEP_1)
	v_add_nc_u32_e32 v0, v2, v0
	v_lshrrev_b32_e32 v0, s10, v0
	s_delay_alu instid0(VALU_DEP_1) | instskip(NEXT) | instid1(VALU_DEP_1)
	v_mul_lo_u32 v0, v0, s8
	v_sub_nc_u32_e32 v0, v2, v0
	s_delay_alu instid0(VALU_DEP_1) | instskip(NEXT) | instid1(VALU_DEP_1)
	v_mad_u64_u32 v[7:8], null, v0, s15, v[1:2]
	v_mov_b32_e32 v1, v7
	s_branch .LBB99_7
.LBB99_78:
	s_endpgm
.LBB99_79:
                                        ; implicit-def: $sgpr2_sgpr3
	s_branch .LBB99_4
	.section	.rodata,"a",@progbits
	.p2align	6, 0x0
	.amdhsa_kernel _ZN2at6native12_GLOBAL__N_143distribution_elementwise_grid_stride_kernelIjLi4EZZZNS0_9templates4cuda13random_kernelIPNS_17CUDAGeneratorImplEEEvRNS_18TensorIteratorBaseET_ENKUlvE_clEvENKUlvE6_clEvEUlP25hiprandStatePhilox4_32_10E0_ZNS1_27distribution_nullary_kernelIN3c104HalfEj15HIP_vector_typeIjLj4EES7_SF_ZZZNS5_IS7_EEvS9_SA_ENKSB_clEvENKSC_clEvEUljE_EEvS9_T2_RKT3_T4_EUlijE0_EEvlNS_15PhiloxCudaStateET1_SM_
		.amdhsa_group_segment_fixed_size 0
		.amdhsa_private_segment_fixed_size 0
		.amdhsa_kernarg_size 584
		.amdhsa_user_sgpr_count 15
		.amdhsa_user_sgpr_dispatch_ptr 0
		.amdhsa_user_sgpr_queue_ptr 0
		.amdhsa_user_sgpr_kernarg_segment_ptr 1
		.amdhsa_user_sgpr_dispatch_id 0
		.amdhsa_user_sgpr_private_segment_size 0
		.amdhsa_wavefront_size32 1
		.amdhsa_uses_dynamic_stack 0
		.amdhsa_enable_private_segment 0
		.amdhsa_system_sgpr_workgroup_id_x 1
		.amdhsa_system_sgpr_workgroup_id_y 0
		.amdhsa_system_sgpr_workgroup_id_z 0
		.amdhsa_system_sgpr_workgroup_info 0
		.amdhsa_system_vgpr_workitem_id 0
		.amdhsa_next_free_vgpr 44
		.amdhsa_next_free_sgpr 56
		.amdhsa_reserve_vcc 1
		.amdhsa_float_round_mode_32 0
		.amdhsa_float_round_mode_16_64 0
		.amdhsa_float_denorm_mode_32 3
		.amdhsa_float_denorm_mode_16_64 3
		.amdhsa_dx10_clamp 1
		.amdhsa_ieee_mode 1
		.amdhsa_fp16_overflow 0
		.amdhsa_workgroup_processor_mode 1
		.amdhsa_memory_ordered 1
		.amdhsa_forward_progress 0
		.amdhsa_shared_vgpr_count 0
		.amdhsa_exception_fp_ieee_invalid_op 0
		.amdhsa_exception_fp_denorm_src 0
		.amdhsa_exception_fp_ieee_div_zero 0
		.amdhsa_exception_fp_ieee_overflow 0
		.amdhsa_exception_fp_ieee_underflow 0
		.amdhsa_exception_fp_ieee_inexact 0
		.amdhsa_exception_int_div_zero 0
	.end_amdhsa_kernel
	.section	.text._ZN2at6native12_GLOBAL__N_143distribution_elementwise_grid_stride_kernelIjLi4EZZZNS0_9templates4cuda13random_kernelIPNS_17CUDAGeneratorImplEEEvRNS_18TensorIteratorBaseET_ENKUlvE_clEvENKUlvE6_clEvEUlP25hiprandStatePhilox4_32_10E0_ZNS1_27distribution_nullary_kernelIN3c104HalfEj15HIP_vector_typeIjLj4EES7_SF_ZZZNS5_IS7_EEvS9_SA_ENKSB_clEvENKSC_clEvEUljE_EEvS9_T2_RKT3_T4_EUlijE0_EEvlNS_15PhiloxCudaStateET1_SM_,"axG",@progbits,_ZN2at6native12_GLOBAL__N_143distribution_elementwise_grid_stride_kernelIjLi4EZZZNS0_9templates4cuda13random_kernelIPNS_17CUDAGeneratorImplEEEvRNS_18TensorIteratorBaseET_ENKUlvE_clEvENKUlvE6_clEvEUlP25hiprandStatePhilox4_32_10E0_ZNS1_27distribution_nullary_kernelIN3c104HalfEj15HIP_vector_typeIjLj4EES7_SF_ZZZNS5_IS7_EEvS9_SA_ENKSB_clEvENKSC_clEvEUljE_EEvS9_T2_RKT3_T4_EUlijE0_EEvlNS_15PhiloxCudaStateET1_SM_,comdat
.Lfunc_end99:
	.size	_ZN2at6native12_GLOBAL__N_143distribution_elementwise_grid_stride_kernelIjLi4EZZZNS0_9templates4cuda13random_kernelIPNS_17CUDAGeneratorImplEEEvRNS_18TensorIteratorBaseET_ENKUlvE_clEvENKUlvE6_clEvEUlP25hiprandStatePhilox4_32_10E0_ZNS1_27distribution_nullary_kernelIN3c104HalfEj15HIP_vector_typeIjLj4EES7_SF_ZZZNS5_IS7_EEvS9_SA_ENKSB_clEvENKSC_clEvEUljE_EEvS9_T2_RKT3_T4_EUlijE0_EEvlNS_15PhiloxCudaStateET1_SM_, .Lfunc_end99-_ZN2at6native12_GLOBAL__N_143distribution_elementwise_grid_stride_kernelIjLi4EZZZNS0_9templates4cuda13random_kernelIPNS_17CUDAGeneratorImplEEEvRNS_18TensorIteratorBaseET_ENKUlvE_clEvENKUlvE6_clEvEUlP25hiprandStatePhilox4_32_10E0_ZNS1_27distribution_nullary_kernelIN3c104HalfEj15HIP_vector_typeIjLj4EES7_SF_ZZZNS5_IS7_EEvS9_SA_ENKSB_clEvENKSC_clEvEUljE_EEvS9_T2_RKT3_T4_EUlijE0_EEvlNS_15PhiloxCudaStateET1_SM_
                                        ; -- End function
	.section	.AMDGPU.csdata,"",@progbits
; Kernel info:
; codeLenInByte = 5328
; NumSgprs: 58
; NumVgprs: 44
; ScratchSize: 0
; MemoryBound: 0
; FloatMode: 240
; IeeeMode: 1
; LDSByteSize: 0 bytes/workgroup (compile time only)
; SGPRBlocks: 7
; VGPRBlocks: 5
; NumSGPRsForWavesPerEU: 58
; NumVGPRsForWavesPerEU: 44
; Occupancy: 16
; WaveLimiterHint : 1
; COMPUTE_PGM_RSRC2:SCRATCH_EN: 0
; COMPUTE_PGM_RSRC2:USER_SGPR: 15
; COMPUTE_PGM_RSRC2:TRAP_HANDLER: 0
; COMPUTE_PGM_RSRC2:TGID_X_EN: 1
; COMPUTE_PGM_RSRC2:TGID_Y_EN: 0
; COMPUTE_PGM_RSRC2:TGID_Z_EN: 0
; COMPUTE_PGM_RSRC2:TIDIG_COMP_CNT: 0
	.section	.text._ZN2at6native12_GLOBAL__N_143distribution_elementwise_grid_stride_kernelImLi2EZZZNS0_9templates4cuda13random_kernelIPNS_17CUDAGeneratorImplEEEvRNS_18TensorIteratorBaseET_ENKUlvE_clEvENKUlvE7_clEvEUlP25hiprandStatePhilox4_32_10E_ZNS1_27distribution_nullary_kernelIN3c108BFloat16Em15HIP_vector_typeIyLj2EES7_SF_ZZZNS5_IS7_EEvS9_SA_ENKSB_clEvENKSC_clEvEUlmE_EEvS9_T2_RKT3_T4_EUlimE_EEvlNS_15PhiloxCudaStateET1_SM_,"axG",@progbits,_ZN2at6native12_GLOBAL__N_143distribution_elementwise_grid_stride_kernelImLi2EZZZNS0_9templates4cuda13random_kernelIPNS_17CUDAGeneratorImplEEEvRNS_18TensorIteratorBaseET_ENKUlvE_clEvENKUlvE7_clEvEUlP25hiprandStatePhilox4_32_10E_ZNS1_27distribution_nullary_kernelIN3c108BFloat16Em15HIP_vector_typeIyLj2EES7_SF_ZZZNS5_IS7_EEvS9_SA_ENKSB_clEvENKSC_clEvEUlmE_EEvS9_T2_RKT3_T4_EUlimE_EEvlNS_15PhiloxCudaStateET1_SM_,comdat
	.globl	_ZN2at6native12_GLOBAL__N_143distribution_elementwise_grid_stride_kernelImLi2EZZZNS0_9templates4cuda13random_kernelIPNS_17CUDAGeneratorImplEEEvRNS_18TensorIteratorBaseET_ENKUlvE_clEvENKUlvE7_clEvEUlP25hiprandStatePhilox4_32_10E_ZNS1_27distribution_nullary_kernelIN3c108BFloat16Em15HIP_vector_typeIyLj2EES7_SF_ZZZNS5_IS7_EEvS9_SA_ENKSB_clEvENKSC_clEvEUlmE_EEvS9_T2_RKT3_T4_EUlimE_EEvlNS_15PhiloxCudaStateET1_SM_ ; -- Begin function _ZN2at6native12_GLOBAL__N_143distribution_elementwise_grid_stride_kernelImLi2EZZZNS0_9templates4cuda13random_kernelIPNS_17CUDAGeneratorImplEEEvRNS_18TensorIteratorBaseET_ENKUlvE_clEvENKUlvE7_clEvEUlP25hiprandStatePhilox4_32_10E_ZNS1_27distribution_nullary_kernelIN3c108BFloat16Em15HIP_vector_typeIyLj2EES7_SF_ZZZNS5_IS7_EEvS9_SA_ENKSB_clEvENKSC_clEvEUlmE_EEvS9_T2_RKT3_T4_EUlimE_EEvlNS_15PhiloxCudaStateET1_SM_
	.p2align	8
	.type	_ZN2at6native12_GLOBAL__N_143distribution_elementwise_grid_stride_kernelImLi2EZZZNS0_9templates4cuda13random_kernelIPNS_17CUDAGeneratorImplEEEvRNS_18TensorIteratorBaseET_ENKUlvE_clEvENKUlvE7_clEvEUlP25hiprandStatePhilox4_32_10E_ZNS1_27distribution_nullary_kernelIN3c108BFloat16Em15HIP_vector_typeIyLj2EES7_SF_ZZZNS5_IS7_EEvS9_SA_ENKSB_clEvENKSC_clEvEUlmE_EEvS9_T2_RKT3_T4_EUlimE_EEvlNS_15PhiloxCudaStateET1_SM_,@function
_ZN2at6native12_GLOBAL__N_143distribution_elementwise_grid_stride_kernelImLi2EZZZNS0_9templates4cuda13random_kernelIPNS_17CUDAGeneratorImplEEEvRNS_18TensorIteratorBaseET_ENKUlvE_clEvENKUlvE7_clEvEUlP25hiprandStatePhilox4_32_10E_ZNS1_27distribution_nullary_kernelIN3c108BFloat16Em15HIP_vector_typeIyLj2EES7_SF_ZZZNS5_IS7_EEvS9_SA_ENKSB_clEvENKSC_clEvEUlmE_EEvS9_T2_RKT3_T4_EUlimE_EEvlNS_15PhiloxCudaStateET1_SM_: ; @_ZN2at6native12_GLOBAL__N_143distribution_elementwise_grid_stride_kernelImLi2EZZZNS0_9templates4cuda13random_kernelIPNS_17CUDAGeneratorImplEEEvRNS_18TensorIteratorBaseET_ENKUlvE_clEvENKUlvE7_clEvEUlP25hiprandStatePhilox4_32_10E_ZNS1_27distribution_nullary_kernelIN3c108BFloat16Em15HIP_vector_typeIyLj2EES7_SF_ZZZNS5_IS7_EEvS9_SA_ENKSB_clEvENKSC_clEvEUlmE_EEvS9_T2_RKT3_T4_EUlimE_EEvlNS_15PhiloxCudaStateET1_SM_
; %bb.0:
	s_clause 0x2
	s_load_b64 s[8:9], s[0:1], 0x10
	s_load_b128 s[4:7], s[0:1], 0x0
	s_load_b32 s2, s[0:1], 0x20
	s_waitcnt lgkmcnt(0)
	v_dual_mov_b32 v2, s8 :: v_dual_mov_b32 v3, s9
	v_dual_mov_b32 v12, s7 :: v_dual_mov_b32 v11, s6
	s_bitcmp0_b32 s2, 0
	s_mov_b32 s2, 0
	s_cbranch_scc1 .LBB100_2
; %bb.1:
	v_dual_mov_b32 v1, s8 :: v_dual_mov_b32 v2, s9
	v_dual_mov_b32 v4, s6 :: v_dual_mov_b32 v5, s7
	s_load_b64 s[6:7], s[0:1], 0x18
	flat_load_b64 v[2:3], v[1:2]
	flat_load_b64 v[11:12], v[4:5]
	s_waitcnt vmcnt(1) lgkmcnt(0)
	v_add_co_u32 v2, vcc_lo, v2, s6
	v_add_co_ci_u32_e32 v3, vcc_lo, s7, v3, vcc_lo
.LBB100_2:
	s_clause 0x1
	s_load_b32 s3, s[0:1], 0x4c
	s_load_b32 s11, s[0:1], 0x40
	s_waitcnt lgkmcnt(0)
	s_and_b32 s10, s3, 0xffff
	s_add_u32 s6, s4, -1
	s_mul_i32 s8, s11, s10
	s_addc_u32 s3, s5, -1
	s_lshl_b32 s9, s8, 1
	s_cmp_lg_u64 s[2:3], 0
	s_cbranch_scc0 .LBB100_23
; %bb.3:
	v_cvt_f32_ubyte0_e32 v1, 0
	v_cvt_f32_u32_e32 v4, s9
	s_sub_u32 s12, 0, s9
	s_subb_u32 s13, 0, 0
	s_delay_alu instid0(VALU_DEP_1) | instskip(NEXT) | instid1(VALU_DEP_1)
	v_fmamk_f32 v1, v1, 0x4f800000, v4
	v_rcp_f32_e32 v1, v1
	s_waitcnt_depctr 0xfff
	v_mul_f32_e32 v1, 0x5f7ffffc, v1
	s_delay_alu instid0(VALU_DEP_1) | instskip(NEXT) | instid1(VALU_DEP_1)
	v_mul_f32_e32 v4, 0x2f800000, v1
	v_trunc_f32_e32 v4, v4
	s_delay_alu instid0(VALU_DEP_1) | instskip(SKIP_1) | instid1(VALU_DEP_2)
	v_fmamk_f32 v1, v4, 0xcf800000, v1
	v_cvt_u32_f32_e32 v4, v4
	v_cvt_u32_f32_e32 v1, v1
	s_delay_alu instid0(VALU_DEP_2) | instskip(NEXT) | instid1(VALU_DEP_2)
	v_readfirstlane_b32 s2, v4
	v_readfirstlane_b32 s7, v1
	s_delay_alu instid0(VALU_DEP_2) | instskip(NEXT) | instid1(VALU_DEP_1)
	s_mul_i32 s14, s12, s2
	s_mul_hi_u32 s17, s12, s7
	s_mul_i32 s16, s13, s7
	s_add_i32 s14, s17, s14
	s_mul_i32 s18, s12, s7
	s_add_i32 s14, s14, s16
	s_mul_hi_u32 s17, s7, s18
	s_mul_hi_u32 s19, s2, s18
	s_mul_i32 s16, s2, s18
	s_mul_hi_u32 s18, s7, s14
	s_mul_i32 s7, s7, s14
	s_mul_hi_u32 s20, s2, s14
	s_add_u32 s7, s17, s7
	s_addc_u32 s17, 0, s18
	s_add_u32 s7, s7, s16
	s_mul_i32 s14, s2, s14
	s_addc_u32 s7, s17, s19
	s_addc_u32 s16, s20, 0
	s_add_u32 s7, s7, s14
	s_addc_u32 s14, 0, s16
	v_add_co_u32 v1, s7, v1, s7
	s_delay_alu instid0(VALU_DEP_1) | instskip(SKIP_1) | instid1(VALU_DEP_1)
	s_cmp_lg_u32 s7, 0
	s_addc_u32 s2, s2, s14
	v_readfirstlane_b32 s7, v1
	s_mul_i32 s14, s12, s2
	s_delay_alu instid0(VALU_DEP_1)
	s_mul_hi_u32 s16, s12, s7
	s_mul_i32 s13, s13, s7
	s_add_i32 s14, s16, s14
	s_mul_i32 s12, s12, s7
	s_add_i32 s14, s14, s13
	s_mul_hi_u32 s16, s2, s12
	s_mul_i32 s17, s2, s12
	s_mul_hi_u32 s12, s7, s12
	s_mul_hi_u32 s18, s7, s14
	s_mul_i32 s7, s7, s14
	s_mul_hi_u32 s13, s2, s14
	s_add_u32 s7, s12, s7
	s_addc_u32 s12, 0, s18
	s_add_u32 s7, s7, s17
	s_mul_i32 s14, s2, s14
	s_addc_u32 s7, s12, s16
	s_addc_u32 s12, s13, 0
	s_add_u32 s7, s7, s14
	s_addc_u32 s12, 0, s12
	v_add_co_u32 v1, s7, v1, s7
	s_delay_alu instid0(VALU_DEP_1) | instskip(SKIP_2) | instid1(VALU_DEP_1)
	s_cmp_lg_u32 s7, 0
	s_addc_u32 s7, s2, s12
	s_ashr_i32 s12, s3, 31
	v_readfirstlane_b32 s14, v1
	s_add_u32 s2, s6, s12
	s_mov_b32 s13, s12
	s_addc_u32 s3, s3, s12
	s_delay_alu instid0(SALU_CYCLE_1) | instskip(NEXT) | instid1(SALU_CYCLE_1)
	s_xor_b64 s[2:3], s[2:3], s[12:13]
	s_mul_i32 s17, s2, s7
	s_mul_hi_u32 s18, s2, s14
	s_mul_hi_u32 s16, s2, s7
	;; [unrolled: 1-line block ×3, first 2 shown]
	s_mul_i32 s14, s3, s14
	s_add_u32 s17, s18, s17
	s_addc_u32 s16, 0, s16
	s_mul_hi_u32 s19, s3, s7
	s_add_u32 s14, s17, s14
	s_mul_i32 s7, s3, s7
	s_addc_u32 s14, s16, s20
	s_addc_u32 s16, s19, 0
	s_add_u32 s7, s14, s7
	s_addc_u32 s14, 0, s16
	s_mul_i32 s17, s9, s7
	s_add_u32 s16, s7, 1
	v_sub_co_u32 v1, s2, s2, s17
	s_mul_hi_u32 s17, s9, s7
	s_addc_u32 s18, s14, 0
	s_mul_i32 s19, s9, s14
	s_delay_alu instid0(VALU_DEP_1)
	v_sub_co_u32 v4, s20, v1, s9
	s_add_u32 s21, s7, 2
	s_addc_u32 s22, s14, 0
	s_add_i32 s17, s17, s19
	s_cmp_lg_u32 s2, 0
	v_readfirstlane_b32 s2, v4
	s_subb_u32 s3, s3, s17
	s_cmp_lg_u32 s20, 0
	s_subb_u32 s17, s3, 0
	s_delay_alu instid0(VALU_DEP_1) | instskip(SKIP_4) | instid1(SALU_CYCLE_1)
	s_cmp_ge_u32 s2, s9
	s_cselect_b32 s2, -1, 0
	s_cmp_eq_u32 s17, 0
	v_readfirstlane_b32 s17, v1
	s_cselect_b32 s2, s2, -1
	s_cmp_lg_u32 s2, 0
	s_cselect_b32 s2, s21, s16
	s_cselect_b32 s16, s22, s18
	s_cmp_ge_u32 s17, s9
	s_cselect_b32 s17, -1, 0
	s_cmp_eq_u32 s3, 0
	s_cselect_b32 s3, s17, -1
	s_delay_alu instid0(SALU_CYCLE_1) | instskip(SKIP_2) | instid1(SALU_CYCLE_1)
	s_cmp_lg_u32 s3, 0
	s_cselect_b32 s3, s16, s14
	s_cselect_b32 s2, s2, s7
	s_xor_b64 s[2:3], s[2:3], s[12:13]
	s_delay_alu instid0(SALU_CYCLE_1)
	s_sub_u32 s2, s2, s12
	s_subb_u32 s3, s3, s12
	s_cbranch_execnz .LBB100_5
.LBB100_4:
	v_cvt_f32_u32_e32 v1, s9
	s_sub_i32 s3, 0, s9
	s_delay_alu instid0(VALU_DEP_1) | instskip(SKIP_2) | instid1(VALU_DEP_1)
	v_rcp_iflag_f32_e32 v1, v1
	s_waitcnt_depctr 0xfff
	v_mul_f32_e32 v1, 0x4f7ffffe, v1
	v_cvt_u32_f32_e32 v1, v1
	s_delay_alu instid0(VALU_DEP_1) | instskip(NEXT) | instid1(VALU_DEP_1)
	v_readfirstlane_b32 s2, v1
	s_mul_i32 s3, s3, s2
	s_delay_alu instid0(SALU_CYCLE_1) | instskip(NEXT) | instid1(SALU_CYCLE_1)
	s_mul_hi_u32 s3, s2, s3
	s_add_i32 s2, s2, s3
	s_delay_alu instid0(SALU_CYCLE_1) | instskip(NEXT) | instid1(SALU_CYCLE_1)
	s_mul_hi_u32 s2, s6, s2
	s_mul_i32 s3, s2, s9
	s_delay_alu instid0(SALU_CYCLE_1)
	s_sub_i32 s3, s6, s3
	s_add_i32 s6, s2, 1
	s_sub_i32 s7, s3, s9
	s_cmp_ge_u32 s3, s9
	s_cselect_b32 s2, s6, s2
	s_cselect_b32 s3, s7, s3
	s_add_i32 s6, s2, 1
	s_cmp_ge_u32 s3, s9
	s_mov_b32 s3, 0
	s_cselect_b32 s2, s6, s2
.LBB100_5:
	v_mov_b32_e32 v1, 0
	s_add_u32 s2, s2, 1
	s_addc_u32 s3, s3, 0
	s_mul_hi_u32 s6, s8, s2
	s_mul_i32 s3, s8, s3
	v_mad_u64_u32 v[13:14], null, s10, s15, v[0:1]
	s_mul_hi_u32 s7, s11, s10
	s_add_i32 s3, s6, s3
	s_mul_i32 s7, s7, s2
	s_mul_i32 s2, s8, s2
	s_add_i32 s3, s3, s7
	s_mov_b32 s6, exec_lo
	s_lshl_b64 s[2:3], s[2:3], 1
	s_delay_alu instid0(SALU_CYCLE_1)
	v_cmpx_gt_i64_e64 s[2:3], v[13:14]
	s_cbranch_execz .LBB100_22
; %bb.6:
	v_alignbit_b32 v17, v3, v2, 2
	v_mad_u64_u32 v[6:7], null, 0xcd9e8d57, v13, 0
	v_lshrrev_b32_e32 v18, 2, v3
	s_waitcnt vmcnt(0)
	v_dual_mov_b32 v15, v12 :: v_dual_add_nc_u32 v34, 0x8ff34781, v11
	v_mad_u64_u32 v[4:5], null, 0xd2511f53, v17, 0
	v_add_co_u32 v20, null, 0x9e3779b9, v11
	v_xor3_b32 v3, v11, v7, v18
	s_delay_alu instid0(VALU_DEP_4) | instskip(SKIP_2) | instid1(VALU_DEP_4)
	v_add_co_u32 v19, null, 0xbb67ae85, v15
	v_add_co_u32 v21, null, 0x3c6ef372, v11
	v_xor_b32_e32 v1, v5, v12
	v_mad_u64_u32 v[7:8], null, 0xd2511f53, v3, 0
	v_add_co_u32 v22, null, 0x76cf5d0a, v15
	s_delay_alu instid0(VALU_DEP_3) | instskip(SKIP_2) | instid1(VALU_DEP_3)
	v_xor_b32_e32 v1, v1, v14
	v_add_co_u32 v23, null, 0x32370b8f, v15
	v_add_co_u32 v24, null, 0xdaa66d2b, v11
	v_mad_u64_u32 v[9:10], null, 0xcd9e8d57, v1, 0
	v_xor3_b32 v1, v19, v8, v4
	v_add_co_u32 v25, null, 0x78dde6e4, v11
	v_add_co_u32 v26, null, 0xed9eba14, v15
	s_delay_alu instid0(VALU_DEP_3) | instskip(SKIP_3) | instid1(VALU_DEP_3)
	v_mad_u64_u32 v[3:4], null, 0xcd9e8d57, v1, 0
	v_xor3_b32 v8, v20, v10, v6
	v_add_co_u32 v27, null, 0xa9066899, v15
	v_add_co_u32 v28, null, 0x1715609d, v11
	v_mad_u64_u32 v[5:6], null, 0xd2511f53, v8, 0
	v_xor3_b32 v1, v21, v4, v9
	v_add_co_u32 v29, null, 0xb54cda56, v11
	v_add_co_u32 v30, null, 0x646e171e, v15
	;; [unrolled: 1-line block ×3, first 2 shown]
	v_xor3_b32 v4, v22, v6, v7
	v_mad_u64_u32 v[6:7], null, 0xd2511f53, v1, 0
	v_add_co_u32 v32, null, 0x5384540f, v11
	s_delay_alu instid0(VALU_DEP_3) | instskip(SKIP_1) | instid1(VALU_DEP_4)
	v_mad_u64_u32 v[8:9], null, 0xcd9e8d57, v4, 0
	v_dual_mov_b32 v38, v13 :: v_dual_and_b32 v33, 3, v2
	v_xor3_b32 v1, v23, v7, v5
	s_clause 0x1
	s_load_b64 s[6:7], s[0:1], 0x30
	s_load_b32 s0, s[0:1], 0x38
	v_add_co_u32 v35, null, 0xf1bbcdc8, v11
	s_delay_alu instid0(VALU_DEP_4) | instskip(SKIP_2) | instid1(VALU_DEP_3)
	v_xor3_b32 v5, v24, v9, v3
	v_mad_u64_u32 v[3:4], null, 0xcd9e8d57, v1, 0
	v_add_co_u32 v36, null, 0xdb3d7428, v15
	v_mad_u64_u32 v[9:10], null, 0xd2511f53, v5, 0
	v_add_nc_u32_e32 v37, 0x96a522ad, v12
	v_mov_b32_e32 v41, v14
	v_xor3_b32 v1, v25, v4, v8
	s_delay_alu instid0(VALU_DEP_4) | instskip(NEXT) | instid1(VALU_DEP_2)
	v_xor3_b32 v8, v26, v10, v6
	v_mad_u64_u32 v[4:5], null, 0xd2511f53, v1, 0
	s_waitcnt lgkmcnt(0)
	s_mul_i32 s1, s11, s0
	s_delay_alu instid0(VALU_DEP_2) | instskip(NEXT) | instid1(VALU_DEP_2)
	v_mad_u64_u32 v[6:7], null, 0xcd9e8d57, v8, 0
	v_xor3_b32 v1, v27, v5, v9
	s_delay_alu instid0(VALU_DEP_2) | instskip(NEXT) | instid1(VALU_DEP_2)
	v_xor3_b32 v3, v28, v7, v3
	v_mad_u64_u32 v[7:8], null, 0xcd9e8d57, v1, 0
	s_delay_alu instid0(VALU_DEP_2) | instskip(NEXT) | instid1(VALU_DEP_2)
	v_mad_u64_u32 v[9:10], null, 0xd2511f53, v3, 0
	v_xor3_b32 v1, v29, v8, v6
	s_delay_alu instid0(VALU_DEP_2) | instskip(NEXT) | instid1(VALU_DEP_2)
	v_xor3_b32 v8, v30, v10, v4
	v_mad_u64_u32 v[3:4], null, 0xd2511f53, v1, 0
	;; [unrolled: 6-line block ×3, first 2 shown]
	v_mad_u64_u32 v[15:16], null, s15, s10, v[0:1]
	s_delay_alu instid0(VALU_DEP_3) | instskip(SKIP_2) | instid1(VALU_DEP_3)
	v_mad_u64_u32 v[8:9], null, 0xd2511f53, v2, 0
	s_add_i32 s15, s15, s11
	s_mov_b32 s11, 0
	v_xor3_b32 v1, v35, v7, v5
	s_delay_alu instid0(VALU_DEP_3) | instskip(NEXT) | instid1(VALU_DEP_3)
	v_mul_lo_u32 v39, s0, v15
	v_xor3_b32 v7, v36, v9, v3
	s_delay_alu instid0(VALU_DEP_3) | instskip(SKIP_1) | instid1(VALU_DEP_3)
	v_mad_u64_u32 v[3:4], null, s15, s10, v[0:1]
	v_mad_u64_u32 v[4:5], null, 0xd2511f53, v1, 0
	;; [unrolled: 1-line block ×3, first 2 shown]
	s_delay_alu instid0(VALU_DEP_3) | instskip(SKIP_1) | instid1(VALU_DEP_3)
	v_mul_lo_u32 v40, s0, v3
	s_mul_i32 s0, s1, s10
	v_mov_b32_e32 v3, v4
	s_mov_b32 s1, 0
	s_delay_alu instid0(VALU_DEP_3)
	v_xor3_b32 v0, v2, v6, v34
	v_xor3_b32 v2, v5, v8, v37
	s_lshl_b32 s10, s0, 1
	s_branch .LBB100_8
.LBB100_7:                              ;   in Loop: Header=BB100_8 Depth=1
	s_or_b32 exec_lo, exec_lo, s12
	v_add_co_u32 v13, vcc_lo, v13, s9
	v_add_co_ci_u32_e32 v14, vcc_lo, 0, v14, vcc_lo
	v_mov_b32_e32 v7, v15
	v_dual_mov_b32 v0, v4 :: v_dual_mov_b32 v1, v5
	s_delay_alu instid0(VALU_DEP_3) | instskip(NEXT) | instid1(VALU_DEP_3)
	v_cmp_le_i64_e32 vcc_lo, s[2:3], v[13:14]
	v_dual_mov_b32 v2, v6 :: v_dual_mov_b32 v3, v7
	s_add_i32 s11, s11, s10
	s_waitcnt_vscnt null, 0x0
	s_barrier
	s_or_b32 s1, vcc_lo, s1
	buffer_gl0_inv
	s_and_not1_b32 exec_lo, exec_lo, s1
	s_cbranch_execz .LBB100_22
.LBB100_8:                              ; =>This Inner Loop Header: Depth=1
	v_add_co_u32 v17, vcc_lo, v17, 1
	s_delay_alu instid0(VALU_DEP_1) | instskip(SKIP_2) | instid1(VALU_DEP_1)
	v_cndmask_b32_e64 v4, 0, 1, vcc_lo
	v_add_co_ci_u32_e32 v18, vcc_lo, 0, v18, vcc_lo
	s_mov_b32 s0, exec_lo
	v_cmp_eq_u32_e32 vcc_lo, 0, v18
	s_delay_alu instid0(VALU_DEP_3) | instskip(NEXT) | instid1(VALU_DEP_1)
	v_cndmask_b32_e32 v4, 0, v4, vcc_lo
	v_add_nc_u32_e32 v38, v4, v38
	s_delay_alu instid0(VALU_DEP_1) | instskip(SKIP_2) | instid1(VALU_DEP_2)
	v_cmp_eq_u32_e32 vcc_lo, 0, v38
	v_mad_u64_u32 v[6:7], null, 0xcd9e8d57, v38, 0
	v_cndmask_b32_e32 v4, 0, v4, vcc_lo
	v_xor3_b32 v9, v7, v11, v18
	s_delay_alu instid0(VALU_DEP_2) | instskip(SKIP_1) | instid1(VALU_DEP_3)
	v_add_nc_u32_e32 v41, v4, v41
	v_mad_u64_u32 v[4:5], null, 0xd2511f53, v17, 0
	v_mad_u64_u32 v[7:8], null, 0xd2511f53, v9, 0
	s_delay_alu instid0(VALU_DEP_2) | instskip(NEXT) | instid1(VALU_DEP_2)
	v_xor_b32_e32 v5, v5, v12
	v_xor3_b32 v8, v19, v8, v4
	s_delay_alu instid0(VALU_DEP_2) | instskip(NEXT) | instid1(VALU_DEP_1)
	v_xor_b32_e32 v5, v41, v5
	v_mad_u64_u32 v[9:10], null, 0xcd9e8d57, v5, 0
	s_delay_alu instid0(VALU_DEP_3) | instskip(NEXT) | instid1(VALU_DEP_2)
	v_mad_u64_u32 v[4:5], null, 0xcd9e8d57, v8, 0
	v_xor3_b32 v6, v20, v10, v6
	s_delay_alu instid0(VALU_DEP_2) | instskip(NEXT) | instid1(VALU_DEP_2)
	v_xor3_b32 v8, v21, v5, v9
	v_mad_u64_u32 v[15:16], null, 0xd2511f53, v6, 0
	s_delay_alu instid0(VALU_DEP_2) | instskip(NEXT) | instid1(VALU_DEP_2)
	v_mad_u64_u32 v[5:6], null, 0xd2511f53, v8, 0
	v_xor3_b32 v9, v22, v16, v7
	s_delay_alu instid0(VALU_DEP_2) | instskip(NEXT) | instid1(VALU_DEP_2)
	v_xor3_b32 v6, v23, v6, v15
	v_mad_u64_u32 v[7:8], null, 0xcd9e8d57, v9, 0
	s_delay_alu instid0(VALU_DEP_1) | instskip(NEXT) | instid1(VALU_DEP_3)
	v_xor3_b32 v4, v24, v8, v4
	v_mad_u64_u32 v[8:9], null, 0xcd9e8d57, v6, 0
	s_delay_alu instid0(VALU_DEP_2) | instskip(NEXT) | instid1(VALU_DEP_2)
	v_mad_u64_u32 v[15:16], null, 0xd2511f53, v4, 0
	v_xor3_b32 v6, v25, v9, v7
	s_delay_alu instid0(VALU_DEP_2) | instskip(NEXT) | instid1(VALU_DEP_2)
	v_xor3_b32 v9, v26, v16, v5
	v_mad_u64_u32 v[4:5], null, 0xd2511f53, v6, 0
	s_delay_alu instid0(VALU_DEP_2) | instskip(NEXT) | instid1(VALU_DEP_2)
	v_mad_u64_u32 v[6:7], null, 0xcd9e8d57, v9, 0
	v_xor3_b32 v5, v27, v5, v15
	s_delay_alu instid0(VALU_DEP_2) | instskip(NEXT) | instid1(VALU_DEP_2)
	;; [unrolled: 6-line block ×6, first 2 shown]
	v_xor3_b32 v4, v6, v7, v34
	v_mov_b32_e32 v6, v10
	v_cmpx_lt_i32_e32 1, v33
	s_xor_b32 s0, exec_lo, s0
	s_cbranch_execnz .LBB100_14
; %bb.9:                                ;   in Loop: Header=BB100_8 Depth=1
	s_and_not1_saveexec_b32 s0, s0
	s_cbranch_execnz .LBB100_19
.LBB100_10:                             ;   in Loop: Header=BB100_8 Depth=1
	s_or_b32 exec_lo, exec_lo, s0
	s_delay_alu instid0(SALU_CYCLE_1)
	s_mov_b32 s12, exec_lo
	v_cmpx_gt_i64_e64 s[4:5], v[13:14]
	s_cbranch_execz .LBB100_12
.LBB100_11:                             ;   in Loop: Header=BB100_8 Depth=1
	s_add_u32 s0, 0, 0xfef0e7
	s_addc_u32 s13, 0, 4
	s_mul_hi_u32 s15, s0, 0xfffffeff
	s_add_i32 s13, s13, 0xff00fb
	s_sub_i32 s15, s15, s0
	s_mul_i32 s16, s13, 0xfffffeff
	s_mul_i32 s14, s0, 0xfffffeff
	s_add_i32 s15, s15, s16
	s_mul_hi_u32 s17, s13, s14
	s_mul_i32 s16, s13, s14
	s_mul_i32 s18, s0, s15
	s_mul_hi_u32 s14, s0, s14
	s_mul_hi_u32 s19, s0, s15
	s_add_u32 s14, s14, s18
	s_addc_u32 s18, 0, s19
	s_mul_hi_u32 s19, s13, s15
	s_add_u32 s14, s14, s16
	s_addc_u32 s14, s18, s17
	s_mul_i32 s15, s13, s15
	s_addc_u32 s16, s19, 0
	s_add_u32 s14, s14, s15
	s_delay_alu instid0(SALU_CYCLE_1) | instskip(SKIP_3) | instid1(VALU_DEP_1)
	v_add_co_u32 v16, s0, s0, s14
	s_addc_u32 s14, 0, s16
	s_cmp_lg_u32 s0, 0
	s_addc_u32 s0, s13, s14
	v_mul_hi_u32 v42, v1, v16
	v_mad_u64_u32 v[7:8], null, v1, s0, 0
	v_mad_u64_u32 v[9:10], null, v0, v16, 0
	s_delay_alu instid0(VALU_DEP_2) | instskip(NEXT) | instid1(VALU_DEP_3)
	v_add_co_u32 v16, vcc_lo, v42, v7
	v_add_co_ci_u32_e32 v42, vcc_lo, 0, v8, vcc_lo
	v_mad_u64_u32 v[7:8], null, v0, s0, 0
	s_delay_alu instid0(VALU_DEP_3) | instskip(NEXT) | instid1(VALU_DEP_3)
	v_add_co_u32 v9, vcc_lo, v16, v9
	v_add_co_ci_u32_e32 v9, vcc_lo, v42, v10, vcc_lo
	s_delay_alu instid0(VALU_DEP_3) | instskip(NEXT) | instid1(VALU_DEP_2)
	v_add_co_ci_u32_e32 v8, vcc_lo, 0, v8, vcc_lo
	v_add_co_u32 v9, vcc_lo, v9, v7
	s_delay_alu instid0(VALU_DEP_2) | instskip(NEXT) | instid1(VALU_DEP_2)
	v_add_co_ci_u32_e32 v16, vcc_lo, 0, v8, vcc_lo
	v_mad_u64_u32 v[7:8], null, 0x101, v9, 0
	s_delay_alu instid0(VALU_DEP_1) | instskip(NEXT) | instid1(VALU_DEP_2)
	v_mad_u64_u32 v[9:10], null, 0x101, v16, v[8:9]
	v_sub_co_u32 v7, vcc_lo, v1, v7
	s_delay_alu instid0(VALU_DEP_2) | instskip(NEXT) | instid1(VALU_DEP_2)
	v_sub_co_ci_u32_e32 v0, vcc_lo, v0, v9, vcc_lo
	v_subrev_co_u32 v8, vcc_lo, 0x101, v7
	s_delay_alu instid0(VALU_DEP_2) | instskip(NEXT) | instid1(VALU_DEP_2)
	v_subrev_co_ci_u32_e32 v1, vcc_lo, 0, v0, vcc_lo
	v_cmp_lt_u32_e32 vcc_lo, 0x100, v8
	v_cndmask_b32_e64 v9, 0, -1, vcc_lo
	v_cmp_lt_u32_e32 vcc_lo, 0x100, v7
	v_cndmask_b32_e64 v10, 0, -1, vcc_lo
	v_cmp_eq_u32_e32 vcc_lo, 0, v1
	s_delay_alu instid0(VALU_DEP_4)
	v_cndmask_b32_e32 v9, -1, v9, vcc_lo
	v_subrev_co_u32 v16, vcc_lo, 0x101, v8
	v_subrev_co_ci_u32_e32 v42, vcc_lo, 0, v1, vcc_lo
	v_cmp_eq_u32_e32 vcc_lo, 0, v0
	v_cndmask_b32_e32 v10, -1, v10, vcc_lo
	v_cmp_ne_u32_e32 vcc_lo, 0, v9
	s_delay_alu instid0(VALU_DEP_2) | instskip(SKIP_1) | instid1(VALU_DEP_1)
	v_cmp_ne_u32_e64 s0, 0, v10
	v_cndmask_b32_e32 v1, v1, v42, vcc_lo
	v_cndmask_b32_e64 v1, v0, v1, s0
	v_cndmask_b32_e32 v0, v8, v16, vcc_lo
	s_delay_alu instid0(VALU_DEP_2) | instskip(NEXT) | instid1(VALU_DEP_2)
	v_clz_i32_u32_e32 v8, v1
	v_cndmask_b32_e64 v0, v7, v0, s0
	s_delay_alu instid0(VALU_DEP_2) | instskip(NEXT) | instid1(VALU_DEP_1)
	v_min_u32_e32 v7, 32, v8
	v_lshlrev_b64 v[0:1], v7, v[0:1]
	s_delay_alu instid0(VALU_DEP_1) | instskip(NEXT) | instid1(VALU_DEP_1)
	v_min_u32_e32 v0, 1, v0
	v_or_b32_e32 v0, v1, v0
	v_sub_nc_u32_e32 v1, 32, v7
	v_add_nc_u32_e32 v7, s11, v39
	s_delay_alu instid0(VALU_DEP_3) | instskip(NEXT) | instid1(VALU_DEP_1)
	v_cvt_f32_u32_e32 v0, v0
	v_ldexp_f32 v8, v0, v1
	s_delay_alu instid0(VALU_DEP_3) | instskip(SKIP_1) | instid1(VALU_DEP_3)
	v_ashrrev_i32_e32 v1, 31, v7
	v_add_co_u32 v0, vcc_lo, s6, v7
	v_bfe_u32 v9, v8, 16, 1
	s_delay_alu instid0(VALU_DEP_3) | instskip(NEXT) | instid1(VALU_DEP_2)
	v_add_co_ci_u32_e32 v1, vcc_lo, s7, v1, vcc_lo
	v_add3_u32 v7, v8, v9, 0x7fff
	global_store_d16_hi_b16 v[0:1], v7, off
.LBB100_12:                             ;   in Loop: Header=BB100_8 Depth=1
	s_or_b32 exec_lo, exec_lo, s12
	v_add_co_u32 v0, vcc_lo, s8, v13
	v_add_co_ci_u32_e32 v1, vcc_lo, 0, v14, vcc_lo
	s_mov_b32 s12, exec_lo
	s_delay_alu instid0(VALU_DEP_1)
	v_cmpx_gt_i64_e64 s[4:5], v[0:1]
	s_cbranch_execz .LBB100_7
; %bb.13:                               ;   in Loop: Header=BB100_8 Depth=1
	s_add_u32 s0, 0, 0xfef0e7
	s_addc_u32 s13, 0, 4
	s_mul_hi_u32 s15, s0, 0xfffffeff
	s_add_i32 s13, s13, 0xff00fb
	s_sub_i32 s15, s15, s0
	s_mul_i32 s16, s13, 0xfffffeff
	s_mul_i32 s14, s0, 0xfffffeff
	s_add_i32 s15, s15, s16
	s_mul_hi_u32 s17, s13, s14
	s_mul_i32 s16, s13, s14
	s_mul_i32 s18, s0, s15
	s_mul_hi_u32 s14, s0, s14
	s_mul_hi_u32 s19, s0, s15
	s_add_u32 s14, s14, s18
	s_addc_u32 s18, 0, s19
	s_mul_hi_u32 s19, s13, s15
	s_add_u32 s14, s14, s16
	s_addc_u32 s14, s18, s17
	s_mul_i32 s15, s13, s15
	s_addc_u32 s16, s19, 0
	s_add_u32 s14, s14, s15
	s_delay_alu instid0(SALU_CYCLE_1) | instskip(SKIP_3) | instid1(VALU_DEP_1)
	v_add_co_u32 v9, s0, s0, s14
	s_addc_u32 s14, 0, s16
	s_cmp_lg_u32 s0, 0
	s_addc_u32 s0, s13, s14
	v_mul_hi_u32 v10, v3, v9
	v_mad_u64_u32 v[0:1], null, v3, s0, 0
	v_mad_u64_u32 v[7:8], null, v2, v9, 0
	s_delay_alu instid0(VALU_DEP_2) | instskip(NEXT) | instid1(VALU_DEP_3)
	v_add_co_u32 v9, vcc_lo, v10, v0
	v_add_co_ci_u32_e32 v10, vcc_lo, 0, v1, vcc_lo
	v_mad_u64_u32 v[0:1], null, v2, s0, 0
	s_delay_alu instid0(VALU_DEP_3) | instskip(NEXT) | instid1(VALU_DEP_3)
	v_add_co_u32 v7, vcc_lo, v9, v7
	v_add_co_ci_u32_e32 v7, vcc_lo, v10, v8, vcc_lo
	s_delay_alu instid0(VALU_DEP_3) | instskip(NEXT) | instid1(VALU_DEP_2)
	v_add_co_ci_u32_e32 v1, vcc_lo, 0, v1, vcc_lo
	v_add_co_u32 v7, vcc_lo, v7, v0
	s_delay_alu instid0(VALU_DEP_2) | instskip(NEXT) | instid1(VALU_DEP_2)
	v_add_co_ci_u32_e32 v9, vcc_lo, 0, v1, vcc_lo
	v_mad_u64_u32 v[0:1], null, 0x101, v7, 0
	s_delay_alu instid0(VALU_DEP_1) | instskip(NEXT) | instid1(VALU_DEP_2)
	v_mad_u64_u32 v[7:8], null, 0x101, v9, v[1:2]
	v_sub_co_u32 v0, vcc_lo, v3, v0
	s_delay_alu instid0(VALU_DEP_2) | instskip(NEXT) | instid1(VALU_DEP_2)
	v_sub_co_ci_u32_e32 v1, vcc_lo, v2, v7, vcc_lo
	v_subrev_co_u32 v2, vcc_lo, 0x101, v0
	s_delay_alu instid0(VALU_DEP_2) | instskip(NEXT) | instid1(VALU_DEP_2)
	v_subrev_co_ci_u32_e32 v3, vcc_lo, 0, v1, vcc_lo
	v_cmp_lt_u32_e32 vcc_lo, 0x100, v2
	v_cndmask_b32_e64 v7, 0, -1, vcc_lo
	v_cmp_lt_u32_e32 vcc_lo, 0x100, v0
	v_cndmask_b32_e64 v8, 0, -1, vcc_lo
	v_cmp_eq_u32_e32 vcc_lo, 0, v3
	s_delay_alu instid0(VALU_DEP_4)
	v_cndmask_b32_e32 v7, -1, v7, vcc_lo
	v_subrev_co_u32 v9, vcc_lo, 0x101, v2
	v_subrev_co_ci_u32_e32 v10, vcc_lo, 0, v3, vcc_lo
	v_cmp_eq_u32_e32 vcc_lo, 0, v1
	v_cndmask_b32_e32 v8, -1, v8, vcc_lo
	v_cmp_ne_u32_e32 vcc_lo, 0, v7
	s_delay_alu instid0(VALU_DEP_2) | instskip(SKIP_1) | instid1(VALU_DEP_1)
	v_cmp_ne_u32_e64 s0, 0, v8
	v_dual_cndmask_b32 v3, v3, v10 :: v_dual_cndmask_b32 v2, v2, v9
	v_cndmask_b32_e64 v1, v1, v3, s0
	s_delay_alu instid0(VALU_DEP_2) | instskip(NEXT) | instid1(VALU_DEP_2)
	v_cndmask_b32_e64 v0, v0, v2, s0
	v_clz_i32_u32_e32 v3, v1
	s_delay_alu instid0(VALU_DEP_1) | instskip(NEXT) | instid1(VALU_DEP_1)
	v_min_u32_e32 v2, 32, v3
	v_lshlrev_b64 v[0:1], v2, v[0:1]
	s_delay_alu instid0(VALU_DEP_1) | instskip(NEXT) | instid1(VALU_DEP_1)
	v_min_u32_e32 v0, 1, v0
	v_or_b32_e32 v0, v1, v0
	v_sub_nc_u32_e32 v1, 32, v2
	v_add_nc_u32_e32 v2, s11, v40
	s_delay_alu instid0(VALU_DEP_3) | instskip(NEXT) | instid1(VALU_DEP_1)
	v_cvt_f32_u32_e32 v0, v0
	v_ldexp_f32 v3, v0, v1
	s_delay_alu instid0(VALU_DEP_3) | instskip(SKIP_1) | instid1(VALU_DEP_3)
	v_ashrrev_i32_e32 v1, 31, v2
	v_add_co_u32 v0, vcc_lo, s6, v2
	v_bfe_u32 v7, v3, 16, 1
	s_delay_alu instid0(VALU_DEP_3) | instskip(NEXT) | instid1(VALU_DEP_2)
	v_add_co_ci_u32_e32 v1, vcc_lo, s7, v1, vcc_lo
	v_add3_u32 v2, v3, v7, 0x7fff
	global_store_d16_hi_b16 v[0:1], v2, off
	s_branch .LBB100_7
.LBB100_14:                             ;   in Loop: Header=BB100_8 Depth=1
	s_mov_b32 s12, exec_lo
	v_cmpx_lt_i32_e32 2, v33
	s_xor_b32 s12, exec_lo, s12
; %bb.15:                               ;   in Loop: Header=BB100_8 Depth=1
	v_dual_mov_b32 v7, v3 :: v_dual_mov_b32 v8, v4
	v_mov_b32_e32 v9, v5
	s_delay_alu instid0(VALU_DEP_2) | instskip(NEXT) | instid1(VALU_DEP_2)
	v_dual_mov_b32 v0, v7 :: v_dual_mov_b32 v1, v8
	v_dual_mov_b32 v2, v9 :: v_dual_mov_b32 v3, v10
; %bb.16:                               ;   in Loop: Header=BB100_8 Depth=1
	s_and_not1_saveexec_b32 s12, s12
; %bb.17:                               ;   in Loop: Header=BB100_8 Depth=1
	s_delay_alu instid0(VALU_DEP_1)
	v_dual_mov_b32 v0, v2 :: v_dual_mov_b32 v1, v3
	v_dual_mov_b32 v2, v4 :: v_dual_mov_b32 v3, v5
; %bb.18:                               ;   in Loop: Header=BB100_8 Depth=1
	s_or_b32 exec_lo, exec_lo, s12
	s_and_not1_saveexec_b32 s0, s0
	s_cbranch_execz .LBB100_10
.LBB100_19:                             ;   in Loop: Header=BB100_8 Depth=1
	s_mov_b32 s12, exec_lo
	v_cmpx_eq_u32_e32 1, v33
; %bb.20:                               ;   in Loop: Header=BB100_8 Depth=1
	v_dual_mov_b32 v0, v1 :: v_dual_mov_b32 v1, v2
	v_dual_mov_b32 v2, v3 :: v_dual_mov_b32 v3, v4
; %bb.21:                               ;   in Loop: Header=BB100_8 Depth=1
	s_or_b32 exec_lo, exec_lo, s12
	s_delay_alu instid0(SALU_CYCLE_1) | instskip(NEXT) | instid1(SALU_CYCLE_1)
	s_or_b32 exec_lo, exec_lo, s0
	s_mov_b32 s12, exec_lo
	v_cmpx_gt_i64_e64 s[4:5], v[13:14]
	s_cbranch_execnz .LBB100_11
	s_branch .LBB100_12
.LBB100_22:
	s_endpgm
.LBB100_23:
                                        ; implicit-def: $sgpr2_sgpr3
	s_branch .LBB100_4
	.section	.rodata,"a",@progbits
	.p2align	6, 0x0
	.amdhsa_kernel _ZN2at6native12_GLOBAL__N_143distribution_elementwise_grid_stride_kernelImLi2EZZZNS0_9templates4cuda13random_kernelIPNS_17CUDAGeneratorImplEEEvRNS_18TensorIteratorBaseET_ENKUlvE_clEvENKUlvE7_clEvEUlP25hiprandStatePhilox4_32_10E_ZNS1_27distribution_nullary_kernelIN3c108BFloat16Em15HIP_vector_typeIyLj2EES7_SF_ZZZNS5_IS7_EEvS9_SA_ENKSB_clEvENKSC_clEvEUlmE_EEvS9_T2_RKT3_T4_EUlimE_EEvlNS_15PhiloxCudaStateET1_SM_
		.amdhsa_group_segment_fixed_size 0
		.amdhsa_private_segment_fixed_size 0
		.amdhsa_kernarg_size 320
		.amdhsa_user_sgpr_count 15
		.amdhsa_user_sgpr_dispatch_ptr 0
		.amdhsa_user_sgpr_queue_ptr 0
		.amdhsa_user_sgpr_kernarg_segment_ptr 1
		.amdhsa_user_sgpr_dispatch_id 0
		.amdhsa_user_sgpr_private_segment_size 0
		.amdhsa_wavefront_size32 1
		.amdhsa_uses_dynamic_stack 0
		.amdhsa_enable_private_segment 0
		.amdhsa_system_sgpr_workgroup_id_x 1
		.amdhsa_system_sgpr_workgroup_id_y 0
		.amdhsa_system_sgpr_workgroup_id_z 0
		.amdhsa_system_sgpr_workgroup_info 0
		.amdhsa_system_vgpr_workitem_id 0
		.amdhsa_next_free_vgpr 43
		.amdhsa_next_free_sgpr 23
		.amdhsa_reserve_vcc 1
		.amdhsa_float_round_mode_32 0
		.amdhsa_float_round_mode_16_64 0
		.amdhsa_float_denorm_mode_32 3
		.amdhsa_float_denorm_mode_16_64 3
		.amdhsa_dx10_clamp 1
		.amdhsa_ieee_mode 1
		.amdhsa_fp16_overflow 0
		.amdhsa_workgroup_processor_mode 1
		.amdhsa_memory_ordered 1
		.amdhsa_forward_progress 0
		.amdhsa_shared_vgpr_count 0
		.amdhsa_exception_fp_ieee_invalid_op 0
		.amdhsa_exception_fp_denorm_src 0
		.amdhsa_exception_fp_ieee_div_zero 0
		.amdhsa_exception_fp_ieee_overflow 0
		.amdhsa_exception_fp_ieee_underflow 0
		.amdhsa_exception_fp_ieee_inexact 0
		.amdhsa_exception_int_div_zero 0
	.end_amdhsa_kernel
	.section	.text._ZN2at6native12_GLOBAL__N_143distribution_elementwise_grid_stride_kernelImLi2EZZZNS0_9templates4cuda13random_kernelIPNS_17CUDAGeneratorImplEEEvRNS_18TensorIteratorBaseET_ENKUlvE_clEvENKUlvE7_clEvEUlP25hiprandStatePhilox4_32_10E_ZNS1_27distribution_nullary_kernelIN3c108BFloat16Em15HIP_vector_typeIyLj2EES7_SF_ZZZNS5_IS7_EEvS9_SA_ENKSB_clEvENKSC_clEvEUlmE_EEvS9_T2_RKT3_T4_EUlimE_EEvlNS_15PhiloxCudaStateET1_SM_,"axG",@progbits,_ZN2at6native12_GLOBAL__N_143distribution_elementwise_grid_stride_kernelImLi2EZZZNS0_9templates4cuda13random_kernelIPNS_17CUDAGeneratorImplEEEvRNS_18TensorIteratorBaseET_ENKUlvE_clEvENKUlvE7_clEvEUlP25hiprandStatePhilox4_32_10E_ZNS1_27distribution_nullary_kernelIN3c108BFloat16Em15HIP_vector_typeIyLj2EES7_SF_ZZZNS5_IS7_EEvS9_SA_ENKSB_clEvENKSC_clEvEUlmE_EEvS9_T2_RKT3_T4_EUlimE_EEvlNS_15PhiloxCudaStateET1_SM_,comdat
.Lfunc_end100:
	.size	_ZN2at6native12_GLOBAL__N_143distribution_elementwise_grid_stride_kernelImLi2EZZZNS0_9templates4cuda13random_kernelIPNS_17CUDAGeneratorImplEEEvRNS_18TensorIteratorBaseET_ENKUlvE_clEvENKUlvE7_clEvEUlP25hiprandStatePhilox4_32_10E_ZNS1_27distribution_nullary_kernelIN3c108BFloat16Em15HIP_vector_typeIyLj2EES7_SF_ZZZNS5_IS7_EEvS9_SA_ENKSB_clEvENKSC_clEvEUlmE_EEvS9_T2_RKT3_T4_EUlimE_EEvlNS_15PhiloxCudaStateET1_SM_, .Lfunc_end100-_ZN2at6native12_GLOBAL__N_143distribution_elementwise_grid_stride_kernelImLi2EZZZNS0_9templates4cuda13random_kernelIPNS_17CUDAGeneratorImplEEEvRNS_18TensorIteratorBaseET_ENKUlvE_clEvENKUlvE7_clEvEUlP25hiprandStatePhilox4_32_10E_ZNS1_27distribution_nullary_kernelIN3c108BFloat16Em15HIP_vector_typeIyLj2EES7_SF_ZZZNS5_IS7_EEvS9_SA_ENKSB_clEvENKSC_clEvEUlmE_EEvS9_T2_RKT3_T4_EUlimE_EEvlNS_15PhiloxCudaStateET1_SM_
                                        ; -- End function
	.section	.AMDGPU.csdata,"",@progbits
; Kernel info:
; codeLenInByte = 3548
; NumSgprs: 25
; NumVgprs: 43
; ScratchSize: 0
; MemoryBound: 0
; FloatMode: 240
; IeeeMode: 1
; LDSByteSize: 0 bytes/workgroup (compile time only)
; SGPRBlocks: 3
; VGPRBlocks: 5
; NumSGPRsForWavesPerEU: 25
; NumVGPRsForWavesPerEU: 43
; Occupancy: 16
; WaveLimiterHint : 0
; COMPUTE_PGM_RSRC2:SCRATCH_EN: 0
; COMPUTE_PGM_RSRC2:USER_SGPR: 15
; COMPUTE_PGM_RSRC2:TRAP_HANDLER: 0
; COMPUTE_PGM_RSRC2:TGID_X_EN: 1
; COMPUTE_PGM_RSRC2:TGID_Y_EN: 0
; COMPUTE_PGM_RSRC2:TGID_Z_EN: 0
; COMPUTE_PGM_RSRC2:TIDIG_COMP_CNT: 0
	.section	.text._ZN2at6native12_GLOBAL__N_143distribution_elementwise_grid_stride_kernelImLi2EZZZNS0_9templates4cuda13random_kernelIPNS_17CUDAGeneratorImplEEEvRNS_18TensorIteratorBaseET_ENKUlvE_clEvENKUlvE7_clEvEUlP25hiprandStatePhilox4_32_10E_ZNS1_27distribution_nullary_kernelIN3c108BFloat16Em15HIP_vector_typeIyLj2EES7_SF_ZZZNS5_IS7_EEvS9_SA_ENKSB_clEvENKSC_clEvEUlmE_EEvS9_T2_RKT3_T4_EUlimE0_EEvlNS_15PhiloxCudaStateET1_SM_,"axG",@progbits,_ZN2at6native12_GLOBAL__N_143distribution_elementwise_grid_stride_kernelImLi2EZZZNS0_9templates4cuda13random_kernelIPNS_17CUDAGeneratorImplEEEvRNS_18TensorIteratorBaseET_ENKUlvE_clEvENKUlvE7_clEvEUlP25hiprandStatePhilox4_32_10E_ZNS1_27distribution_nullary_kernelIN3c108BFloat16Em15HIP_vector_typeIyLj2EES7_SF_ZZZNS5_IS7_EEvS9_SA_ENKSB_clEvENKSC_clEvEUlmE_EEvS9_T2_RKT3_T4_EUlimE0_EEvlNS_15PhiloxCudaStateET1_SM_,comdat
	.globl	_ZN2at6native12_GLOBAL__N_143distribution_elementwise_grid_stride_kernelImLi2EZZZNS0_9templates4cuda13random_kernelIPNS_17CUDAGeneratorImplEEEvRNS_18TensorIteratorBaseET_ENKUlvE_clEvENKUlvE7_clEvEUlP25hiprandStatePhilox4_32_10E_ZNS1_27distribution_nullary_kernelIN3c108BFloat16Em15HIP_vector_typeIyLj2EES7_SF_ZZZNS5_IS7_EEvS9_SA_ENKSB_clEvENKSC_clEvEUlmE_EEvS9_T2_RKT3_T4_EUlimE0_EEvlNS_15PhiloxCudaStateET1_SM_ ; -- Begin function _ZN2at6native12_GLOBAL__N_143distribution_elementwise_grid_stride_kernelImLi2EZZZNS0_9templates4cuda13random_kernelIPNS_17CUDAGeneratorImplEEEvRNS_18TensorIteratorBaseET_ENKUlvE_clEvENKUlvE7_clEvEUlP25hiprandStatePhilox4_32_10E_ZNS1_27distribution_nullary_kernelIN3c108BFloat16Em15HIP_vector_typeIyLj2EES7_SF_ZZZNS5_IS7_EEvS9_SA_ENKSB_clEvENKSC_clEvEUlmE_EEvS9_T2_RKT3_T4_EUlimE0_EEvlNS_15PhiloxCudaStateET1_SM_
	.p2align	8
	.type	_ZN2at6native12_GLOBAL__N_143distribution_elementwise_grid_stride_kernelImLi2EZZZNS0_9templates4cuda13random_kernelIPNS_17CUDAGeneratorImplEEEvRNS_18TensorIteratorBaseET_ENKUlvE_clEvENKUlvE7_clEvEUlP25hiprandStatePhilox4_32_10E_ZNS1_27distribution_nullary_kernelIN3c108BFloat16Em15HIP_vector_typeIyLj2EES7_SF_ZZZNS5_IS7_EEvS9_SA_ENKSB_clEvENKSC_clEvEUlmE_EEvS9_T2_RKT3_T4_EUlimE0_EEvlNS_15PhiloxCudaStateET1_SM_,@function
_ZN2at6native12_GLOBAL__N_143distribution_elementwise_grid_stride_kernelImLi2EZZZNS0_9templates4cuda13random_kernelIPNS_17CUDAGeneratorImplEEEvRNS_18TensorIteratorBaseET_ENKUlvE_clEvENKUlvE7_clEvEUlP25hiprandStatePhilox4_32_10E_ZNS1_27distribution_nullary_kernelIN3c108BFloat16Em15HIP_vector_typeIyLj2EES7_SF_ZZZNS5_IS7_EEvS9_SA_ENKSB_clEvENKSC_clEvEUlmE_EEvS9_T2_RKT3_T4_EUlimE0_EEvlNS_15PhiloxCudaStateET1_SM_: ; @_ZN2at6native12_GLOBAL__N_143distribution_elementwise_grid_stride_kernelImLi2EZZZNS0_9templates4cuda13random_kernelIPNS_17CUDAGeneratorImplEEEvRNS_18TensorIteratorBaseET_ENKUlvE_clEvENKUlvE7_clEvEUlP25hiprandStatePhilox4_32_10E_ZNS1_27distribution_nullary_kernelIN3c108BFloat16Em15HIP_vector_typeIyLj2EES7_SF_ZZZNS5_IS7_EEvS9_SA_ENKSB_clEvENKSC_clEvEUlmE_EEvS9_T2_RKT3_T4_EUlimE0_EEvlNS_15PhiloxCudaStateET1_SM_
; %bb.0:
	s_clause 0x2
	s_load_b64 s[4:5], s[0:1], 0x10
	s_load_b128 s[16:19], s[0:1], 0x0
	s_load_b32 s2, s[0:1], 0x20
	s_waitcnt lgkmcnt(0)
	v_dual_mov_b32 v2, s4 :: v_dual_mov_b32 v3, s5
	v_dual_mov_b32 v11, s18 :: v_dual_mov_b32 v12, s19
	s_bitcmp0_b32 s2, 0
	s_mov_b32 s2, 0
	s_cbranch_scc1 .LBB101_2
; %bb.1:
	v_dual_mov_b32 v1, s4 :: v_dual_mov_b32 v2, s5
	v_dual_mov_b32 v4, s18 :: v_dual_mov_b32 v5, s19
	s_load_b64 s[4:5], s[0:1], 0x18
	flat_load_b64 v[2:3], v[1:2]
	flat_load_b64 v[11:12], v[4:5]
	s_waitcnt vmcnt(1) lgkmcnt(0)
	v_add_co_u32 v2, vcc_lo, v2, s4
	v_add_co_ci_u32_e32 v3, vcc_lo, s5, v3, vcc_lo
.LBB101_2:
	s_clause 0x1
	s_load_b32 s3, s[0:1], 0x154
	s_load_b32 s4, s[0:1], 0x148
	s_waitcnt lgkmcnt(0)
	s_and_b32 s5, s3, 0xffff
	s_add_u32 s6, s16, -1
	s_mul_i32 s24, s4, s5
	s_addc_u32 s3, s17, -1
	s_lshl_b32 s25, s24, 1
	s_cmp_lg_u64 s[2:3], 0
	s_cbranch_scc0 .LBB101_49
; %bb.3:
	v_cvt_f32_ubyte0_e32 v1, 0
	v_cvt_f32_u32_e32 v4, s25
	s_sub_u32 s8, 0, s25
	s_subb_u32 s9, 0, 0
	s_delay_alu instid0(VALU_DEP_1) | instskip(NEXT) | instid1(VALU_DEP_1)
	v_fmamk_f32 v1, v1, 0x4f800000, v4
	v_rcp_f32_e32 v1, v1
	s_waitcnt_depctr 0xfff
	v_mul_f32_e32 v1, 0x5f7ffffc, v1
	s_delay_alu instid0(VALU_DEP_1) | instskip(NEXT) | instid1(VALU_DEP_1)
	v_mul_f32_e32 v4, 0x2f800000, v1
	v_trunc_f32_e32 v4, v4
	s_delay_alu instid0(VALU_DEP_1) | instskip(SKIP_1) | instid1(VALU_DEP_2)
	v_fmamk_f32 v1, v4, 0xcf800000, v1
	v_cvt_u32_f32_e32 v4, v4
	v_cvt_u32_f32_e32 v1, v1
	s_delay_alu instid0(VALU_DEP_2) | instskip(NEXT) | instid1(VALU_DEP_2)
	v_readfirstlane_b32 s2, v4
	v_readfirstlane_b32 s7, v1
	s_delay_alu instid0(VALU_DEP_2) | instskip(NEXT) | instid1(VALU_DEP_1)
	s_mul_i32 s10, s8, s2
	s_mul_hi_u32 s12, s8, s7
	s_mul_i32 s11, s9, s7
	s_add_i32 s10, s12, s10
	s_mul_i32 s13, s8, s7
	s_add_i32 s10, s10, s11
	s_mul_hi_u32 s12, s7, s13
	s_mul_hi_u32 s14, s2, s13
	s_mul_i32 s11, s2, s13
	s_mul_hi_u32 s13, s7, s10
	s_mul_i32 s7, s7, s10
	s_mul_hi_u32 s18, s2, s10
	s_add_u32 s7, s12, s7
	s_addc_u32 s12, 0, s13
	s_add_u32 s7, s7, s11
	s_mul_i32 s10, s2, s10
	s_addc_u32 s7, s12, s14
	s_addc_u32 s11, s18, 0
	s_add_u32 s7, s7, s10
	s_addc_u32 s10, 0, s11
	v_add_co_u32 v1, s7, v1, s7
	s_delay_alu instid0(VALU_DEP_1) | instskip(SKIP_1) | instid1(VALU_DEP_1)
	s_cmp_lg_u32 s7, 0
	s_addc_u32 s2, s2, s10
	v_readfirstlane_b32 s7, v1
	s_mul_i32 s10, s8, s2
	s_delay_alu instid0(VALU_DEP_1)
	s_mul_hi_u32 s11, s8, s7
	s_mul_i32 s9, s9, s7
	s_add_i32 s10, s11, s10
	s_mul_i32 s8, s8, s7
	s_add_i32 s10, s10, s9
	s_mul_hi_u32 s11, s2, s8
	s_mul_i32 s12, s2, s8
	s_mul_hi_u32 s8, s7, s8
	s_mul_hi_u32 s13, s7, s10
	s_mul_i32 s7, s7, s10
	s_mul_hi_u32 s9, s2, s10
	s_add_u32 s7, s8, s7
	s_addc_u32 s8, 0, s13
	s_add_u32 s7, s7, s12
	s_mul_i32 s10, s2, s10
	s_addc_u32 s7, s8, s11
	s_addc_u32 s8, s9, 0
	s_add_u32 s7, s7, s10
	s_addc_u32 s8, 0, s8
	v_add_co_u32 v1, s7, v1, s7
	s_delay_alu instid0(VALU_DEP_1) | instskip(SKIP_2) | instid1(VALU_DEP_1)
	s_cmp_lg_u32 s7, 0
	s_addc_u32 s7, s2, s8
	s_ashr_i32 s8, s3, 31
	v_readfirstlane_b32 s10, v1
	s_add_u32 s2, s6, s8
	s_mov_b32 s9, s8
	s_addc_u32 s3, s3, s8
	s_delay_alu instid0(SALU_CYCLE_1) | instskip(NEXT) | instid1(SALU_CYCLE_1)
	s_xor_b64 s[2:3], s[2:3], s[8:9]
	s_mul_i32 s12, s2, s7
	s_mul_hi_u32 s13, s2, s10
	s_mul_hi_u32 s11, s2, s7
	;; [unrolled: 1-line block ×3, first 2 shown]
	s_mul_i32 s10, s3, s10
	s_add_u32 s12, s13, s12
	s_addc_u32 s11, 0, s11
	s_mul_hi_u32 s14, s3, s7
	s_add_u32 s10, s12, s10
	s_mul_i32 s7, s3, s7
	s_addc_u32 s10, s11, s18
	s_addc_u32 s11, s14, 0
	s_add_u32 s7, s10, s7
	s_addc_u32 s10, 0, s11
	s_mul_i32 s12, s25, s7
	s_add_u32 s11, s7, 1
	v_sub_co_u32 v1, s2, s2, s12
	s_mul_hi_u32 s12, s25, s7
	s_addc_u32 s13, s10, 0
	s_mul_i32 s14, s25, s10
	s_delay_alu instid0(VALU_DEP_1)
	v_sub_co_u32 v4, s18, v1, s25
	s_add_u32 s19, s7, 2
	s_addc_u32 s20, s10, 0
	s_add_i32 s12, s12, s14
	s_cmp_lg_u32 s2, 0
	v_readfirstlane_b32 s2, v4
	s_subb_u32 s3, s3, s12
	s_cmp_lg_u32 s18, 0
	s_subb_u32 s12, s3, 0
	s_delay_alu instid0(VALU_DEP_1) | instskip(SKIP_4) | instid1(SALU_CYCLE_1)
	s_cmp_ge_u32 s2, s25
	s_cselect_b32 s2, -1, 0
	s_cmp_eq_u32 s12, 0
	v_readfirstlane_b32 s12, v1
	s_cselect_b32 s2, s2, -1
	s_cmp_lg_u32 s2, 0
	s_cselect_b32 s2, s19, s11
	s_cselect_b32 s11, s20, s13
	s_cmp_ge_u32 s12, s25
	s_cselect_b32 s12, -1, 0
	s_cmp_eq_u32 s3, 0
	s_cselect_b32 s3, s12, -1
	s_delay_alu instid0(SALU_CYCLE_1) | instskip(SKIP_2) | instid1(SALU_CYCLE_1)
	s_cmp_lg_u32 s3, 0
	s_cselect_b32 s3, s11, s10
	s_cselect_b32 s2, s2, s7
	s_xor_b64 s[2:3], s[2:3], s[8:9]
	s_delay_alu instid0(SALU_CYCLE_1)
	s_sub_u32 s2, s2, s8
	s_subb_u32 s3, s3, s8
	s_cbranch_execnz .LBB101_5
.LBB101_4:
	v_cvt_f32_u32_e32 v1, s25
	s_sub_i32 s3, 0, s25
	s_delay_alu instid0(VALU_DEP_1) | instskip(SKIP_2) | instid1(VALU_DEP_1)
	v_rcp_iflag_f32_e32 v1, v1
	s_waitcnt_depctr 0xfff
	v_mul_f32_e32 v1, 0x4f7ffffe, v1
	v_cvt_u32_f32_e32 v1, v1
	s_delay_alu instid0(VALU_DEP_1) | instskip(NEXT) | instid1(VALU_DEP_1)
	v_readfirstlane_b32 s2, v1
	s_mul_i32 s3, s3, s2
	s_delay_alu instid0(SALU_CYCLE_1) | instskip(NEXT) | instid1(SALU_CYCLE_1)
	s_mul_hi_u32 s3, s2, s3
	s_add_i32 s2, s2, s3
	s_delay_alu instid0(SALU_CYCLE_1) | instskip(NEXT) | instid1(SALU_CYCLE_1)
	s_mul_hi_u32 s2, s6, s2
	s_mul_i32 s3, s2, s25
	s_delay_alu instid0(SALU_CYCLE_1)
	s_sub_i32 s3, s6, s3
	s_add_i32 s6, s2, 1
	s_sub_i32 s7, s3, s25
	s_cmp_ge_u32 s3, s25
	s_cselect_b32 s2, s6, s2
	s_cselect_b32 s3, s7, s3
	s_add_i32 s6, s2, 1
	s_cmp_ge_u32 s3, s25
	s_mov_b32 s3, 0
	s_cselect_b32 s2, s6, s2
.LBB101_5:
	v_mov_b32_e32 v1, 0
	s_add_u32 s2, s2, 1
	s_addc_u32 s3, s3, 0
	s_mul_hi_u32 s6, s24, s2
	s_mul_i32 s3, s24, s3
	v_mad_u64_u32 v[13:14], null, s5, s15, v[0:1]
	s_mul_hi_u32 s4, s4, s5
	s_add_i32 s3, s6, s3
	s_mul_i32 s4, s4, s2
	s_mul_i32 s2, s24, s2
	s_add_i32 s3, s3, s4
	s_mov_b32 s4, exec_lo
	s_lshl_b64 s[2:3], s[2:3], 1
	s_delay_alu instid0(SALU_CYCLE_1)
	v_cmpx_gt_i64_e64 s[2:3], v[13:14]
	s_cbranch_execz .LBB101_48
; %bb.6:
	v_alignbit_b32 v17, v3, v2, 2
	v_mad_u64_u32 v[4:5], null, 0xcd9e8d57, v13, 0
	v_lshrrev_b32_e32 v18, 2, v3
	s_waitcnt vmcnt(0)
	v_dual_mov_b32 v9, v12 :: v_dual_add_nc_u32 v28, 0x8ff34781, v11
	v_mad_u64_u32 v[0:1], null, 0xd2511f53, v17, 0
	v_add_co_u32 v20, null, 0x9e3779b9, v11
	v_xor3_b32 v3, v11, v5, v18
	s_delay_alu instid0(VALU_DEP_4) | instskip(SKIP_2) | instid1(VALU_DEP_4)
	v_add_co_u32 v19, null, 0xbb67ae85, v9
	v_add_co_u32 v21, null, 0x3c6ef372, v11
	v_xor_b32_e32 v1, v1, v12
	v_mad_u64_u32 v[5:6], null, 0xd2511f53, v3, 0
	v_add_co_u32 v22, null, 0x76cf5d0a, v9
	s_delay_alu instid0(VALU_DEP_3) | instskip(SKIP_2) | instid1(VALU_DEP_3)
	v_xor_b32_e32 v1, v1, v14
	v_add_co_u32 v23, null, 0x32370b8f, v9
	v_add_co_u32 v24, null, 0xdaa66d2b, v11
	v_mad_u64_u32 v[7:8], null, 0xcd9e8d57, v1, 0
	v_xor3_b32 v3, v19, v6, v0
	v_add_co_u32 v25, null, 0x78dde6e4, v11
	v_add_co_u32 v26, null, 0xed9eba14, v9
	s_delay_alu instid0(VALU_DEP_3) | instskip(SKIP_3) | instid1(VALU_DEP_3)
	v_mad_u64_u32 v[0:1], null, 0xcd9e8d57, v3, 0
	v_xor3_b32 v6, v20, v8, v4
	v_dual_mov_b32 v38, v13 :: v_dual_and_b32 v27, 3, v2
	v_add_co_u32 v29, null, 0xa9066899, v9
	v_mad_u64_u32 v[3:4], null, 0xd2511f53, v6, 0
	v_xor3_b32 v1, v21, v1, v7
	v_add_co_u32 v30, null, 0x1715609d, v11
	v_add_co_u32 v32, null, 0xb54cda56, v11
	;; [unrolled: 1-line block ×3, first 2 shown]
	v_xor3_b32 v8, v22, v4, v5
	v_mad_u64_u32 v[4:5], null, 0xd2511f53, v1, 0
	s_load_b256 s[4:11], s[0:1], 0x30
	v_add_co_u32 v31, null, 0x5384540f, v11
	s_delay_alu instid0(VALU_DEP_3) | instskip(SKIP_1) | instid1(VALU_DEP_4)
	v_mad_u64_u32 v[6:7], null, 0xcd9e8d57, v8, 0
	v_add_co_u32 v35, null, 0x1fd5c5a3, v9
	v_xor3_b32 v3, v23, v5, v3
	v_add_co_u32 v34, null, 0xf1bbcdc8, v11
	v_add_co_u32 v36, null, 0xdb3d7428, v9
	v_xor3_b32 v5, v24, v7, v0
	s_delay_alu instid0(VALU_DEP_4)
	v_mad_u64_u32 v[0:1], null, 0xcd9e8d57, v3, 0
	s_add_u32 s12, s0, 48
	s_clause 0x1
	s_load_b64 s[14:15], s[0:1], 0xf4
	s_load_b64 s[18:19], s[0:1], 0x138
	v_mad_u64_u32 v[7:8], null, 0xd2511f53, v5, 0
	s_addc_u32 s13, s1, 0
	s_waitcnt lgkmcnt(0)
	s_add_i32 s22, s4, -1
	v_xor3_b32 v3, v25, v1, v6
	s_cmp_gt_u32 s22, 1
	v_add_nc_u32_e32 v37, 0x96a522ad, v12
	s_cselect_b32 s11, -1, 0
	v_xor3_b32 v5, v26, v8, v4
	v_mad_u64_u32 v[1:2], null, 0xd2511f53, v3, 0
	s_cmp_lg_u32 s4, 0
	v_mov_b32_e32 v39, v14
	s_delay_alu instid0(VALU_DEP_3) | instskip(SKIP_2) | instid1(VALU_DEP_3)
	v_mad_u64_u32 v[3:4], null, 0xcd9e8d57, v5, 0
	s_cselect_b32 s27, -1, 0
	s_add_u32 s20, s0, 0xf4
	v_xor3_b32 v2, v29, v2, v7
	s_addc_u32 s21, s1, 0
	s_min_u32 s0, s22, 15
	s_cmp_gt_u32 s4, 1
	s_delay_alu instid0(VALU_DEP_2) | instskip(SKIP_3) | instid1(VALU_DEP_2)
	v_xor3_b32 v0, v30, v4, v0
	v_mad_u64_u32 v[4:5], null, 0xcd9e8d57, v2, 0
	s_cselect_b32 s4, -1, 0
	s_add_i32 s0, s0, 1
	v_mad_u64_u32 v[6:7], null, 0xd2511f53, v0, 0
	s_and_b32 s28, s0, 3
	s_cmp_lg_u32 s22, 2
	s_delay_alu instid0(VALU_DEP_2) | instskip(SKIP_3) | instid1(VALU_DEP_2)
	v_xor3_b32 v2, v32, v5, v3
	s_cselect_b32 s29, -1, 0
	s_and_b32 s30, s0, 28
	s_cmp_lg_u32 s28, 0
	v_xor3_b32 v5, v33, v7, v1
	v_mad_u64_u32 v[0:1], null, 0xd2511f53, v2, 0
	s_mov_b32 s26, 0
	s_cselect_b32 s31, -1, 0
	s_delay_alu instid0(VALU_DEP_2) | instskip(NEXT) | instid1(VALU_DEP_2)
	v_mad_u64_u32 v[2:3], null, 0xcd9e8d57, v5, 0
	v_xor3_b32 v1, v35, v1, v6
	s_delay_alu instid0(VALU_DEP_2) | instskip(NEXT) | instid1(VALU_DEP_2)
	v_xor3_b32 v3, v31, v3, v4
	v_mad_u64_u32 v[4:5], null, 0xcd9e8d57, v1, 0
	s_delay_alu instid0(VALU_DEP_2) | instskip(NEXT) | instid1(VALU_DEP_2)
	v_mad_u64_u32 v[6:7], null, 0xd2511f53, v3, 0
	v_xor3_b32 v1, v34, v5, v2
	s_delay_alu instid0(VALU_DEP_2) | instskip(NEXT) | instid1(VALU_DEP_2)
	v_xor3_b32 v0, v36, v7, v0
	v_mad_u64_u32 v[7:8], null, 0xd2511f53, v1, 0
	s_delay_alu instid0(VALU_DEP_2) | instskip(NEXT) | instid1(VALU_DEP_2)
	v_mad_u64_u32 v[1:2], null, 0xcd9e8d57, v0, 0
	v_mov_b32_e32 v3, v7
	s_delay_alu instid0(VALU_DEP_2) | instskip(NEXT) | instid1(VALU_DEP_4)
	v_xor3_b32 v0, v2, v4, v28
	v_xor3_b32 v2, v8, v6, v37
	s_branch .LBB101_9
.LBB101_7:                              ;   in Loop: Header=BB101_9 Depth=1
	s_add_u32 s0, 0, 0xfef0e7
	s_addc_u32 s1, 0, 4
	s_mul_hi_u32 s23, s0, 0xfffffeff
	s_add_i32 s1, s1, 0xff00fb
	s_sub_i32 s23, s23, s0
	s_mul_i32 s34, s1, 0xfffffeff
	s_mul_i32 s22, s0, 0xfffffeff
	s_add_i32 s23, s23, s34
	s_mul_hi_u32 s35, s1, s22
	s_mul_i32 s34, s1, s22
	s_mul_i32 s36, s0, s23
	s_mul_hi_u32 s22, s0, s22
	s_mul_hi_u32 s37, s0, s23
	s_add_u32 s22, s22, s36
	s_addc_u32 s36, 0, s37
	s_mul_hi_u32 s37, s1, s23
	s_add_u32 s22, s22, s34
	s_addc_u32 s22, s36, s35
	s_mul_i32 s23, s1, s23
	s_addc_u32 s34, s37, 0
	s_add_u32 s22, s22, s23
	s_delay_alu instid0(SALU_CYCLE_1) | instskip(SKIP_3) | instid1(VALU_DEP_1)
	v_add_co_u32 v1, s0, s0, s22
	s_addc_u32 s22, 0, s34
	s_cmp_lg_u32 s0, 0
	s_addc_u32 s0, s1, s22
	v_mul_hi_u32 v16, v3, v1
	v_mad_u64_u32 v[7:8], null, v3, s0, 0
	v_mad_u64_u32 v[9:10], null, v2, v1, 0
	s_delay_alu instid0(VALU_DEP_2) | instskip(NEXT) | instid1(VALU_DEP_3)
	v_add_co_u32 v1, vcc_lo, v16, v7
	v_add_co_ci_u32_e32 v16, vcc_lo, 0, v8, vcc_lo
	v_mad_u64_u32 v[7:8], null, v2, s0, 0
	s_delay_alu instid0(VALU_DEP_3) | instskip(NEXT) | instid1(VALU_DEP_3)
	v_add_co_u32 v1, vcc_lo, v1, v9
	v_add_co_ci_u32_e32 v1, vcc_lo, v16, v10, vcc_lo
	s_delay_alu instid0(VALU_DEP_3) | instskip(NEXT) | instid1(VALU_DEP_2)
	v_add_co_ci_u32_e32 v8, vcc_lo, 0, v8, vcc_lo
	v_add_co_u32 v1, vcc_lo, v1, v7
	s_delay_alu instid0(VALU_DEP_2) | instskip(NEXT) | instid1(VALU_DEP_2)
	v_add_co_ci_u32_e32 v10, vcc_lo, 0, v8, vcc_lo
	v_mad_u64_u32 v[7:8], null, 0x101, v1, 0
	s_delay_alu instid0(VALU_DEP_1) | instskip(NEXT) | instid1(VALU_DEP_1)
	v_mov_b32_e32 v1, v8
	v_mad_u64_u32 v[8:9], null, 0x101, v10, v[1:2]
	s_delay_alu instid0(VALU_DEP_3) | instskip(NEXT) | instid1(VALU_DEP_2)
	v_sub_co_u32 v1, vcc_lo, v3, v7
	v_sub_co_ci_u32_e32 v2, vcc_lo, v2, v8, vcc_lo
	s_delay_alu instid0(VALU_DEP_2) | instskip(NEXT) | instid1(VALU_DEP_2)
	v_subrev_co_u32 v3, vcc_lo, 0x101, v1
	v_subrev_co_ci_u32_e32 v7, vcc_lo, 0, v2, vcc_lo
	s_delay_alu instid0(VALU_DEP_2) | instskip(SKIP_4) | instid1(VALU_DEP_4)
	v_cmp_lt_u32_e32 vcc_lo, 0x100, v3
	v_cndmask_b32_e64 v8, 0, -1, vcc_lo
	v_cmp_lt_u32_e32 vcc_lo, 0x100, v1
	v_cndmask_b32_e64 v9, 0, -1, vcc_lo
	v_cmp_eq_u32_e32 vcc_lo, 0, v7
	v_cndmask_b32_e32 v8, -1, v8, vcc_lo
	v_subrev_co_u32 v10, vcc_lo, 0x101, v3
	v_subrev_co_ci_u32_e32 v16, vcc_lo, 0, v7, vcc_lo
	v_cmp_eq_u32_e32 vcc_lo, 0, v2
	v_cndmask_b32_e32 v9, -1, v9, vcc_lo
	v_cmp_ne_u32_e32 vcc_lo, 0, v8
	s_delay_alu instid0(VALU_DEP_2) | instskip(SKIP_2) | instid1(VALU_DEP_2)
	v_cmp_ne_u32_e64 s0, 0, v9
	v_cndmask_b32_e32 v7, v7, v16, vcc_lo
	v_cndmask_b32_e32 v3, v3, v10, vcc_lo
	v_cndmask_b32_e64 v2, v2, v7, s0
	s_delay_alu instid0(VALU_DEP_2) | instskip(NEXT) | instid1(VALU_DEP_2)
	v_cndmask_b32_e64 v1, v1, v3, s0
	v_clz_i32_u32_e32 v7, v2
	s_delay_alu instid0(VALU_DEP_1) | instskip(NEXT) | instid1(VALU_DEP_1)
	v_min_u32_e32 v3, 32, v7
	v_lshlrev_b64 v[1:2], v3, v[1:2]
	s_delay_alu instid0(VALU_DEP_1) | instskip(NEXT) | instid1(VALU_DEP_1)
	v_min_u32_e32 v1, 1, v1
	v_or_b32_e32 v1, v2, v1
	v_sub_nc_u32_e32 v2, 32, v3
	s_delay_alu instid0(VALU_DEP_2) | instskip(NEXT) | instid1(VALU_DEP_1)
	v_cvt_f32_u32_e32 v1, v1
	v_ldexp_f32 v1, v1, v2
	s_delay_alu instid0(VALU_DEP_1) | instskip(NEXT) | instid1(VALU_DEP_1)
	v_bfe_u32 v2, v1, 16, 1
	v_add3_u32 v1, v1, v2, 0x7fff
	global_store_d16_hi_b16 v0, v1, s[18:19]
.LBB101_8:                              ;   in Loop: Header=BB101_9 Depth=1
	s_or_b32 exec_lo, exec_lo, s33
	v_add_co_u32 v13, vcc_lo, v13, s25
	v_add_co_ci_u32_e32 v14, vcc_lo, 0, v14, vcc_lo
	v_mov_b32_e32 v7, v15
	v_dual_mov_b32 v0, v4 :: v_dual_mov_b32 v1, v5
	s_delay_alu instid0(VALU_DEP_3) | instskip(NEXT) | instid1(VALU_DEP_3)
	v_cmp_le_i64_e32 vcc_lo, s[2:3], v[13:14]
	v_dual_mov_b32 v2, v6 :: v_dual_mov_b32 v3, v7
	s_waitcnt_vscnt null, 0x0
	s_barrier
	buffer_gl0_inv
	s_or_b32 s26, vcc_lo, s26
	s_delay_alu instid0(SALU_CYCLE_1)
	s_and_not1_b32 exec_lo, exec_lo, s26
	s_cbranch_execz .LBB101_48
.LBB101_9:                              ; =>This Loop Header: Depth=1
                                        ;     Child Loop BB101_24 Depth 2
                                        ;     Child Loop BB101_29 Depth 2
                                        ;     Child Loop BB101_39 Depth 2
                                        ;     Child Loop BB101_44 Depth 2
	v_add_co_u32 v17, vcc_lo, v17, 1
	s_delay_alu instid0(VALU_DEP_1) | instskip(SKIP_2) | instid1(VALU_DEP_1)
	v_cndmask_b32_e64 v4, 0, 1, vcc_lo
	v_add_co_ci_u32_e32 v18, vcc_lo, 0, v18, vcc_lo
	s_mov_b32 s0, exec_lo
	v_cmp_eq_u32_e32 vcc_lo, 0, v18
	s_delay_alu instid0(VALU_DEP_3) | instskip(NEXT) | instid1(VALU_DEP_1)
	v_cndmask_b32_e32 v4, 0, v4, vcc_lo
	v_add_nc_u32_e32 v38, v4, v38
	s_delay_alu instid0(VALU_DEP_1) | instskip(SKIP_2) | instid1(VALU_DEP_2)
	v_cmp_eq_u32_e32 vcc_lo, 0, v38
	v_mad_u64_u32 v[6:7], null, 0xcd9e8d57, v38, 0
	v_cndmask_b32_e32 v4, 0, v4, vcc_lo
	v_xor3_b32 v9, v7, v11, v18
	s_delay_alu instid0(VALU_DEP_2) | instskip(SKIP_1) | instid1(VALU_DEP_3)
	v_add_nc_u32_e32 v39, v4, v39
	v_mad_u64_u32 v[4:5], null, 0xd2511f53, v17, 0
	v_mad_u64_u32 v[7:8], null, 0xd2511f53, v9, 0
	s_delay_alu instid0(VALU_DEP_2) | instskip(NEXT) | instid1(VALU_DEP_2)
	v_xor_b32_e32 v5, v5, v12
	v_xor3_b32 v8, v19, v8, v4
	s_delay_alu instid0(VALU_DEP_2) | instskip(NEXT) | instid1(VALU_DEP_1)
	v_xor_b32_e32 v5, v39, v5
	v_mad_u64_u32 v[9:10], null, 0xcd9e8d57, v5, 0
	s_delay_alu instid0(VALU_DEP_3) | instskip(NEXT) | instid1(VALU_DEP_2)
	v_mad_u64_u32 v[4:5], null, 0xcd9e8d57, v8, 0
	v_xor3_b32 v6, v20, v10, v6
	s_delay_alu instid0(VALU_DEP_2) | instskip(NEXT) | instid1(VALU_DEP_2)
	v_xor3_b32 v8, v21, v5, v9
	v_mad_u64_u32 v[15:16], null, 0xd2511f53, v6, 0
	s_delay_alu instid0(VALU_DEP_2) | instskip(NEXT) | instid1(VALU_DEP_2)
	v_mad_u64_u32 v[5:6], null, 0xd2511f53, v8, 0
	v_xor3_b32 v9, v22, v16, v7
	s_delay_alu instid0(VALU_DEP_2) | instskip(NEXT) | instid1(VALU_DEP_2)
	v_xor3_b32 v6, v23, v6, v15
	v_mad_u64_u32 v[7:8], null, 0xcd9e8d57, v9, 0
	s_delay_alu instid0(VALU_DEP_1) | instskip(NEXT) | instid1(VALU_DEP_3)
	v_xor3_b32 v4, v24, v8, v4
	v_mad_u64_u32 v[8:9], null, 0xcd9e8d57, v6, 0
	s_delay_alu instid0(VALU_DEP_2) | instskip(NEXT) | instid1(VALU_DEP_2)
	v_mad_u64_u32 v[15:16], null, 0xd2511f53, v4, 0
	v_xor3_b32 v6, v25, v9, v7
	s_delay_alu instid0(VALU_DEP_2) | instskip(NEXT) | instid1(VALU_DEP_2)
	v_xor3_b32 v9, v26, v16, v5
	v_mad_u64_u32 v[4:5], null, 0xd2511f53, v6, 0
	s_delay_alu instid0(VALU_DEP_2) | instskip(NEXT) | instid1(VALU_DEP_2)
	v_mad_u64_u32 v[6:7], null, 0xcd9e8d57, v9, 0
	v_xor3_b32 v5, v29, v5, v15
	s_delay_alu instid0(VALU_DEP_2) | instskip(NEXT) | instid1(VALU_DEP_2)
	;; [unrolled: 6-line block ×6, first 2 shown]
	v_xor3_b32 v4, v6, v7, v28
	v_mov_b32_e32 v6, v10
	v_cmpx_lt_i32_e32 1, v27
	s_xor_b32 s0, exec_lo, s0
	s_cbranch_execnz .LBB101_12
; %bb.10:                               ;   in Loop: Header=BB101_9 Depth=1
	s_and_not1_saveexec_b32 s0, s0
	s_cbranch_execnz .LBB101_17
.LBB101_11:                             ;   in Loop: Header=BB101_9 Depth=1
	s_or_b32 exec_lo, exec_lo, s0
	s_delay_alu instid0(SALU_CYCLE_1)
	s_mov_b32 s33, exec_lo
	v_cmpx_gt_i64_e64 s[16:17], v[13:14]
	s_cbranch_execnz .LBB101_20
	s_branch .LBB101_34
.LBB101_12:                             ;   in Loop: Header=BB101_9 Depth=1
	s_mov_b32 s1, exec_lo
	v_cmpx_lt_i32_e32 2, v27
	s_xor_b32 s1, exec_lo, s1
; %bb.13:                               ;   in Loop: Header=BB101_9 Depth=1
	v_dual_mov_b32 v7, v3 :: v_dual_mov_b32 v8, v4
	v_mov_b32_e32 v9, v5
	s_delay_alu instid0(VALU_DEP_2) | instskip(NEXT) | instid1(VALU_DEP_2)
	v_dual_mov_b32 v0, v7 :: v_dual_mov_b32 v1, v8
	v_dual_mov_b32 v2, v9 :: v_dual_mov_b32 v3, v10
; %bb.14:                               ;   in Loop: Header=BB101_9 Depth=1
	s_and_not1_saveexec_b32 s1, s1
; %bb.15:                               ;   in Loop: Header=BB101_9 Depth=1
	s_delay_alu instid0(VALU_DEP_1)
	v_dual_mov_b32 v0, v2 :: v_dual_mov_b32 v1, v3
	v_dual_mov_b32 v2, v4 :: v_dual_mov_b32 v3, v5
; %bb.16:                               ;   in Loop: Header=BB101_9 Depth=1
	s_or_b32 exec_lo, exec_lo, s1
	s_and_not1_saveexec_b32 s0, s0
	s_cbranch_execz .LBB101_11
.LBB101_17:                             ;   in Loop: Header=BB101_9 Depth=1
	s_mov_b32 s1, exec_lo
	v_cmpx_eq_u32_e32 1, v27
; %bb.18:                               ;   in Loop: Header=BB101_9 Depth=1
	v_dual_mov_b32 v0, v1 :: v_dual_mov_b32 v1, v2
	v_dual_mov_b32 v2, v3 :: v_dual_mov_b32 v3, v4
; %bb.19:                               ;   in Loop: Header=BB101_9 Depth=1
	s_or_b32 exec_lo, exec_lo, s1
	s_delay_alu instid0(SALU_CYCLE_1) | instskip(NEXT) | instid1(SALU_CYCLE_1)
	s_or_b32 exec_lo, exec_lo, s0
	s_mov_b32 s33, exec_lo
	v_cmpx_gt_i64_e64 s[16:17], v[13:14]
	s_cbranch_execz .LBB101_34
.LBB101_20:                             ;   in Loop: Header=BB101_9 Depth=1
	s_and_not1_b32 vcc_lo, exec_lo, s11
	s_cbranch_vccnz .LBB101_26
; %bb.21:                               ;   in Loop: Header=BB101_9 Depth=1
	v_mov_b32_e32 v7, 0
	s_and_not1_b32 vcc_lo, exec_lo, s27
	s_cbranch_vccnz .LBB101_30
; %bb.22:                               ;   in Loop: Header=BB101_9 Depth=1
	s_and_not1_b32 vcc_lo, exec_lo, s29
	s_mov_b32 s0, 0
	s_cbranch_vccnz .LBB101_27
; %bb.23:                               ;   in Loop: Header=BB101_9 Depth=1
	v_dual_mov_b32 v7, 0 :: v_dual_mov_b32 v8, v13
	s_mov_b32 s34, 0
	s_mov_b64 s[0:1], s[12:13]
	s_mov_b64 s[22:23], s[20:21]
.LBB101_24:                             ;   Parent Loop BB101_9 Depth=1
                                        ; =>  This Inner Loop Header: Depth=2
	s_clause 0x1
	s_load_b256 s[36:43], s[0:1], 0x4
	s_load_b128 s[44:47], s[0:1], 0x24
	s_load_b128 s[48:51], s[22:23], 0x0
	s_add_u32 s0, s0, 48
	s_addc_u32 s1, s1, 0
	s_add_i32 s34, s34, 4
	s_add_u32 s22, s22, 16
	s_addc_u32 s23, s23, 0
	s_cmp_lg_u32 s30, s34
	s_waitcnt lgkmcnt(0)
	v_mul_hi_u32 v9, s37, v8
	s_delay_alu instid0(VALU_DEP_1) | instskip(NEXT) | instid1(VALU_DEP_1)
	v_add_nc_u32_e32 v9, v8, v9
	v_lshrrev_b32_e32 v9, s38, v9
	s_delay_alu instid0(VALU_DEP_1) | instskip(SKIP_1) | instid1(VALU_DEP_2)
	v_mul_hi_u32 v10, s40, v9
	v_mul_lo_u32 v41, v9, s36
	v_add_nc_u32_e32 v10, v9, v10
	s_delay_alu instid0(VALU_DEP_2) | instskip(NEXT) | instid1(VALU_DEP_2)
	v_sub_nc_u32_e32 v41, v8, v41
	v_lshrrev_b32_e32 v10, s41, v10
	s_delay_alu instid0(VALU_DEP_2) | instskip(NEXT) | instid1(VALU_DEP_2)
	v_mul_lo_u32 v41, v41, s48
	v_mul_hi_u32 v16, s43, v10
	v_mul_lo_u32 v42, v10, s39
	s_delay_alu instid0(VALU_DEP_2) | instskip(NEXT) | instid1(VALU_DEP_2)
	v_add_nc_u32_e32 v16, v10, v16
	v_sub_nc_u32_e32 v9, v9, v42
	s_delay_alu instid0(VALU_DEP_2) | instskip(NEXT) | instid1(VALU_DEP_2)
	v_lshrrev_b32_e32 v16, s44, v16
	v_mul_lo_u32 v9, v9, s49
	s_delay_alu instid0(VALU_DEP_2) | instskip(NEXT) | instid1(VALU_DEP_2)
	v_mul_hi_u32 v40, s46, v16
	v_add3_u32 v7, v41, v7, v9
	s_delay_alu instid0(VALU_DEP_2) | instskip(NEXT) | instid1(VALU_DEP_1)
	v_add_nc_u32_e32 v40, v16, v40
	v_lshrrev_b32_e32 v8, s47, v40
	v_mul_lo_u32 v40, v16, s42
	s_delay_alu instid0(VALU_DEP_2) | instskip(NEXT) | instid1(VALU_DEP_2)
	v_mul_lo_u32 v43, v8, s45
	v_sub_nc_u32_e32 v10, v10, v40
	s_delay_alu instid0(VALU_DEP_2) | instskip(NEXT) | instid1(VALU_DEP_2)
	v_sub_nc_u32_e32 v16, v16, v43
	v_mul_lo_u32 v10, v10, s50
	s_delay_alu instid0(VALU_DEP_2) | instskip(NEXT) | instid1(VALU_DEP_1)
	v_mul_lo_u32 v16, v16, s51
	v_add3_u32 v7, v10, v7, v16
	s_cbranch_scc1 .LBB101_24
; %bb.25:                               ;   in Loop: Header=BB101_9 Depth=1
	s_mov_b32 s0, s30
	s_and_not1_b32 vcc_lo, exec_lo, s31
	s_cbranch_vccz .LBB101_28
	s_branch .LBB101_30
.LBB101_26:                             ;   in Loop: Header=BB101_9 Depth=1
                                        ; implicit-def: $vgpr7
	s_branch .LBB101_31
.LBB101_27:                             ;   in Loop: Header=BB101_9 Depth=1
	v_mov_b32_e32 v8, v13
	s_and_not1_b32 vcc_lo, exec_lo, s31
	s_cbranch_vccnz .LBB101_30
.LBB101_28:                             ;   in Loop: Header=BB101_9 Depth=1
	s_lshl_b32 s1, s0, 2
	s_mul_i32 s22, s0, 12
	s_add_u32 s0, s20, s1
	s_addc_u32 s1, s21, 0
	s_add_u32 s22, s12, s22
	s_addc_u32 s23, s13, 0
	s_mov_b32 s34, s28
	.p2align	6
.LBB101_29:                             ;   Parent Loop BB101_9 Depth=1
                                        ; =>  This Inner Loop Header: Depth=2
	s_clause 0x1
	s_load_b64 s[36:37], s[22:23], 0x4
	s_load_b32 s35, s[22:23], 0xc
	s_add_u32 s22, s22, 12
	s_addc_u32 s23, s23, 0
	s_waitcnt lgkmcnt(0)
	v_mul_hi_u32 v9, s37, v8
	s_load_b32 s37, s[0:1], 0x0
	s_add_u32 s0, s0, 4
	s_addc_u32 s1, s1, 0
	s_add_i32 s34, s34, -1
	s_delay_alu instid0(SALU_CYCLE_1) | instskip(NEXT) | instid1(VALU_DEP_1)
	s_cmp_lg_u32 s34, 0
	v_add_nc_u32_e32 v9, v8, v9
	s_delay_alu instid0(VALU_DEP_1) | instskip(NEXT) | instid1(VALU_DEP_1)
	v_lshrrev_b32_e32 v16, s35, v9
	v_mul_lo_u32 v9, v16, s36
	s_delay_alu instid0(VALU_DEP_1) | instskip(SKIP_1) | instid1(VALU_DEP_1)
	v_sub_nc_u32_e32 v8, v8, v9
	s_waitcnt lgkmcnt(0)
	v_mad_u64_u32 v[9:10], null, v8, s37, v[7:8]
	s_delay_alu instid0(VALU_DEP_1)
	v_dual_mov_b32 v8, v16 :: v_dual_mov_b32 v7, v9
	s_cbranch_scc1 .LBB101_29
.LBB101_30:                             ;   in Loop: Header=BB101_9 Depth=1
	s_cbranch_execnz .LBB101_33
.LBB101_31:                             ;   in Loop: Header=BB101_9 Depth=1
	v_mul_hi_u32 v7, v13, s6
	s_and_not1_b32 vcc_lo, exec_lo, s4
	s_delay_alu instid0(VALU_DEP_1) | instskip(NEXT) | instid1(VALU_DEP_1)
	v_add_nc_u32_e32 v7, v7, v13
	v_lshrrev_b32_e32 v8, s7, v7
	s_delay_alu instid0(VALU_DEP_1) | instskip(NEXT) | instid1(VALU_DEP_1)
	v_mul_lo_u32 v7, v8, s5
	v_sub_nc_u32_e32 v7, v13, v7
	s_delay_alu instid0(VALU_DEP_1)
	v_mul_lo_u32 v7, v7, s14
	s_cbranch_vccnz .LBB101_33
; %bb.32:                               ;   in Loop: Header=BB101_9 Depth=1
	v_mul_hi_u32 v9, s9, v8
	s_delay_alu instid0(VALU_DEP_1) | instskip(NEXT) | instid1(VALU_DEP_1)
	v_add_nc_u32_e32 v9, v8, v9
	v_lshrrev_b32_e32 v9, s10, v9
	s_delay_alu instid0(VALU_DEP_1) | instskip(NEXT) | instid1(VALU_DEP_1)
	v_mul_lo_u32 v9, v9, s8
	v_sub_nc_u32_e32 v10, v8, v9
	s_delay_alu instid0(VALU_DEP_1) | instskip(NEXT) | instid1(VALU_DEP_1)
	v_mad_u64_u32 v[8:9], null, v10, s15, v[7:8]
	v_mov_b32_e32 v7, v8
.LBB101_33:                             ;   in Loop: Header=BB101_9 Depth=1
	s_add_u32 s0, 0, 0xfef0e7
	s_addc_u32 s1, 0, 4
	s_mul_hi_u32 s23, s0, 0xfffffeff
	s_add_i32 s1, s1, 0xff00fb
	s_sub_i32 s23, s23, s0
	s_mul_i32 s34, s1, 0xfffffeff
	s_mul_i32 s22, s0, 0xfffffeff
	s_add_i32 s23, s23, s34
	s_mul_hi_u32 s35, s1, s22
	s_mul_i32 s34, s1, s22
	s_mul_i32 s36, s0, s23
	s_mul_hi_u32 s22, s0, s22
	s_mul_hi_u32 s37, s0, s23
	s_add_u32 s22, s22, s36
	s_addc_u32 s36, 0, s37
	s_mul_hi_u32 s37, s1, s23
	s_add_u32 s22, s22, s34
	s_addc_u32 s22, s36, s35
	s_mul_i32 s23, s1, s23
	s_addc_u32 s34, s37, 0
	s_add_u32 s22, s22, s23
	s_delay_alu instid0(SALU_CYCLE_1) | instskip(SKIP_3) | instid1(VALU_DEP_1)
	v_add_co_u32 v10, s0, s0, s22
	s_addc_u32 s22, 0, s34
	s_cmp_lg_u32 s0, 0
	s_addc_u32 s0, s1, s22
	v_mul_hi_u32 v16, v1, v10
	v_mad_u64_u32 v[8:9], null, v1, s0, 0
	v_mad_u64_u32 v[40:41], null, v0, v10, 0
	s_delay_alu instid0(VALU_DEP_2) | instskip(NEXT) | instid1(VALU_DEP_3)
	v_add_co_u32 v10, vcc_lo, v16, v8
	v_add_co_ci_u32_e32 v16, vcc_lo, 0, v9, vcc_lo
	v_mad_u64_u32 v[8:9], null, v0, s0, 0
	s_delay_alu instid0(VALU_DEP_3) | instskip(NEXT) | instid1(VALU_DEP_3)
	v_add_co_u32 v10, vcc_lo, v10, v40
	v_add_co_ci_u32_e32 v10, vcc_lo, v16, v41, vcc_lo
	s_delay_alu instid0(VALU_DEP_3) | instskip(NEXT) | instid1(VALU_DEP_2)
	v_add_co_ci_u32_e32 v9, vcc_lo, 0, v9, vcc_lo
	v_add_co_u32 v10, vcc_lo, v10, v8
	s_delay_alu instid0(VALU_DEP_2) | instskip(NEXT) | instid1(VALU_DEP_2)
	v_add_co_ci_u32_e32 v16, vcc_lo, 0, v9, vcc_lo
	v_mad_u64_u32 v[8:9], null, 0x101, v10, 0
	s_delay_alu instid0(VALU_DEP_1) | instskip(NEXT) | instid1(VALU_DEP_2)
	v_mad_u64_u32 v[40:41], null, 0x101, v16, v[9:10]
	v_sub_co_u32 v8, vcc_lo, v1, v8
	s_delay_alu instid0(VALU_DEP_2) | instskip(NEXT) | instid1(VALU_DEP_2)
	v_sub_co_ci_u32_e32 v0, vcc_lo, v0, v40, vcc_lo
	v_subrev_co_u32 v9, vcc_lo, 0x101, v8
	s_delay_alu instid0(VALU_DEP_2) | instskip(NEXT) | instid1(VALU_DEP_2)
	v_subrev_co_ci_u32_e32 v1, vcc_lo, 0, v0, vcc_lo
	v_cmp_lt_u32_e32 vcc_lo, 0x100, v9
	v_cndmask_b32_e64 v10, 0, -1, vcc_lo
	v_cmp_lt_u32_e32 vcc_lo, 0x100, v8
	v_cndmask_b32_e64 v16, 0, -1, vcc_lo
	v_cmp_eq_u32_e32 vcc_lo, 0, v1
	s_delay_alu instid0(VALU_DEP_4)
	v_cndmask_b32_e32 v10, -1, v10, vcc_lo
	v_subrev_co_u32 v40, vcc_lo, 0x101, v9
	v_subrev_co_ci_u32_e32 v41, vcc_lo, 0, v1, vcc_lo
	v_cmp_eq_u32_e32 vcc_lo, 0, v0
	v_cndmask_b32_e32 v16, -1, v16, vcc_lo
	v_cmp_ne_u32_e32 vcc_lo, 0, v10
	s_delay_alu instid0(VALU_DEP_2) | instskip(SKIP_1) | instid1(VALU_DEP_1)
	v_cmp_ne_u32_e64 s0, 0, v16
	v_cndmask_b32_e32 v1, v1, v41, vcc_lo
	v_cndmask_b32_e64 v1, v0, v1, s0
	v_cndmask_b32_e32 v0, v9, v40, vcc_lo
	s_delay_alu instid0(VALU_DEP_2) | instskip(NEXT) | instid1(VALU_DEP_2)
	v_clz_i32_u32_e32 v9, v1
	v_cndmask_b32_e64 v0, v8, v0, s0
	s_delay_alu instid0(VALU_DEP_2) | instskip(NEXT) | instid1(VALU_DEP_1)
	v_min_u32_e32 v8, 32, v9
	v_lshlrev_b64 v[0:1], v8, v[0:1]
	s_delay_alu instid0(VALU_DEP_1) | instskip(NEXT) | instid1(VALU_DEP_1)
	v_min_u32_e32 v0, 1, v0
	v_or_b32_e32 v0, v1, v0
	v_sub_nc_u32_e32 v1, 32, v8
	s_delay_alu instid0(VALU_DEP_2) | instskip(NEXT) | instid1(VALU_DEP_1)
	v_cvt_f32_u32_e32 v0, v0
	v_ldexp_f32 v0, v0, v1
	s_delay_alu instid0(VALU_DEP_1) | instskip(NEXT) | instid1(VALU_DEP_1)
	v_bfe_u32 v1, v0, 16, 1
	v_add3_u32 v0, v0, v1, 0x7fff
	global_store_d16_hi_b16 v7, v0, s[18:19]
.LBB101_34:                             ;   in Loop: Header=BB101_9 Depth=1
	s_or_b32 exec_lo, exec_lo, s33
	v_add_co_u32 v7, vcc_lo, v13, s24
	v_add_co_ci_u32_e32 v8, vcc_lo, 0, v14, vcc_lo
	s_mov_b32 s33, exec_lo
	s_delay_alu instid0(VALU_DEP_1)
	v_cmpx_gt_i64_e64 s[16:17], v[7:8]
	s_cbranch_execz .LBB101_8
; %bb.35:                               ;   in Loop: Header=BB101_9 Depth=1
	s_and_not1_b32 vcc_lo, exec_lo, s11
	s_cbranch_vccnz .LBB101_41
; %bb.36:                               ;   in Loop: Header=BB101_9 Depth=1
	v_mov_b32_e32 v0, 0
	s_and_not1_b32 vcc_lo, exec_lo, s27
	s_cbranch_vccnz .LBB101_45
; %bb.37:                               ;   in Loop: Header=BB101_9 Depth=1
	s_and_not1_b32 vcc_lo, exec_lo, s29
	s_mov_b32 s0, 0
	s_cbranch_vccnz .LBB101_42
; %bb.38:                               ;   in Loop: Header=BB101_9 Depth=1
	v_dual_mov_b32 v0, 0 :: v_dual_mov_b32 v1, v7
	s_mov_b32 s34, 0
	s_mov_b64 s[0:1], s[12:13]
	s_mov_b64 s[22:23], s[20:21]
.LBB101_39:                             ;   Parent Loop BB101_9 Depth=1
                                        ; =>  This Inner Loop Header: Depth=2
	s_clause 0x1
	s_load_b256 s[36:43], s[0:1], 0x4
	s_load_b128 s[44:47], s[0:1], 0x24
	s_load_b128 s[48:51], s[22:23], 0x0
	s_add_u32 s0, s0, 48
	s_addc_u32 s1, s1, 0
	s_add_i32 s34, s34, 4
	s_add_u32 s22, s22, 16
	s_addc_u32 s23, s23, 0
	s_cmp_eq_u32 s30, s34
	s_waitcnt lgkmcnt(0)
	v_mul_hi_u32 v8, s37, v1
	s_delay_alu instid0(VALU_DEP_1) | instskip(NEXT) | instid1(VALU_DEP_1)
	v_add_nc_u32_e32 v8, v1, v8
	v_lshrrev_b32_e32 v8, s38, v8
	s_delay_alu instid0(VALU_DEP_1) | instskip(SKIP_1) | instid1(VALU_DEP_2)
	v_mul_hi_u32 v9, s40, v8
	v_mul_lo_u32 v40, v8, s36
	v_add_nc_u32_e32 v9, v8, v9
	s_delay_alu instid0(VALU_DEP_2) | instskip(NEXT) | instid1(VALU_DEP_2)
	v_sub_nc_u32_e32 v40, v1, v40
	v_lshrrev_b32_e32 v9, s41, v9
	s_delay_alu instid0(VALU_DEP_2) | instskip(NEXT) | instid1(VALU_DEP_2)
	v_mul_lo_u32 v40, v40, s48
	v_mul_hi_u32 v10, s43, v9
	v_mul_lo_u32 v41, v9, s39
	s_delay_alu instid0(VALU_DEP_2) | instskip(NEXT) | instid1(VALU_DEP_2)
	v_add_nc_u32_e32 v10, v9, v10
	v_sub_nc_u32_e32 v8, v8, v41
	s_delay_alu instid0(VALU_DEP_2) | instskip(NEXT) | instid1(VALU_DEP_2)
	v_lshrrev_b32_e32 v10, s44, v10
	v_mul_lo_u32 v8, v8, s49
	s_delay_alu instid0(VALU_DEP_2) | instskip(NEXT) | instid1(VALU_DEP_2)
	v_mul_hi_u32 v16, s46, v10
	v_add3_u32 v0, v40, v0, v8
	s_delay_alu instid0(VALU_DEP_2) | instskip(NEXT) | instid1(VALU_DEP_1)
	v_add_nc_u32_e32 v16, v10, v16
	v_lshrrev_b32_e32 v1, s47, v16
	v_mul_lo_u32 v16, v10, s42
	s_delay_alu instid0(VALU_DEP_2) | instskip(NEXT) | instid1(VALU_DEP_2)
	v_mul_lo_u32 v42, v1, s45
	v_sub_nc_u32_e32 v9, v9, v16
	s_delay_alu instid0(VALU_DEP_2) | instskip(NEXT) | instid1(VALU_DEP_2)
	v_sub_nc_u32_e32 v10, v10, v42
	v_mul_lo_u32 v9, v9, s50
	s_delay_alu instid0(VALU_DEP_2) | instskip(NEXT) | instid1(VALU_DEP_1)
	v_mul_lo_u32 v10, v10, s51
	v_add3_u32 v0, v9, v0, v10
	s_cbranch_scc0 .LBB101_39
; %bb.40:                               ;   in Loop: Header=BB101_9 Depth=1
	s_mov_b32 s0, s30
	s_and_not1_b32 vcc_lo, exec_lo, s31
	s_cbranch_vccz .LBB101_43
	s_branch .LBB101_45
.LBB101_41:                             ;   in Loop: Header=BB101_9 Depth=1
                                        ; implicit-def: $vgpr0
	s_branch .LBB101_46
.LBB101_42:                             ;   in Loop: Header=BB101_9 Depth=1
	v_mov_b32_e32 v1, v7
	s_and_not1_b32 vcc_lo, exec_lo, s31
	s_cbranch_vccnz .LBB101_45
.LBB101_43:                             ;   in Loop: Header=BB101_9 Depth=1
	s_lshl_b32 s1, s0, 2
	s_mul_i32 s22, s0, 12
	s_add_u32 s0, s20, s1
	s_addc_u32 s1, s21, 0
	s_add_u32 s22, s12, s22
	s_addc_u32 s23, s13, 0
	s_mov_b32 s34, s28
	.p2align	6
.LBB101_44:                             ;   Parent Loop BB101_9 Depth=1
                                        ; =>  This Inner Loop Header: Depth=2
	s_clause 0x1
	s_load_b64 s[36:37], s[22:23], 0x4
	s_load_b32 s35, s[22:23], 0xc
	s_add_u32 s22, s22, 12
	s_addc_u32 s23, s23, 0
	s_waitcnt lgkmcnt(0)
	v_mul_hi_u32 v8, s37, v1
	s_load_b32 s37, s[0:1], 0x0
	s_add_u32 s0, s0, 4
	s_addc_u32 s1, s1, 0
	s_add_i32 s34, s34, -1
	s_delay_alu instid0(SALU_CYCLE_1) | instskip(NEXT) | instid1(VALU_DEP_1)
	s_cmp_lg_u32 s34, 0
	v_add_nc_u32_e32 v8, v1, v8
	s_delay_alu instid0(VALU_DEP_1) | instskip(NEXT) | instid1(VALU_DEP_1)
	v_lshrrev_b32_e32 v10, s35, v8
	v_mul_lo_u32 v8, v10, s36
	s_delay_alu instid0(VALU_DEP_1) | instskip(SKIP_1) | instid1(VALU_DEP_1)
	v_sub_nc_u32_e32 v1, v1, v8
	s_waitcnt lgkmcnt(0)
	v_mad_u64_u32 v[8:9], null, v1, s37, v[0:1]
	s_delay_alu instid0(VALU_DEP_1)
	v_dual_mov_b32 v1, v10 :: v_dual_mov_b32 v0, v8
	s_cbranch_scc1 .LBB101_44
.LBB101_45:                             ;   in Loop: Header=BB101_9 Depth=1
	s_cbranch_execnz .LBB101_7
.LBB101_46:                             ;   in Loop: Header=BB101_9 Depth=1
	v_mul_hi_u32 v0, v7, s6
	s_and_not1_b32 vcc_lo, exec_lo, s4
	s_delay_alu instid0(VALU_DEP_1) | instskip(NEXT) | instid1(VALU_DEP_1)
	v_add_nc_u32_e32 v0, v0, v7
	v_lshrrev_b32_e32 v1, s7, v0
	s_delay_alu instid0(VALU_DEP_1) | instskip(NEXT) | instid1(VALU_DEP_1)
	v_mul_lo_u32 v0, v1, s5
	v_sub_nc_u32_e32 v0, v7, v0
	s_delay_alu instid0(VALU_DEP_1)
	v_mul_lo_u32 v0, v0, s14
	s_cbranch_vccnz .LBB101_7
; %bb.47:                               ;   in Loop: Header=BB101_9 Depth=1
	v_mul_hi_u32 v7, s9, v1
	s_delay_alu instid0(VALU_DEP_1) | instskip(NEXT) | instid1(VALU_DEP_1)
	v_add_nc_u32_e32 v7, v1, v7
	v_lshrrev_b32_e32 v7, s10, v7
	s_delay_alu instid0(VALU_DEP_1) | instskip(NEXT) | instid1(VALU_DEP_1)
	v_mul_lo_u32 v7, v7, s8
	v_sub_nc_u32_e32 v1, v1, v7
	s_delay_alu instid0(VALU_DEP_1) | instskip(NEXT) | instid1(VALU_DEP_1)
	v_mad_u64_u32 v[7:8], null, v1, s15, v[0:1]
	v_mov_b32_e32 v0, v7
	s_branch .LBB101_7
.LBB101_48:
	s_endpgm
.LBB101_49:
                                        ; implicit-def: $sgpr2_sgpr3
	s_branch .LBB101_4
	.section	.rodata,"a",@progbits
	.p2align	6, 0x0
	.amdhsa_kernel _ZN2at6native12_GLOBAL__N_143distribution_elementwise_grid_stride_kernelImLi2EZZZNS0_9templates4cuda13random_kernelIPNS_17CUDAGeneratorImplEEEvRNS_18TensorIteratorBaseET_ENKUlvE_clEvENKUlvE7_clEvEUlP25hiprandStatePhilox4_32_10E_ZNS1_27distribution_nullary_kernelIN3c108BFloat16Em15HIP_vector_typeIyLj2EES7_SF_ZZZNS5_IS7_EEvS9_SA_ENKSB_clEvENKSC_clEvEUlmE_EEvS9_T2_RKT3_T4_EUlimE0_EEvlNS_15PhiloxCudaStateET1_SM_
		.amdhsa_group_segment_fixed_size 0
		.amdhsa_private_segment_fixed_size 0
		.amdhsa_kernarg_size 584
		.amdhsa_user_sgpr_count 15
		.amdhsa_user_sgpr_dispatch_ptr 0
		.amdhsa_user_sgpr_queue_ptr 0
		.amdhsa_user_sgpr_kernarg_segment_ptr 1
		.amdhsa_user_sgpr_dispatch_id 0
		.amdhsa_user_sgpr_private_segment_size 0
		.amdhsa_wavefront_size32 1
		.amdhsa_uses_dynamic_stack 0
		.amdhsa_enable_private_segment 0
		.amdhsa_system_sgpr_workgroup_id_x 1
		.amdhsa_system_sgpr_workgroup_id_y 0
		.amdhsa_system_sgpr_workgroup_id_z 0
		.amdhsa_system_sgpr_workgroup_info 0
		.amdhsa_system_vgpr_workitem_id 0
		.amdhsa_next_free_vgpr 44
		.amdhsa_next_free_sgpr 52
		.amdhsa_reserve_vcc 1
		.amdhsa_float_round_mode_32 0
		.amdhsa_float_round_mode_16_64 0
		.amdhsa_float_denorm_mode_32 3
		.amdhsa_float_denorm_mode_16_64 3
		.amdhsa_dx10_clamp 1
		.amdhsa_ieee_mode 1
		.amdhsa_fp16_overflow 0
		.amdhsa_workgroup_processor_mode 1
		.amdhsa_memory_ordered 1
		.amdhsa_forward_progress 0
		.amdhsa_shared_vgpr_count 0
		.amdhsa_exception_fp_ieee_invalid_op 0
		.amdhsa_exception_fp_denorm_src 0
		.amdhsa_exception_fp_ieee_div_zero 0
		.amdhsa_exception_fp_ieee_overflow 0
		.amdhsa_exception_fp_ieee_underflow 0
		.amdhsa_exception_fp_ieee_inexact 0
		.amdhsa_exception_int_div_zero 0
	.end_amdhsa_kernel
	.section	.text._ZN2at6native12_GLOBAL__N_143distribution_elementwise_grid_stride_kernelImLi2EZZZNS0_9templates4cuda13random_kernelIPNS_17CUDAGeneratorImplEEEvRNS_18TensorIteratorBaseET_ENKUlvE_clEvENKUlvE7_clEvEUlP25hiprandStatePhilox4_32_10E_ZNS1_27distribution_nullary_kernelIN3c108BFloat16Em15HIP_vector_typeIyLj2EES7_SF_ZZZNS5_IS7_EEvS9_SA_ENKSB_clEvENKSC_clEvEUlmE_EEvS9_T2_RKT3_T4_EUlimE0_EEvlNS_15PhiloxCudaStateET1_SM_,"axG",@progbits,_ZN2at6native12_GLOBAL__N_143distribution_elementwise_grid_stride_kernelImLi2EZZZNS0_9templates4cuda13random_kernelIPNS_17CUDAGeneratorImplEEEvRNS_18TensorIteratorBaseET_ENKUlvE_clEvENKUlvE7_clEvEUlP25hiprandStatePhilox4_32_10E_ZNS1_27distribution_nullary_kernelIN3c108BFloat16Em15HIP_vector_typeIyLj2EES7_SF_ZZZNS5_IS7_EEvS9_SA_ENKSB_clEvENKSC_clEvEUlmE_EEvS9_T2_RKT3_T4_EUlimE0_EEvlNS_15PhiloxCudaStateET1_SM_,comdat
.Lfunc_end101:
	.size	_ZN2at6native12_GLOBAL__N_143distribution_elementwise_grid_stride_kernelImLi2EZZZNS0_9templates4cuda13random_kernelIPNS_17CUDAGeneratorImplEEEvRNS_18TensorIteratorBaseET_ENKUlvE_clEvENKUlvE7_clEvEUlP25hiprandStatePhilox4_32_10E_ZNS1_27distribution_nullary_kernelIN3c108BFloat16Em15HIP_vector_typeIyLj2EES7_SF_ZZZNS5_IS7_EEvS9_SA_ENKSB_clEvENKSC_clEvEUlmE_EEvS9_T2_RKT3_T4_EUlimE0_EEvlNS_15PhiloxCudaStateET1_SM_, .Lfunc_end101-_ZN2at6native12_GLOBAL__N_143distribution_elementwise_grid_stride_kernelImLi2EZZZNS0_9templates4cuda13random_kernelIPNS_17CUDAGeneratorImplEEEvRNS_18TensorIteratorBaseET_ENKUlvE_clEvENKUlvE7_clEvEUlP25hiprandStatePhilox4_32_10E_ZNS1_27distribution_nullary_kernelIN3c108BFloat16Em15HIP_vector_typeIyLj2EES7_SF_ZZZNS5_IS7_EEvS9_SA_ENKSB_clEvENKSC_clEvEUlmE_EEvS9_T2_RKT3_T4_EUlimE0_EEvlNS_15PhiloxCudaStateET1_SM_
                                        ; -- End function
	.section	.AMDGPU.csdata,"",@progbits
; Kernel info:
; codeLenInByte = 4752
; NumSgprs: 54
; NumVgprs: 44
; ScratchSize: 0
; MemoryBound: 0
; FloatMode: 240
; IeeeMode: 1
; LDSByteSize: 0 bytes/workgroup (compile time only)
; SGPRBlocks: 6
; VGPRBlocks: 5
; NumSGPRsForWavesPerEU: 54
; NumVGPRsForWavesPerEU: 44
; Occupancy: 16
; WaveLimiterHint : 1
; COMPUTE_PGM_RSRC2:SCRATCH_EN: 0
; COMPUTE_PGM_RSRC2:USER_SGPR: 15
; COMPUTE_PGM_RSRC2:TRAP_HANDLER: 0
; COMPUTE_PGM_RSRC2:TGID_X_EN: 1
; COMPUTE_PGM_RSRC2:TGID_Y_EN: 0
; COMPUTE_PGM_RSRC2:TGID_Z_EN: 0
; COMPUTE_PGM_RSRC2:TIDIG_COMP_CNT: 0
	.section	.text._ZN2at6native12_GLOBAL__N_143distribution_elementwise_grid_stride_kernelIjLi4EZZZNS0_9templates4cuda13random_kernelIPNS_17CUDAGeneratorImplEEEvRNS_18TensorIteratorBaseET_ENKUlvE_clEvENKUlvE7_clEvEUlP25hiprandStatePhilox4_32_10E0_ZNS1_27distribution_nullary_kernelIN3c108BFloat16Ej15HIP_vector_typeIjLj4EES7_SF_ZZZNS5_IS7_EEvS9_SA_ENKSB_clEvENKSC_clEvEUljE_EEvS9_T2_RKT3_T4_EUlijE_EEvlNS_15PhiloxCudaStateET1_SM_,"axG",@progbits,_ZN2at6native12_GLOBAL__N_143distribution_elementwise_grid_stride_kernelIjLi4EZZZNS0_9templates4cuda13random_kernelIPNS_17CUDAGeneratorImplEEEvRNS_18TensorIteratorBaseET_ENKUlvE_clEvENKUlvE7_clEvEUlP25hiprandStatePhilox4_32_10E0_ZNS1_27distribution_nullary_kernelIN3c108BFloat16Ej15HIP_vector_typeIjLj4EES7_SF_ZZZNS5_IS7_EEvS9_SA_ENKSB_clEvENKSC_clEvEUljE_EEvS9_T2_RKT3_T4_EUlijE_EEvlNS_15PhiloxCudaStateET1_SM_,comdat
	.globl	_ZN2at6native12_GLOBAL__N_143distribution_elementwise_grid_stride_kernelIjLi4EZZZNS0_9templates4cuda13random_kernelIPNS_17CUDAGeneratorImplEEEvRNS_18TensorIteratorBaseET_ENKUlvE_clEvENKUlvE7_clEvEUlP25hiprandStatePhilox4_32_10E0_ZNS1_27distribution_nullary_kernelIN3c108BFloat16Ej15HIP_vector_typeIjLj4EES7_SF_ZZZNS5_IS7_EEvS9_SA_ENKSB_clEvENKSC_clEvEUljE_EEvS9_T2_RKT3_T4_EUlijE_EEvlNS_15PhiloxCudaStateET1_SM_ ; -- Begin function _ZN2at6native12_GLOBAL__N_143distribution_elementwise_grid_stride_kernelIjLi4EZZZNS0_9templates4cuda13random_kernelIPNS_17CUDAGeneratorImplEEEvRNS_18TensorIteratorBaseET_ENKUlvE_clEvENKUlvE7_clEvEUlP25hiprandStatePhilox4_32_10E0_ZNS1_27distribution_nullary_kernelIN3c108BFloat16Ej15HIP_vector_typeIjLj4EES7_SF_ZZZNS5_IS7_EEvS9_SA_ENKSB_clEvENKSC_clEvEUljE_EEvS9_T2_RKT3_T4_EUlijE_EEvlNS_15PhiloxCudaStateET1_SM_
	.p2align	8
	.type	_ZN2at6native12_GLOBAL__N_143distribution_elementwise_grid_stride_kernelIjLi4EZZZNS0_9templates4cuda13random_kernelIPNS_17CUDAGeneratorImplEEEvRNS_18TensorIteratorBaseET_ENKUlvE_clEvENKUlvE7_clEvEUlP25hiprandStatePhilox4_32_10E0_ZNS1_27distribution_nullary_kernelIN3c108BFloat16Ej15HIP_vector_typeIjLj4EES7_SF_ZZZNS5_IS7_EEvS9_SA_ENKSB_clEvENKSC_clEvEUljE_EEvS9_T2_RKT3_T4_EUlijE_EEvlNS_15PhiloxCudaStateET1_SM_,@function
_ZN2at6native12_GLOBAL__N_143distribution_elementwise_grid_stride_kernelIjLi4EZZZNS0_9templates4cuda13random_kernelIPNS_17CUDAGeneratorImplEEEvRNS_18TensorIteratorBaseET_ENKUlvE_clEvENKUlvE7_clEvEUlP25hiprandStatePhilox4_32_10E0_ZNS1_27distribution_nullary_kernelIN3c108BFloat16Ej15HIP_vector_typeIjLj4EES7_SF_ZZZNS5_IS7_EEvS9_SA_ENKSB_clEvENKSC_clEvEUljE_EEvS9_T2_RKT3_T4_EUlijE_EEvlNS_15PhiloxCudaStateET1_SM_: ; @_ZN2at6native12_GLOBAL__N_143distribution_elementwise_grid_stride_kernelIjLi4EZZZNS0_9templates4cuda13random_kernelIPNS_17CUDAGeneratorImplEEEvRNS_18TensorIteratorBaseET_ENKUlvE_clEvENKUlvE7_clEvEUlP25hiprandStatePhilox4_32_10E0_ZNS1_27distribution_nullary_kernelIN3c108BFloat16Ej15HIP_vector_typeIjLj4EES7_SF_ZZZNS5_IS7_EEvS9_SA_ENKSB_clEvENKSC_clEvEUljE_EEvS9_T2_RKT3_T4_EUlijE_EEvlNS_15PhiloxCudaStateET1_SM_
; %bb.0:
	s_clause 0x2
	s_load_b64 s[8:9], s[0:1], 0x10
	s_load_b128 s[4:7], s[0:1], 0x0
	s_load_b32 s2, s[0:1], 0x20
	s_waitcnt lgkmcnt(0)
	v_dual_mov_b32 v2, s8 :: v_dual_mov_b32 v3, s9
	v_dual_mov_b32 v12, s7 :: v_dual_mov_b32 v11, s6
	s_bitcmp0_b32 s2, 0
	s_mov_b32 s2, 0
	s_cbranch_scc1 .LBB102_2
; %bb.1:
	v_dual_mov_b32 v1, s8 :: v_dual_mov_b32 v2, s9
	v_dual_mov_b32 v4, s6 :: v_dual_mov_b32 v5, s7
	s_load_b64 s[6:7], s[0:1], 0x18
	flat_load_b64 v[2:3], v[1:2]
	flat_load_b64 v[11:12], v[4:5]
	s_waitcnt vmcnt(1) lgkmcnt(0)
	v_add_co_u32 v2, vcc_lo, v2, s6
	v_add_co_ci_u32_e32 v3, vcc_lo, s7, v3, vcc_lo
.LBB102_2:
	s_clause 0x1
	s_load_b32 s3, s[0:1], 0x4c
	s_load_b32 s11, s[0:1], 0x40
	s_waitcnt lgkmcnt(0)
	s_and_b32 s10, s3, 0xffff
	s_add_u32 s6, s4, -1
	s_mul_i32 s8, s11, s10
	s_addc_u32 s3, s5, -1
	s_lshl_b32 s9, s8, 2
	s_cmp_lg_u64 s[2:3], 0
	s_cbranch_scc0 .LBB102_27
; %bb.3:
	v_cvt_f32_ubyte0_e32 v1, 0
	v_cvt_f32_u32_e32 v4, s9
	s_sub_u32 s12, 0, s9
	s_subb_u32 s13, 0, 0
	s_delay_alu instid0(VALU_DEP_1) | instskip(NEXT) | instid1(VALU_DEP_1)
	v_fmamk_f32 v1, v1, 0x4f800000, v4
	v_rcp_f32_e32 v1, v1
	s_waitcnt_depctr 0xfff
	v_mul_f32_e32 v1, 0x5f7ffffc, v1
	s_delay_alu instid0(VALU_DEP_1) | instskip(NEXT) | instid1(VALU_DEP_1)
	v_mul_f32_e32 v4, 0x2f800000, v1
	v_trunc_f32_e32 v4, v4
	s_delay_alu instid0(VALU_DEP_1) | instskip(SKIP_1) | instid1(VALU_DEP_2)
	v_fmamk_f32 v1, v4, 0xcf800000, v1
	v_cvt_u32_f32_e32 v4, v4
	v_cvt_u32_f32_e32 v1, v1
	s_delay_alu instid0(VALU_DEP_2) | instskip(NEXT) | instid1(VALU_DEP_2)
	v_readfirstlane_b32 s2, v4
	v_readfirstlane_b32 s7, v1
	s_delay_alu instid0(VALU_DEP_2) | instskip(NEXT) | instid1(VALU_DEP_1)
	s_mul_i32 s14, s12, s2
	s_mul_hi_u32 s17, s12, s7
	s_mul_i32 s16, s13, s7
	s_add_i32 s14, s17, s14
	s_mul_i32 s18, s12, s7
	s_add_i32 s14, s14, s16
	s_mul_hi_u32 s17, s7, s18
	s_mul_hi_u32 s19, s2, s18
	s_mul_i32 s16, s2, s18
	s_mul_hi_u32 s18, s7, s14
	s_mul_i32 s7, s7, s14
	s_mul_hi_u32 s20, s2, s14
	s_add_u32 s7, s17, s7
	s_addc_u32 s17, 0, s18
	s_add_u32 s7, s7, s16
	s_mul_i32 s14, s2, s14
	s_addc_u32 s7, s17, s19
	s_addc_u32 s16, s20, 0
	s_add_u32 s7, s7, s14
	s_addc_u32 s14, 0, s16
	v_add_co_u32 v1, s7, v1, s7
	s_delay_alu instid0(VALU_DEP_1) | instskip(SKIP_1) | instid1(VALU_DEP_1)
	s_cmp_lg_u32 s7, 0
	s_addc_u32 s2, s2, s14
	v_readfirstlane_b32 s7, v1
	s_mul_i32 s14, s12, s2
	s_delay_alu instid0(VALU_DEP_1)
	s_mul_hi_u32 s16, s12, s7
	s_mul_i32 s13, s13, s7
	s_add_i32 s14, s16, s14
	s_mul_i32 s12, s12, s7
	s_add_i32 s14, s14, s13
	s_mul_hi_u32 s16, s2, s12
	s_mul_i32 s17, s2, s12
	s_mul_hi_u32 s12, s7, s12
	s_mul_hi_u32 s18, s7, s14
	s_mul_i32 s7, s7, s14
	s_mul_hi_u32 s13, s2, s14
	s_add_u32 s7, s12, s7
	s_addc_u32 s12, 0, s18
	s_add_u32 s7, s7, s17
	s_mul_i32 s14, s2, s14
	s_addc_u32 s7, s12, s16
	s_addc_u32 s12, s13, 0
	s_add_u32 s7, s7, s14
	s_addc_u32 s12, 0, s12
	v_add_co_u32 v1, s7, v1, s7
	s_delay_alu instid0(VALU_DEP_1) | instskip(SKIP_2) | instid1(VALU_DEP_1)
	s_cmp_lg_u32 s7, 0
	s_addc_u32 s7, s2, s12
	s_ashr_i32 s12, s3, 31
	v_readfirstlane_b32 s14, v1
	s_add_u32 s2, s6, s12
	s_mov_b32 s13, s12
	s_addc_u32 s3, s3, s12
	s_delay_alu instid0(SALU_CYCLE_1) | instskip(NEXT) | instid1(SALU_CYCLE_1)
	s_xor_b64 s[2:3], s[2:3], s[12:13]
	s_mul_i32 s17, s2, s7
	s_mul_hi_u32 s18, s2, s14
	s_mul_hi_u32 s16, s2, s7
	;; [unrolled: 1-line block ×3, first 2 shown]
	s_mul_i32 s14, s3, s14
	s_add_u32 s17, s18, s17
	s_addc_u32 s16, 0, s16
	s_mul_hi_u32 s19, s3, s7
	s_add_u32 s14, s17, s14
	s_mul_i32 s7, s3, s7
	s_addc_u32 s14, s16, s20
	s_addc_u32 s16, s19, 0
	s_add_u32 s7, s14, s7
	s_addc_u32 s14, 0, s16
	s_mul_i32 s17, s9, s7
	s_add_u32 s16, s7, 1
	v_sub_co_u32 v1, s2, s2, s17
	s_mul_hi_u32 s17, s9, s7
	s_addc_u32 s18, s14, 0
	s_mul_i32 s19, s9, s14
	s_delay_alu instid0(VALU_DEP_1)
	v_sub_co_u32 v4, s20, v1, s9
	s_add_u32 s21, s7, 2
	s_addc_u32 s22, s14, 0
	s_add_i32 s17, s17, s19
	s_cmp_lg_u32 s2, 0
	v_readfirstlane_b32 s2, v4
	s_subb_u32 s3, s3, s17
	s_cmp_lg_u32 s20, 0
	s_subb_u32 s17, s3, 0
	s_delay_alu instid0(VALU_DEP_1) | instskip(SKIP_4) | instid1(SALU_CYCLE_1)
	s_cmp_ge_u32 s2, s9
	s_cselect_b32 s2, -1, 0
	s_cmp_eq_u32 s17, 0
	v_readfirstlane_b32 s17, v1
	s_cselect_b32 s2, s2, -1
	s_cmp_lg_u32 s2, 0
	s_cselect_b32 s2, s21, s16
	s_cselect_b32 s16, s22, s18
	s_cmp_ge_u32 s17, s9
	s_cselect_b32 s17, -1, 0
	s_cmp_eq_u32 s3, 0
	s_cselect_b32 s3, s17, -1
	s_delay_alu instid0(SALU_CYCLE_1) | instskip(SKIP_2) | instid1(SALU_CYCLE_1)
	s_cmp_lg_u32 s3, 0
	s_cselect_b32 s3, s16, s14
	s_cselect_b32 s2, s2, s7
	s_xor_b64 s[2:3], s[2:3], s[12:13]
	s_delay_alu instid0(SALU_CYCLE_1)
	s_sub_u32 s2, s2, s12
	s_subb_u32 s3, s3, s12
	s_cbranch_execnz .LBB102_5
.LBB102_4:
	v_cvt_f32_u32_e32 v1, s9
	s_sub_i32 s3, 0, s9
	s_delay_alu instid0(VALU_DEP_1) | instskip(SKIP_2) | instid1(VALU_DEP_1)
	v_rcp_iflag_f32_e32 v1, v1
	s_waitcnt_depctr 0xfff
	v_mul_f32_e32 v1, 0x4f7ffffe, v1
	v_cvt_u32_f32_e32 v1, v1
	s_delay_alu instid0(VALU_DEP_1) | instskip(NEXT) | instid1(VALU_DEP_1)
	v_readfirstlane_b32 s2, v1
	s_mul_i32 s3, s3, s2
	s_delay_alu instid0(SALU_CYCLE_1) | instskip(NEXT) | instid1(SALU_CYCLE_1)
	s_mul_hi_u32 s3, s2, s3
	s_add_i32 s2, s2, s3
	s_delay_alu instid0(SALU_CYCLE_1) | instskip(NEXT) | instid1(SALU_CYCLE_1)
	s_mul_hi_u32 s2, s6, s2
	s_mul_i32 s3, s2, s9
	s_delay_alu instid0(SALU_CYCLE_1)
	s_sub_i32 s3, s6, s3
	s_add_i32 s6, s2, 1
	s_sub_i32 s7, s3, s9
	s_cmp_ge_u32 s3, s9
	s_cselect_b32 s2, s6, s2
	s_cselect_b32 s3, s7, s3
	s_add_i32 s6, s2, 1
	s_cmp_ge_u32 s3, s9
	s_mov_b32 s3, 0
	s_cselect_b32 s2, s6, s2
.LBB102_5:
	v_mov_b32_e32 v1, 0
	s_add_u32 s2, s2, 1
	s_addc_u32 s3, s3, 0
	s_mul_hi_u32 s6, s8, s2
	s_mul_i32 s3, s8, s3
	v_mad_u64_u32 v[13:14], null, s10, s15, v[0:1]
	s_mul_hi_u32 s7, s11, s10
	s_add_i32 s3, s6, s3
	s_mul_i32 s7, s7, s2
	s_mul_i32 s2, s8, s2
	s_add_i32 s3, s3, s7
	s_mov_b32 s6, exec_lo
	s_lshl_b64 s[2:3], s[2:3], 2
	s_delay_alu instid0(SALU_CYCLE_1)
	v_cmpx_gt_i64_e64 s[2:3], v[13:14]
	s_cbranch_execz .LBB102_26
; %bb.6:
	v_alignbit_b32 v17, v3, v2, 2
	v_mad_u64_u32 v[6:7], null, 0xcd9e8d57, v13, 0
	v_lshrrev_b32_e32 v18, 2, v3
	s_waitcnt vmcnt(0)
	v_dual_mov_b32 v15, v12 :: v_dual_add_nc_u32 v30, 0x8ff34781, v11
	v_mad_u64_u32 v[4:5], null, 0xd2511f53, v17, 0
	v_add_co_u32 v20, null, 0x9e3779b9, v11
	v_xor3_b32 v3, v11, v7, v18
	s_delay_alu instid0(VALU_DEP_4) | instskip(SKIP_2) | instid1(VALU_DEP_4)
	v_add_co_u32 v19, null, 0xbb67ae85, v15
	v_add_co_u32 v21, null, 0x3c6ef372, v11
	v_xor_b32_e32 v1, v5, v12
	v_mad_u64_u32 v[7:8], null, 0xd2511f53, v3, 0
	v_add_co_u32 v22, null, 0x76cf5d0a, v15
	s_delay_alu instid0(VALU_DEP_3) | instskip(SKIP_2) | instid1(VALU_DEP_3)
	v_xor_b32_e32 v1, v1, v14
	v_add_co_u32 v23, null, 0x32370b8f, v15
	v_add_co_u32 v24, null, 0xdaa66d2b, v11
	v_mad_u64_u32 v[9:10], null, 0xcd9e8d57, v1, 0
	v_xor3_b32 v1, v19, v8, v4
	v_add_co_u32 v25, null, 0x78dde6e4, v11
	v_add_co_u32 v26, null, 0xed9eba14, v15
	s_delay_alu instid0(VALU_DEP_3) | instskip(SKIP_3) | instid1(VALU_DEP_3)
	v_mad_u64_u32 v[3:4], null, 0xcd9e8d57, v1, 0
	v_xor3_b32 v8, v20, v10, v6
	v_add_co_u32 v27, null, 0xa9066899, v15
	v_add_co_u32 v28, null, 0x1715609d, v11
	v_mad_u64_u32 v[5:6], null, 0xd2511f53, v8, 0
	v_xor3_b32 v1, v21, v4, v9
	v_and_b32_e32 v29, 3, v2
	v_add_co_u32 v33, null, 0xb54cda56, v11
	v_add_co_u32 v34, null, 0x646e171e, v15
	v_xor3_b32 v4, v22, v6, v7
	v_mad_u64_u32 v[6:7], null, 0xd2511f53, v1, 0
	v_add_co_u32 v36, null, 0x1fd5c5a3, v15
	s_delay_alu instid0(VALU_DEP_3) | instskip(SKIP_1) | instid1(VALU_DEP_4)
	v_mad_u64_u32 v[8:9], null, 0xcd9e8d57, v4, 0
	v_add_co_u32 v32, null, 0x5384540f, v11
	v_xor3_b32 v1, v23, v7, v5
	s_clause 0x1
	s_load_b64 s[6:7], s[0:1], 0x30
	s_load_b32 s12, s[0:1], 0x38
	v_add_co_u32 v35, null, 0xf1bbcdc8, v11
	s_delay_alu instid0(VALU_DEP_4) | instskip(SKIP_3) | instid1(VALU_DEP_2)
	v_xor3_b32 v5, v24, v9, v3
	v_mad_u64_u32 v[3:4], null, 0xcd9e8d57, v1, 0
	s_mul_i32 s13, s11, 3
	s_add_i32 s16, s15, s11
	v_mad_u64_u32 v[9:10], null, 0xd2511f53, v5, 0
	s_add_i32 s13, s15, s13
	v_add_co_u32 v38, null, 0xdb3d7428, v15
	s_delay_alu instid0(VALU_DEP_3) | instskip(SKIP_2) | instid1(VALU_DEP_4)
	v_xor3_b32 v1, v25, v4, v8
	s_lshl_b32 s14, s11, 1
	v_add_nc_u32_e32 v31, 0x96a522ad, v12
	v_xor3_b32 v8, v26, v10, v6
	v_mov_b32_e32 v37, v13
	v_mad_u64_u32 v[4:5], null, 0xd2511f53, v1, 0
	s_waitcnt lgkmcnt(0)
	s_mul_i32 s11, s11, s12
	v_mad_u64_u32 v[6:7], null, 0xcd9e8d57, v8, 0
	v_mov_b32_e32 v43, v14
	s_mul_i32 s11, s11, s10
	s_mov_b32 s0, 0
	s_delay_alu instid0(VALU_DEP_3) | instskip(SKIP_2) | instid1(VALU_DEP_3)
	v_xor3_b32 v5, v27, v5, v9
	s_lshl_b32 s1, s8, 1
	s_lshl_b32 s11, s11, 2
	v_xor3_b32 v3, v28, v7, v3
	s_delay_alu instid0(VALU_DEP_2) | instskip(NEXT) | instid1(VALU_DEP_2)
	v_mad_u64_u32 v[1:2], null, 0xcd9e8d57, v5, 0
	v_mad_u64_u32 v[7:8], null, 0xd2511f53, v3, 0
	s_delay_alu instid0(VALU_DEP_2) | instskip(NEXT) | instid1(VALU_DEP_2)
	v_xor3_b32 v2, v33, v2, v6
	v_xor3_b32 v6, v34, v8, v4
	s_delay_alu instid0(VALU_DEP_4) | instskip(NEXT) | instid1(VALU_DEP_3)
	v_mad_u64_u32 v[3:4], null, s15, s10, v[0:1]
	v_mad_u64_u32 v[4:5], null, 0xd2511f53, v2, 0
	s_delay_alu instid0(VALU_DEP_3) | instskip(SKIP_1) | instid1(VALU_DEP_3)
	v_mad_u64_u32 v[8:9], null, 0xcd9e8d57, v6, 0
	s_add_i32 s15, s15, s14
	v_mul_lo_u32 v39, s12, v3
	s_delay_alu instid0(VALU_DEP_3) | instskip(NEXT) | instid1(VALU_DEP_3)
	v_xor3_b32 v2, v36, v5, v7
	v_xor3_b32 v1, v32, v9, v1
	s_delay_alu instid0(VALU_DEP_2) | instskip(NEXT) | instid1(VALU_DEP_2)
	v_mad_u64_u32 v[5:6], null, 0xcd9e8d57, v2, 0
	v_mad_u64_u32 v[9:10], null, 0xd2511f53, v1, 0
	;; [unrolled: 1-line block ×4, first 2 shown]
	s_delay_alu instid0(VALU_DEP_4) | instskip(NEXT) | instid1(VALU_DEP_4)
	v_xor3_b32 v1, v35, v6, v8
	v_xor3_b32 v4, v38, v10, v4
	s_delay_alu instid0(VALU_DEP_4) | instskip(NEXT) | instid1(VALU_DEP_3)
	v_mul_lo_u32 v42, s12, v15
	v_mad_u64_u32 v[6:7], null, s15, s10, v[0:1]
	v_mad_u64_u32 v[7:8], null, 0xd2511f53, v1, 0
	s_delay_alu instid0(VALU_DEP_4) | instskip(SKIP_2) | instid1(VALU_DEP_4)
	v_mad_u64_u32 v[1:2], null, 0xcd9e8d57, v4, 0
	v_mul_lo_u32 v40, s12, v40
	s_mul_i32 s10, s8, 3
	v_mul_lo_u32 v41, s12, v6
	s_mov_b32 s12, 0
	s_delay_alu instid0(VALU_DEP_4) | instskip(NEXT) | instid1(VALU_DEP_4)
	v_mov_b32_e32 v3, v7
	v_xor3_b32 v0, v2, v5, v30
	v_xor3_b32 v2, v8, v9, v31
	s_branch .LBB102_8
.LBB102_7:                              ;   in Loop: Header=BB102_8 Depth=1
	s_or_b32 exec_lo, exec_lo, s13
	v_add_co_u32 v13, vcc_lo, v13, s9
	v_add_co_ci_u32_e32 v14, vcc_lo, 0, v14, vcc_lo
	v_mov_b32_e32 v7, v15
	v_dual_mov_b32 v0, v4 :: v_dual_mov_b32 v1, v5
	s_delay_alu instid0(VALU_DEP_3) | instskip(NEXT) | instid1(VALU_DEP_3)
	v_cmp_le_i64_e32 vcc_lo, s[2:3], v[13:14]
	v_dual_mov_b32 v2, v6 :: v_dual_mov_b32 v3, v7
	s_add_i32 s12, s12, s11
	s_waitcnt_vscnt null, 0x0
	s_barrier
	s_or_b32 s0, vcc_lo, s0
	buffer_gl0_inv
	s_and_not1_b32 exec_lo, exec_lo, s0
	s_cbranch_execz .LBB102_26
.LBB102_8:                              ; =>This Inner Loop Header: Depth=1
	v_add_co_u32 v17, vcc_lo, v17, 1
	s_delay_alu instid0(VALU_DEP_1) | instskip(SKIP_2) | instid1(VALU_DEP_1)
	v_cndmask_b32_e64 v4, 0, 1, vcc_lo
	v_add_co_ci_u32_e32 v18, vcc_lo, 0, v18, vcc_lo
	s_mov_b32 s13, exec_lo
	v_cmp_eq_u32_e32 vcc_lo, 0, v18
	s_delay_alu instid0(VALU_DEP_3) | instskip(NEXT) | instid1(VALU_DEP_1)
	v_cndmask_b32_e32 v4, 0, v4, vcc_lo
	v_add_nc_u32_e32 v37, v4, v37
	s_delay_alu instid0(VALU_DEP_1) | instskip(SKIP_2) | instid1(VALU_DEP_2)
	v_cmp_eq_u32_e32 vcc_lo, 0, v37
	v_cndmask_b32_e32 v4, 0, v4, vcc_lo
	v_mad_u64_u32 v[6:7], null, 0xcd9e8d57, v37, 0
	v_add_nc_u32_e32 v43, v4, v43
	v_mad_u64_u32 v[4:5], null, 0xd2511f53, v17, 0
	s_delay_alu instid0(VALU_DEP_3) | instskip(NEXT) | instid1(VALU_DEP_2)
	v_xor3_b32 v9, v7, v11, v18
	v_xor_b32_e32 v5, v5, v12
	s_delay_alu instid0(VALU_DEP_2) | instskip(NEXT) | instid1(VALU_DEP_2)
	v_mad_u64_u32 v[7:8], null, 0xd2511f53, v9, 0
	v_xor_b32_e32 v5, v43, v5
	s_delay_alu instid0(VALU_DEP_2) | instskip(NEXT) | instid1(VALU_DEP_2)
	v_xor3_b32 v8, v19, v8, v4
	v_mad_u64_u32 v[9:10], null, 0xcd9e8d57, v5, 0
	s_delay_alu instid0(VALU_DEP_2) | instskip(NEXT) | instid1(VALU_DEP_2)
	v_mad_u64_u32 v[4:5], null, 0xcd9e8d57, v8, 0
	v_xor3_b32 v6, v20, v10, v6
	s_delay_alu instid0(VALU_DEP_2) | instskip(NEXT) | instid1(VALU_DEP_2)
	v_xor3_b32 v8, v21, v5, v9
	v_mad_u64_u32 v[15:16], null, 0xd2511f53, v6, 0
	s_delay_alu instid0(VALU_DEP_2) | instskip(NEXT) | instid1(VALU_DEP_2)
	v_mad_u64_u32 v[5:6], null, 0xd2511f53, v8, 0
	v_xor3_b32 v9, v22, v16, v7
	s_delay_alu instid0(VALU_DEP_2) | instskip(NEXT) | instid1(VALU_DEP_2)
	v_xor3_b32 v6, v23, v6, v15
	v_mad_u64_u32 v[7:8], null, 0xcd9e8d57, v9, 0
	s_delay_alu instid0(VALU_DEP_1) | instskip(NEXT) | instid1(VALU_DEP_3)
	v_xor3_b32 v4, v24, v8, v4
	v_mad_u64_u32 v[8:9], null, 0xcd9e8d57, v6, 0
	s_delay_alu instid0(VALU_DEP_2) | instskip(NEXT) | instid1(VALU_DEP_2)
	v_mad_u64_u32 v[15:16], null, 0xd2511f53, v4, 0
	v_xor3_b32 v6, v25, v9, v7
	s_delay_alu instid0(VALU_DEP_2) | instskip(NEXT) | instid1(VALU_DEP_2)
	v_xor3_b32 v9, v26, v16, v5
	v_mad_u64_u32 v[4:5], null, 0xd2511f53, v6, 0
	s_delay_alu instid0(VALU_DEP_2) | instskip(NEXT) | instid1(VALU_DEP_2)
	v_mad_u64_u32 v[6:7], null, 0xcd9e8d57, v9, 0
	v_xor3_b32 v5, v27, v5, v15
	s_delay_alu instid0(VALU_DEP_2) | instskip(NEXT) | instid1(VALU_DEP_2)
	;; [unrolled: 6-line block ×6, first 2 shown]
	v_xor3_b32 v4, v6, v7, v30
	v_mov_b32_e32 v6, v10
	v_cmpx_lt_i32_e32 1, v29
	s_xor_b32 s13, exec_lo, s13
	s_cbranch_execnz .LBB102_18
; %bb.9:                                ;   in Loop: Header=BB102_8 Depth=1
	s_and_not1_saveexec_b32 s13, s13
	s_cbranch_execnz .LBB102_23
.LBB102_10:                             ;   in Loop: Header=BB102_8 Depth=1
	s_or_b32 exec_lo, exec_lo, s13
	s_delay_alu instid0(SALU_CYCLE_1)
	s_mov_b32 s13, exec_lo
	v_cmpx_gt_i64_e64 s[4:5], v[13:14]
	s_cbranch_execz .LBB102_12
.LBB102_11:                             ;   in Loop: Header=BB102_8 Depth=1
	v_mul_hi_u32 v7, 0xff00ff01, v0
	s_delay_alu instid0(VALU_DEP_1) | instskip(NEXT) | instid1(VALU_DEP_1)
	v_lshrrev_b32_e32 v7, 8, v7
	v_mul_u32_u24_e32 v7, 0x101, v7
	s_delay_alu instid0(VALU_DEP_1) | instskip(SKIP_1) | instid1(VALU_DEP_2)
	v_sub_nc_u32_e32 v0, v0, v7
	v_add_nc_u32_e32 v7, s12, v39
	v_cvt_f32_u32_e32 v0, v0
	s_delay_alu instid0(VALU_DEP_2) | instskip(SKIP_1) | instid1(VALU_DEP_3)
	v_ashrrev_i32_e32 v8, 31, v7
	v_add_co_u32 v7, vcc_lo, s6, v7
	v_bfe_u32 v9, v0, 16, 1
	s_delay_alu instid0(VALU_DEP_3) | instskip(NEXT) | instid1(VALU_DEP_2)
	v_add_co_ci_u32_e32 v8, vcc_lo, s7, v8, vcc_lo
	v_add3_u32 v0, v0, v9, 0x7fff
	global_store_d16_hi_b16 v[7:8], v0, off
.LBB102_12:                             ;   in Loop: Header=BB102_8 Depth=1
	s_or_b32 exec_lo, exec_lo, s13
	v_add_co_u32 v7, vcc_lo, s8, v13
	v_add_co_ci_u32_e32 v8, vcc_lo, 0, v14, vcc_lo
	s_mov_b32 s13, exec_lo
	s_delay_alu instid0(VALU_DEP_1)
	v_cmpx_gt_i64_e64 s[4:5], v[7:8]
	s_cbranch_execz .LBB102_14
; %bb.13:                               ;   in Loop: Header=BB102_8 Depth=1
	v_mul_hi_u32 v0, 0xff00ff01, v1
	s_delay_alu instid0(VALU_DEP_1) | instskip(NEXT) | instid1(VALU_DEP_1)
	v_lshrrev_b32_e32 v0, 8, v0
	v_mul_u32_u24_e32 v0, 0x101, v0
	s_delay_alu instid0(VALU_DEP_1) | instskip(SKIP_1) | instid1(VALU_DEP_2)
	v_sub_nc_u32_e32 v0, v1, v0
	v_add_nc_u32_e32 v1, s12, v42
	v_cvt_f32_u32_e32 v7, v0
	s_delay_alu instid0(VALU_DEP_2) | instskip(SKIP_1) | instid1(VALU_DEP_3)
	v_ashrrev_i32_e32 v8, 31, v1
	v_add_co_u32 v0, vcc_lo, s6, v1
	v_bfe_u32 v9, v7, 16, 1
	s_delay_alu instid0(VALU_DEP_3) | instskip(NEXT) | instid1(VALU_DEP_2)
	v_add_co_ci_u32_e32 v1, vcc_lo, s7, v8, vcc_lo
	v_add3_u32 v7, v7, v9, 0x7fff
	global_store_d16_hi_b16 v[0:1], v7, off
.LBB102_14:                             ;   in Loop: Header=BB102_8 Depth=1
	s_or_b32 exec_lo, exec_lo, s13
	v_add_co_u32 v0, vcc_lo, s1, v13
	v_add_co_ci_u32_e32 v1, vcc_lo, 0, v14, vcc_lo
	s_mov_b32 s13, exec_lo
	s_delay_alu instid0(VALU_DEP_1)
	v_cmpx_gt_i64_e64 s[4:5], v[0:1]
	s_cbranch_execz .LBB102_16
; %bb.15:                               ;   in Loop: Header=BB102_8 Depth=1
	v_mul_hi_u32 v0, 0xff00ff01, v2
	v_add_nc_u32_e32 v1, s12, v41
	s_delay_alu instid0(VALU_DEP_1) | instskip(NEXT) | instid1(VALU_DEP_3)
	v_ashrrev_i32_e32 v7, 31, v1
	v_lshrrev_b32_e32 v0, 8, v0
	s_delay_alu instid0(VALU_DEP_1) | instskip(NEXT) | instid1(VALU_DEP_1)
	v_mul_u32_u24_e32 v0, 0x101, v0
	v_sub_nc_u32_e32 v0, v2, v0
	s_delay_alu instid0(VALU_DEP_1) | instskip(SKIP_2) | instid1(VALU_DEP_3)
	v_cvt_f32_u32_e32 v2, v0
	v_add_co_u32 v0, vcc_lo, s6, v1
	v_add_co_ci_u32_e32 v1, vcc_lo, s7, v7, vcc_lo
	v_bfe_u32 v8, v2, 16, 1
	s_delay_alu instid0(VALU_DEP_1)
	v_add3_u32 v2, v2, v8, 0x7fff
	global_store_d16_hi_b16 v[0:1], v2, off
.LBB102_16:                             ;   in Loop: Header=BB102_8 Depth=1
	s_or_b32 exec_lo, exec_lo, s13
	v_add_co_u32 v0, vcc_lo, s10, v13
	v_add_co_ci_u32_e32 v1, vcc_lo, 0, v14, vcc_lo
	s_mov_b32 s13, exec_lo
	s_delay_alu instid0(VALU_DEP_1)
	v_cmpx_gt_i64_e64 s[4:5], v[0:1]
	s_cbranch_execz .LBB102_7
; %bb.17:                               ;   in Loop: Header=BB102_8 Depth=1
	v_mul_hi_u32 v0, 0xff00ff01, v3
	v_add_nc_u32_e32 v1, s12, v40
	s_delay_alu instid0(VALU_DEP_2) | instskip(NEXT) | instid1(VALU_DEP_1)
	v_lshrrev_b32_e32 v0, 8, v0
	v_mul_u32_u24_e32 v0, 0x101, v0
	s_delay_alu instid0(VALU_DEP_1) | instskip(NEXT) | instid1(VALU_DEP_4)
	v_sub_nc_u32_e32 v0, v3, v0
	v_ashrrev_i32_e32 v3, 31, v1
	s_delay_alu instid0(VALU_DEP_2) | instskip(SKIP_1) | instid1(VALU_DEP_3)
	v_cvt_f32_u32_e32 v2, v0
	v_add_co_u32 v0, vcc_lo, s6, v1
	v_add_co_ci_u32_e32 v1, vcc_lo, s7, v3, vcc_lo
	s_delay_alu instid0(VALU_DEP_3) | instskip(NEXT) | instid1(VALU_DEP_1)
	v_bfe_u32 v7, v2, 16, 1
	v_add3_u32 v2, v2, v7, 0x7fff
	global_store_d16_hi_b16 v[0:1], v2, off
	s_branch .LBB102_7
.LBB102_18:                             ;   in Loop: Header=BB102_8 Depth=1
	s_mov_b32 s14, exec_lo
	v_cmpx_lt_i32_e32 2, v29
	s_xor_b32 s14, exec_lo, s14
; %bb.19:                               ;   in Loop: Header=BB102_8 Depth=1
	v_dual_mov_b32 v7, v3 :: v_dual_mov_b32 v8, v4
	v_mov_b32_e32 v9, v5
	s_delay_alu instid0(VALU_DEP_2) | instskip(NEXT) | instid1(VALU_DEP_2)
	v_dual_mov_b32 v0, v7 :: v_dual_mov_b32 v1, v8
	v_dual_mov_b32 v2, v9 :: v_dual_mov_b32 v3, v10
; %bb.20:                               ;   in Loop: Header=BB102_8 Depth=1
	s_and_not1_saveexec_b32 s14, s14
; %bb.21:                               ;   in Loop: Header=BB102_8 Depth=1
	s_delay_alu instid0(VALU_DEP_1)
	v_dual_mov_b32 v0, v2 :: v_dual_mov_b32 v1, v3
	v_dual_mov_b32 v2, v4 :: v_dual_mov_b32 v3, v5
; %bb.22:                               ;   in Loop: Header=BB102_8 Depth=1
	s_or_b32 exec_lo, exec_lo, s14
	s_and_not1_saveexec_b32 s13, s13
	s_cbranch_execz .LBB102_10
.LBB102_23:                             ;   in Loop: Header=BB102_8 Depth=1
	s_mov_b32 s14, exec_lo
	v_cmpx_eq_u32_e32 1, v29
; %bb.24:                               ;   in Loop: Header=BB102_8 Depth=1
	v_dual_mov_b32 v0, v1 :: v_dual_mov_b32 v1, v2
	v_dual_mov_b32 v2, v3 :: v_dual_mov_b32 v3, v4
; %bb.25:                               ;   in Loop: Header=BB102_8 Depth=1
	s_or_b32 exec_lo, exec_lo, s14
	s_delay_alu instid0(SALU_CYCLE_1) | instskip(NEXT) | instid1(SALU_CYCLE_1)
	s_or_b32 exec_lo, exec_lo, s13
	s_mov_b32 s13, exec_lo
	v_cmpx_gt_i64_e64 s[4:5], v[13:14]
	s_cbranch_execnz .LBB102_11
	s_branch .LBB102_12
.LBB102_26:
	s_endpgm
.LBB102_27:
                                        ; implicit-def: $sgpr2_sgpr3
	s_branch .LBB102_4
	.section	.rodata,"a",@progbits
	.p2align	6, 0x0
	.amdhsa_kernel _ZN2at6native12_GLOBAL__N_143distribution_elementwise_grid_stride_kernelIjLi4EZZZNS0_9templates4cuda13random_kernelIPNS_17CUDAGeneratorImplEEEvRNS_18TensorIteratorBaseET_ENKUlvE_clEvENKUlvE7_clEvEUlP25hiprandStatePhilox4_32_10E0_ZNS1_27distribution_nullary_kernelIN3c108BFloat16Ej15HIP_vector_typeIjLj4EES7_SF_ZZZNS5_IS7_EEvS9_SA_ENKSB_clEvENKSC_clEvEUljE_EEvS9_T2_RKT3_T4_EUlijE_EEvlNS_15PhiloxCudaStateET1_SM_
		.amdhsa_group_segment_fixed_size 0
		.amdhsa_private_segment_fixed_size 0
		.amdhsa_kernarg_size 320
		.amdhsa_user_sgpr_count 15
		.amdhsa_user_sgpr_dispatch_ptr 0
		.amdhsa_user_sgpr_queue_ptr 0
		.amdhsa_user_sgpr_kernarg_segment_ptr 1
		.amdhsa_user_sgpr_dispatch_id 0
		.amdhsa_user_sgpr_private_segment_size 0
		.amdhsa_wavefront_size32 1
		.amdhsa_uses_dynamic_stack 0
		.amdhsa_enable_private_segment 0
		.amdhsa_system_sgpr_workgroup_id_x 1
		.amdhsa_system_sgpr_workgroup_id_y 0
		.amdhsa_system_sgpr_workgroup_id_z 0
		.amdhsa_system_sgpr_workgroup_info 0
		.amdhsa_system_vgpr_workitem_id 0
		.amdhsa_next_free_vgpr 44
		.amdhsa_next_free_sgpr 23
		.amdhsa_reserve_vcc 1
		.amdhsa_float_round_mode_32 0
		.amdhsa_float_round_mode_16_64 0
		.amdhsa_float_denorm_mode_32 3
		.amdhsa_float_denorm_mode_16_64 3
		.amdhsa_dx10_clamp 1
		.amdhsa_ieee_mode 1
		.amdhsa_fp16_overflow 0
		.amdhsa_workgroup_processor_mode 1
		.amdhsa_memory_ordered 1
		.amdhsa_forward_progress 0
		.amdhsa_shared_vgpr_count 0
		.amdhsa_exception_fp_ieee_invalid_op 0
		.amdhsa_exception_fp_denorm_src 0
		.amdhsa_exception_fp_ieee_div_zero 0
		.amdhsa_exception_fp_ieee_overflow 0
		.amdhsa_exception_fp_ieee_underflow 0
		.amdhsa_exception_fp_ieee_inexact 0
		.amdhsa_exception_int_div_zero 0
	.end_amdhsa_kernel
	.section	.text._ZN2at6native12_GLOBAL__N_143distribution_elementwise_grid_stride_kernelIjLi4EZZZNS0_9templates4cuda13random_kernelIPNS_17CUDAGeneratorImplEEEvRNS_18TensorIteratorBaseET_ENKUlvE_clEvENKUlvE7_clEvEUlP25hiprandStatePhilox4_32_10E0_ZNS1_27distribution_nullary_kernelIN3c108BFloat16Ej15HIP_vector_typeIjLj4EES7_SF_ZZZNS5_IS7_EEvS9_SA_ENKSB_clEvENKSC_clEvEUljE_EEvS9_T2_RKT3_T4_EUlijE_EEvlNS_15PhiloxCudaStateET1_SM_,"axG",@progbits,_ZN2at6native12_GLOBAL__N_143distribution_elementwise_grid_stride_kernelIjLi4EZZZNS0_9templates4cuda13random_kernelIPNS_17CUDAGeneratorImplEEEvRNS_18TensorIteratorBaseET_ENKUlvE_clEvENKUlvE7_clEvEUlP25hiprandStatePhilox4_32_10E0_ZNS1_27distribution_nullary_kernelIN3c108BFloat16Ej15HIP_vector_typeIjLj4EES7_SF_ZZZNS5_IS7_EEvS9_SA_ENKSB_clEvENKSC_clEvEUljE_EEvS9_T2_RKT3_T4_EUlijE_EEvlNS_15PhiloxCudaStateET1_SM_,comdat
.Lfunc_end102:
	.size	_ZN2at6native12_GLOBAL__N_143distribution_elementwise_grid_stride_kernelIjLi4EZZZNS0_9templates4cuda13random_kernelIPNS_17CUDAGeneratorImplEEEvRNS_18TensorIteratorBaseET_ENKUlvE_clEvENKUlvE7_clEvEUlP25hiprandStatePhilox4_32_10E0_ZNS1_27distribution_nullary_kernelIN3c108BFloat16Ej15HIP_vector_typeIjLj4EES7_SF_ZZZNS5_IS7_EEvS9_SA_ENKSB_clEvENKSC_clEvEUljE_EEvS9_T2_RKT3_T4_EUlijE_EEvlNS_15PhiloxCudaStateET1_SM_, .Lfunc_end102-_ZN2at6native12_GLOBAL__N_143distribution_elementwise_grid_stride_kernelIjLi4EZZZNS0_9templates4cuda13random_kernelIPNS_17CUDAGeneratorImplEEEvRNS_18TensorIteratorBaseET_ENKUlvE_clEvENKUlvE7_clEvEUlP25hiprandStatePhilox4_32_10E0_ZNS1_27distribution_nullary_kernelIN3c108BFloat16Ej15HIP_vector_typeIjLj4EES7_SF_ZZZNS5_IS7_EEvS9_SA_ENKSB_clEvENKSC_clEvEUljE_EEvS9_T2_RKT3_T4_EUlijE_EEvlNS_15PhiloxCudaStateET1_SM_
                                        ; -- End function
	.section	.AMDGPU.csdata,"",@progbits
; Kernel info:
; codeLenInByte = 3060
; NumSgprs: 25
; NumVgprs: 44
; ScratchSize: 0
; MemoryBound: 0
; FloatMode: 240
; IeeeMode: 1
; LDSByteSize: 0 bytes/workgroup (compile time only)
; SGPRBlocks: 3
; VGPRBlocks: 5
; NumSGPRsForWavesPerEU: 25
; NumVGPRsForWavesPerEU: 44
; Occupancy: 16
; WaveLimiterHint : 0
; COMPUTE_PGM_RSRC2:SCRATCH_EN: 0
; COMPUTE_PGM_RSRC2:USER_SGPR: 15
; COMPUTE_PGM_RSRC2:TRAP_HANDLER: 0
; COMPUTE_PGM_RSRC2:TGID_X_EN: 1
; COMPUTE_PGM_RSRC2:TGID_Y_EN: 0
; COMPUTE_PGM_RSRC2:TGID_Z_EN: 0
; COMPUTE_PGM_RSRC2:TIDIG_COMP_CNT: 0
	.section	.text._ZN2at6native12_GLOBAL__N_143distribution_elementwise_grid_stride_kernelIjLi4EZZZNS0_9templates4cuda13random_kernelIPNS_17CUDAGeneratorImplEEEvRNS_18TensorIteratorBaseET_ENKUlvE_clEvENKUlvE7_clEvEUlP25hiprandStatePhilox4_32_10E0_ZNS1_27distribution_nullary_kernelIN3c108BFloat16Ej15HIP_vector_typeIjLj4EES7_SF_ZZZNS5_IS7_EEvS9_SA_ENKSB_clEvENKSC_clEvEUljE_EEvS9_T2_RKT3_T4_EUlijE0_EEvlNS_15PhiloxCudaStateET1_SM_,"axG",@progbits,_ZN2at6native12_GLOBAL__N_143distribution_elementwise_grid_stride_kernelIjLi4EZZZNS0_9templates4cuda13random_kernelIPNS_17CUDAGeneratorImplEEEvRNS_18TensorIteratorBaseET_ENKUlvE_clEvENKUlvE7_clEvEUlP25hiprandStatePhilox4_32_10E0_ZNS1_27distribution_nullary_kernelIN3c108BFloat16Ej15HIP_vector_typeIjLj4EES7_SF_ZZZNS5_IS7_EEvS9_SA_ENKSB_clEvENKSC_clEvEUljE_EEvS9_T2_RKT3_T4_EUlijE0_EEvlNS_15PhiloxCudaStateET1_SM_,comdat
	.globl	_ZN2at6native12_GLOBAL__N_143distribution_elementwise_grid_stride_kernelIjLi4EZZZNS0_9templates4cuda13random_kernelIPNS_17CUDAGeneratorImplEEEvRNS_18TensorIteratorBaseET_ENKUlvE_clEvENKUlvE7_clEvEUlP25hiprandStatePhilox4_32_10E0_ZNS1_27distribution_nullary_kernelIN3c108BFloat16Ej15HIP_vector_typeIjLj4EES7_SF_ZZZNS5_IS7_EEvS9_SA_ENKSB_clEvENKSC_clEvEUljE_EEvS9_T2_RKT3_T4_EUlijE0_EEvlNS_15PhiloxCudaStateET1_SM_ ; -- Begin function _ZN2at6native12_GLOBAL__N_143distribution_elementwise_grid_stride_kernelIjLi4EZZZNS0_9templates4cuda13random_kernelIPNS_17CUDAGeneratorImplEEEvRNS_18TensorIteratorBaseET_ENKUlvE_clEvENKUlvE7_clEvEUlP25hiprandStatePhilox4_32_10E0_ZNS1_27distribution_nullary_kernelIN3c108BFloat16Ej15HIP_vector_typeIjLj4EES7_SF_ZZZNS5_IS7_EEvS9_SA_ENKSB_clEvENKSC_clEvEUljE_EEvS9_T2_RKT3_T4_EUlijE0_EEvlNS_15PhiloxCudaStateET1_SM_
	.p2align	8
	.type	_ZN2at6native12_GLOBAL__N_143distribution_elementwise_grid_stride_kernelIjLi4EZZZNS0_9templates4cuda13random_kernelIPNS_17CUDAGeneratorImplEEEvRNS_18TensorIteratorBaseET_ENKUlvE_clEvENKUlvE7_clEvEUlP25hiprandStatePhilox4_32_10E0_ZNS1_27distribution_nullary_kernelIN3c108BFloat16Ej15HIP_vector_typeIjLj4EES7_SF_ZZZNS5_IS7_EEvS9_SA_ENKSB_clEvENKSC_clEvEUljE_EEvS9_T2_RKT3_T4_EUlijE0_EEvlNS_15PhiloxCudaStateET1_SM_,@function
_ZN2at6native12_GLOBAL__N_143distribution_elementwise_grid_stride_kernelIjLi4EZZZNS0_9templates4cuda13random_kernelIPNS_17CUDAGeneratorImplEEEvRNS_18TensorIteratorBaseET_ENKUlvE_clEvENKUlvE7_clEvEUlP25hiprandStatePhilox4_32_10E0_ZNS1_27distribution_nullary_kernelIN3c108BFloat16Ej15HIP_vector_typeIjLj4EES7_SF_ZZZNS5_IS7_EEvS9_SA_ENKSB_clEvENKSC_clEvEUljE_EEvS9_T2_RKT3_T4_EUlijE0_EEvlNS_15PhiloxCudaStateET1_SM_: ; @_ZN2at6native12_GLOBAL__N_143distribution_elementwise_grid_stride_kernelIjLi4EZZZNS0_9templates4cuda13random_kernelIPNS_17CUDAGeneratorImplEEEvRNS_18TensorIteratorBaseET_ENKUlvE_clEvENKUlvE7_clEvEUlP25hiprandStatePhilox4_32_10E0_ZNS1_27distribution_nullary_kernelIN3c108BFloat16Ej15HIP_vector_typeIjLj4EES7_SF_ZZZNS5_IS7_EEvS9_SA_ENKSB_clEvENKSC_clEvEUljE_EEvS9_T2_RKT3_T4_EUlijE0_EEvlNS_15PhiloxCudaStateET1_SM_
; %bb.0:
	s_clause 0x2
	s_load_b64 s[4:5], s[0:1], 0x10
	s_load_b128 s[16:19], s[0:1], 0x0
	s_load_b32 s2, s[0:1], 0x20
	s_waitcnt lgkmcnt(0)
	v_dual_mov_b32 v2, s4 :: v_dual_mov_b32 v3, s5
	v_dual_mov_b32 v11, s18 :: v_dual_mov_b32 v12, s19
	s_bitcmp0_b32 s2, 0
	s_mov_b32 s2, 0
	s_cbranch_scc1 .LBB103_2
; %bb.1:
	v_dual_mov_b32 v1, s4 :: v_dual_mov_b32 v2, s5
	v_dual_mov_b32 v4, s18 :: v_dual_mov_b32 v5, s19
	s_load_b64 s[4:5], s[0:1], 0x18
	flat_load_b64 v[2:3], v[1:2]
	flat_load_b64 v[11:12], v[4:5]
	s_waitcnt vmcnt(1) lgkmcnt(0)
	v_add_co_u32 v2, vcc_lo, v2, s4
	v_add_co_ci_u32_e32 v3, vcc_lo, s5, v3, vcc_lo
.LBB103_2:
	s_clause 0x1
	s_load_b32 s3, s[0:1], 0x154
	s_load_b32 s4, s[0:1], 0x148
	s_waitcnt lgkmcnt(0)
	s_and_b32 s5, s3, 0xffff
	s_add_u32 s6, s16, -1
	s_mul_i32 s24, s4, s5
	s_addc_u32 s3, s17, -1
	s_lshl_b32 s25, s24, 2
	s_cmp_lg_u64 s[2:3], 0
	s_cbranch_scc0 .LBB103_79
; %bb.3:
	v_cvt_f32_ubyte0_e32 v1, 0
	v_cvt_f32_u32_e32 v4, s25
	s_sub_u32 s8, 0, s25
	s_subb_u32 s9, 0, 0
	s_delay_alu instid0(VALU_DEP_1) | instskip(NEXT) | instid1(VALU_DEP_1)
	v_fmamk_f32 v1, v1, 0x4f800000, v4
	v_rcp_f32_e32 v1, v1
	s_waitcnt_depctr 0xfff
	v_mul_f32_e32 v1, 0x5f7ffffc, v1
	s_delay_alu instid0(VALU_DEP_1) | instskip(NEXT) | instid1(VALU_DEP_1)
	v_mul_f32_e32 v4, 0x2f800000, v1
	v_trunc_f32_e32 v4, v4
	s_delay_alu instid0(VALU_DEP_1) | instskip(SKIP_1) | instid1(VALU_DEP_2)
	v_fmamk_f32 v1, v4, 0xcf800000, v1
	v_cvt_u32_f32_e32 v4, v4
	v_cvt_u32_f32_e32 v1, v1
	s_delay_alu instid0(VALU_DEP_2) | instskip(NEXT) | instid1(VALU_DEP_2)
	v_readfirstlane_b32 s2, v4
	v_readfirstlane_b32 s7, v1
	s_delay_alu instid0(VALU_DEP_2) | instskip(NEXT) | instid1(VALU_DEP_1)
	s_mul_i32 s10, s8, s2
	s_mul_hi_u32 s12, s8, s7
	s_mul_i32 s11, s9, s7
	s_add_i32 s10, s12, s10
	s_mul_i32 s13, s8, s7
	s_add_i32 s10, s10, s11
	s_mul_hi_u32 s12, s7, s13
	s_mul_hi_u32 s14, s2, s13
	s_mul_i32 s11, s2, s13
	s_mul_hi_u32 s13, s7, s10
	s_mul_i32 s7, s7, s10
	s_mul_hi_u32 s18, s2, s10
	s_add_u32 s7, s12, s7
	s_addc_u32 s12, 0, s13
	s_add_u32 s7, s7, s11
	s_mul_i32 s10, s2, s10
	s_addc_u32 s7, s12, s14
	s_addc_u32 s11, s18, 0
	s_add_u32 s7, s7, s10
	s_addc_u32 s10, 0, s11
	v_add_co_u32 v1, s7, v1, s7
	s_delay_alu instid0(VALU_DEP_1) | instskip(SKIP_1) | instid1(VALU_DEP_1)
	s_cmp_lg_u32 s7, 0
	s_addc_u32 s2, s2, s10
	v_readfirstlane_b32 s7, v1
	s_mul_i32 s10, s8, s2
	s_delay_alu instid0(VALU_DEP_1)
	s_mul_hi_u32 s11, s8, s7
	s_mul_i32 s9, s9, s7
	s_add_i32 s10, s11, s10
	s_mul_i32 s8, s8, s7
	s_add_i32 s10, s10, s9
	s_mul_hi_u32 s11, s2, s8
	s_mul_i32 s12, s2, s8
	s_mul_hi_u32 s8, s7, s8
	s_mul_hi_u32 s13, s7, s10
	s_mul_i32 s7, s7, s10
	s_mul_hi_u32 s9, s2, s10
	s_add_u32 s7, s8, s7
	s_addc_u32 s8, 0, s13
	s_add_u32 s7, s7, s12
	s_mul_i32 s10, s2, s10
	s_addc_u32 s7, s8, s11
	s_addc_u32 s8, s9, 0
	s_add_u32 s7, s7, s10
	s_addc_u32 s8, 0, s8
	v_add_co_u32 v1, s7, v1, s7
	s_delay_alu instid0(VALU_DEP_1) | instskip(SKIP_2) | instid1(VALU_DEP_1)
	s_cmp_lg_u32 s7, 0
	s_addc_u32 s7, s2, s8
	s_ashr_i32 s8, s3, 31
	v_readfirstlane_b32 s10, v1
	s_add_u32 s2, s6, s8
	s_mov_b32 s9, s8
	s_addc_u32 s3, s3, s8
	s_delay_alu instid0(SALU_CYCLE_1) | instskip(NEXT) | instid1(SALU_CYCLE_1)
	s_xor_b64 s[2:3], s[2:3], s[8:9]
	s_mul_i32 s12, s2, s7
	s_mul_hi_u32 s13, s2, s10
	s_mul_hi_u32 s11, s2, s7
	;; [unrolled: 1-line block ×3, first 2 shown]
	s_mul_i32 s10, s3, s10
	s_add_u32 s12, s13, s12
	s_addc_u32 s11, 0, s11
	s_mul_hi_u32 s14, s3, s7
	s_add_u32 s10, s12, s10
	s_mul_i32 s7, s3, s7
	s_addc_u32 s10, s11, s18
	s_addc_u32 s11, s14, 0
	s_add_u32 s7, s10, s7
	s_addc_u32 s10, 0, s11
	s_mul_i32 s12, s25, s7
	s_add_u32 s11, s7, 1
	v_sub_co_u32 v1, s2, s2, s12
	s_mul_hi_u32 s12, s25, s7
	s_addc_u32 s13, s10, 0
	s_mul_i32 s14, s25, s10
	s_delay_alu instid0(VALU_DEP_1)
	v_sub_co_u32 v4, s18, v1, s25
	s_add_u32 s19, s7, 2
	s_addc_u32 s20, s10, 0
	s_add_i32 s12, s12, s14
	s_cmp_lg_u32 s2, 0
	v_readfirstlane_b32 s2, v4
	s_subb_u32 s3, s3, s12
	s_cmp_lg_u32 s18, 0
	s_subb_u32 s12, s3, 0
	s_delay_alu instid0(VALU_DEP_1) | instskip(SKIP_4) | instid1(SALU_CYCLE_1)
	s_cmp_ge_u32 s2, s25
	s_cselect_b32 s2, -1, 0
	s_cmp_eq_u32 s12, 0
	v_readfirstlane_b32 s12, v1
	s_cselect_b32 s2, s2, -1
	s_cmp_lg_u32 s2, 0
	s_cselect_b32 s2, s19, s11
	s_cselect_b32 s11, s20, s13
	s_cmp_ge_u32 s12, s25
	s_cselect_b32 s12, -1, 0
	s_cmp_eq_u32 s3, 0
	s_cselect_b32 s3, s12, -1
	s_delay_alu instid0(SALU_CYCLE_1) | instskip(SKIP_2) | instid1(SALU_CYCLE_1)
	s_cmp_lg_u32 s3, 0
	s_cselect_b32 s3, s11, s10
	s_cselect_b32 s2, s2, s7
	s_xor_b64 s[2:3], s[2:3], s[8:9]
	s_delay_alu instid0(SALU_CYCLE_1)
	s_sub_u32 s2, s2, s8
	s_subb_u32 s3, s3, s8
	s_cbranch_execnz .LBB103_5
.LBB103_4:
	v_cvt_f32_u32_e32 v1, s25
	s_sub_i32 s3, 0, s25
	s_delay_alu instid0(VALU_DEP_1) | instskip(SKIP_2) | instid1(VALU_DEP_1)
	v_rcp_iflag_f32_e32 v1, v1
	s_waitcnt_depctr 0xfff
	v_mul_f32_e32 v1, 0x4f7ffffe, v1
	v_cvt_u32_f32_e32 v1, v1
	s_delay_alu instid0(VALU_DEP_1) | instskip(NEXT) | instid1(VALU_DEP_1)
	v_readfirstlane_b32 s2, v1
	s_mul_i32 s3, s3, s2
	s_delay_alu instid0(SALU_CYCLE_1) | instskip(NEXT) | instid1(SALU_CYCLE_1)
	s_mul_hi_u32 s3, s2, s3
	s_add_i32 s2, s2, s3
	s_delay_alu instid0(SALU_CYCLE_1) | instskip(NEXT) | instid1(SALU_CYCLE_1)
	s_mul_hi_u32 s2, s6, s2
	s_mul_i32 s3, s2, s25
	s_delay_alu instid0(SALU_CYCLE_1)
	s_sub_i32 s3, s6, s3
	s_add_i32 s6, s2, 1
	s_sub_i32 s7, s3, s25
	s_cmp_ge_u32 s3, s25
	s_cselect_b32 s2, s6, s2
	s_cselect_b32 s3, s7, s3
	s_add_i32 s6, s2, 1
	s_cmp_ge_u32 s3, s25
	s_mov_b32 s3, 0
	s_cselect_b32 s2, s6, s2
.LBB103_5:
	v_mov_b32_e32 v1, 0
	s_add_u32 s2, s2, 1
	s_addc_u32 s3, s3, 0
	s_mul_hi_u32 s6, s24, s2
	s_mul_i32 s3, s24, s3
	v_mad_u64_u32 v[13:14], null, s5, s15, v[0:1]
	s_mul_hi_u32 s4, s4, s5
	s_add_i32 s3, s6, s3
	s_mul_i32 s4, s4, s2
	s_mul_i32 s2, s24, s2
	s_add_i32 s3, s3, s4
	s_mov_b32 s4, exec_lo
	s_lshl_b64 s[2:3], s[2:3], 2
	s_delay_alu instid0(SALU_CYCLE_1)
	v_cmpx_gt_i64_e64 s[2:3], v[13:14]
	s_cbranch_execz .LBB103_78
; %bb.6:
	v_alignbit_b32 v17, v3, v2, 2
	v_mad_u64_u32 v[4:5], null, 0xcd9e8d57, v13, 0
	v_lshrrev_b32_e32 v18, 2, v3
	s_waitcnt vmcnt(0)
	v_dual_mov_b32 v9, v12 :: v_dual_and_b32 v26, 3, v2
	v_mad_u64_u32 v[0:1], null, 0xd2511f53, v17, 0
	v_add_co_u32 v20, null, 0x9e3779b9, v11
	v_xor3_b32 v3, v11, v5, v18
	s_delay_alu instid0(VALU_DEP_4) | instskip(SKIP_2) | instid1(VALU_DEP_4)
	v_add_co_u32 v19, null, 0xbb67ae85, v9
	v_add_co_u32 v21, null, 0x3c6ef372, v11
	v_xor_b32_e32 v1, v1, v12
	v_mad_u64_u32 v[5:6], null, 0xd2511f53, v3, 0
	v_add_co_u32 v22, null, 0x76cf5d0a, v9
	s_delay_alu instid0(VALU_DEP_3) | instskip(SKIP_2) | instid1(VALU_DEP_3)
	v_xor_b32_e32 v1, v1, v14
	v_add_co_u32 v23, null, 0x32370b8f, v9
	v_add_co_u32 v24, null, 0xdaa66d2b, v11
	v_mad_u64_u32 v[7:8], null, 0xcd9e8d57, v1, 0
	v_xor3_b32 v3, v19, v6, v0
	v_add_co_u32 v25, null, 0x78dde6e4, v11
	v_add_co_u32 v27, null, 0xed9eba14, v9
	s_delay_alu instid0(VALU_DEP_3) | instskip(SKIP_3) | instid1(VALU_DEP_3)
	v_mad_u64_u32 v[0:1], null, 0xcd9e8d57, v3, 0
	v_xor3_b32 v6, v20, v8, v4
	v_add_co_u32 v30, null, 0xa9066899, v9
	v_add_co_u32 v31, null, 0x1715609d, v11
	v_mad_u64_u32 v[3:4], null, 0xd2511f53, v6, 0
	v_xor3_b32 v1, v21, v1, v7
	v_add_co_u32 v33, null, 0xb54cda56, v11
	v_add_co_u32 v35, null, 0x646e171e, v9
	s_load_b256 s[4:11], s[0:1], 0x30
	s_delay_alu instid0(VALU_DEP_4) | instskip(SKIP_2) | instid1(VALU_DEP_3)
	v_xor3_b32 v8, v22, v4, v5
	v_mad_u64_u32 v[4:5], null, 0xd2511f53, v1, 0
	v_add_co_u32 v32, null, 0x5384540f, v11
	v_mad_u64_u32 v[6:7], null, 0xcd9e8d57, v8, 0
	v_add_co_u32 v37, null, 0x1fd5c5a3, v9
	s_delay_alu instid0(VALU_DEP_4) | instskip(SKIP_3) | instid1(VALU_DEP_4)
	v_xor3_b32 v3, v23, v5, v3
	v_add_co_u32 v34, null, 0xf1bbcdc8, v11
	v_add_co_u32 v38, null, 0xdb3d7428, v9
	v_xor3_b32 v5, v24, v7, v0
	v_mad_u64_u32 v[0:1], null, 0xcd9e8d57, v3, 0
	s_add_u32 s12, s0, 48
	s_clause 0x1
	s_load_b64 s[14:15], s[0:1], 0xf4
	s_load_b64 s[18:19], s[0:1], 0x138
	v_mad_u64_u32 v[7:8], null, 0xd2511f53, v5, 0
	s_addc_u32 s13, s1, 0
	s_waitcnt lgkmcnt(0)
	s_add_i32 s20, s4, -1
	v_xor3_b32 v3, v25, v1, v6
	s_cmp_gt_u32 s20, 1
	v_dual_mov_b32 v36, v13 :: v_dual_add_nc_u32 v29, 0x96a522ad, v12
	s_delay_alu instid0(VALU_DEP_3) | instskip(NEXT) | instid1(VALU_DEP_3)
	v_xor3_b32 v5, v27, v8, v4
	v_mad_u64_u32 v[1:2], null, 0xd2511f53, v3, 0
	s_cselect_b32 s11, -1, 0
	s_cmp_lg_u32 s4, 0
	s_delay_alu instid0(VALU_DEP_2) | instskip(SKIP_2) | instid1(VALU_DEP_2)
	v_mad_u64_u32 v[3:4], null, 0xcd9e8d57, v5, 0
	s_cselect_b32 s27, -1, 0
	s_add_u32 s0, s0, 0xf4
	v_xor3_b32 v2, v30, v2, v7
	s_addc_u32 s1, s1, 0
	s_min_u32 s21, s20, 15
	s_cmp_gt_u32 s4, 1
	s_delay_alu instid0(VALU_DEP_2) | instskip(SKIP_3) | instid1(VALU_DEP_2)
	v_xor3_b32 v0, v31, v4, v0
	v_mad_u64_u32 v[4:5], null, 0xcd9e8d57, v2, 0
	s_cselect_b32 s4, -1, 0
	s_add_i32 s21, s21, 1
	v_mad_u64_u32 v[6:7], null, 0xd2511f53, v0, 0
	s_lshl_b32 s28, s24, 1
	s_and_b32 s29, s21, 3
	s_delay_alu instid0(VALU_DEP_2) | instskip(SKIP_3) | instid1(VALU_DEP_3)
	v_xor3_b32 v2, v33, v5, v3
	s_cmp_lg_u32 s20, 2
	v_mov_b32_e32 v39, v14
	s_cselect_b32 s30, -1, 0
	v_xor3_b32 v5, v35, v7, v1
	v_mad_u64_u32 v[0:1], null, 0xd2511f53, v2, 0
	s_and_b32 s31, s21, 28
	s_cmp_lg_u32 s29, 0
	s_delay_alu instid0(VALU_DEP_2) | instskip(SKIP_2) | instid1(VALU_DEP_2)
	v_mad_u64_u32 v[2:3], null, 0xcd9e8d57, v5, 0
	s_mov_b32 s26, 0
	s_mul_i32 s33, s24, 3
	v_xor3_b32 v1, v37, v1, v6
	s_cselect_b32 s34, -1, 0
	s_delay_alu instid0(VALU_DEP_2) | instskip(NEXT) | instid1(VALU_DEP_2)
	v_xor3_b32 v3, v32, v3, v4
	v_mad_u64_u32 v[4:5], null, 0xcd9e8d57, v1, 0
	s_delay_alu instid0(VALU_DEP_2) | instskip(NEXT) | instid1(VALU_DEP_2)
	v_mad_u64_u32 v[6:7], null, 0xd2511f53, v3, 0
	v_xor3_b32 v1, v34, v5, v2
	s_delay_alu instid0(VALU_DEP_2) | instskip(NEXT) | instid1(VALU_DEP_2)
	v_xor3_b32 v0, v38, v7, v0
	v_mad_u64_u32 v[7:8], null, 0xd2511f53, v1, 0
	v_add_nc_u32_e32 v28, 0x8ff34781, v11
	s_delay_alu instid0(VALU_DEP_3) | instskip(NEXT) | instid1(VALU_DEP_3)
	v_mad_u64_u32 v[1:2], null, 0xcd9e8d57, v0, 0
	v_mov_b32_e32 v3, v7
	s_delay_alu instid0(VALU_DEP_2)
	v_xor3_b32 v0, v2, v4, v28
	v_xor3_b32 v2, v8, v6, v29
	s_branch .LBB103_9
.LBB103_7:                              ;   in Loop: Header=BB103_9 Depth=1
	v_mul_hi_u32 v0, 0xff00ff01, v3
	s_delay_alu instid0(VALU_DEP_1) | instskip(NEXT) | instid1(VALU_DEP_1)
	v_lshrrev_b32_e32 v0, 8, v0
	v_mul_u32_u24_e32 v0, 0x101, v0
	s_delay_alu instid0(VALU_DEP_1) | instskip(NEXT) | instid1(VALU_DEP_1)
	v_sub_nc_u32_e32 v0, v3, v0
	v_cvt_f32_u32_e32 v0, v0
	s_delay_alu instid0(VALU_DEP_1) | instskip(NEXT) | instid1(VALU_DEP_1)
	v_bfe_u32 v2, v0, 16, 1
	v_add3_u32 v0, v0, v2, 0x7fff
	global_store_d16_hi_b16 v1, v0, s[18:19]
.LBB103_8:                              ;   in Loop: Header=BB103_9 Depth=1
	s_or_b32 exec_lo, exec_lo, s35
	v_add_co_u32 v13, vcc_lo, v13, s25
	v_add_co_ci_u32_e32 v14, vcc_lo, 0, v14, vcc_lo
	v_mov_b32_e32 v7, v15
	v_dual_mov_b32 v0, v4 :: v_dual_mov_b32 v1, v5
	s_delay_alu instid0(VALU_DEP_3) | instskip(NEXT) | instid1(VALU_DEP_3)
	v_cmp_le_i64_e32 vcc_lo, s[2:3], v[13:14]
	v_dual_mov_b32 v2, v6 :: v_dual_mov_b32 v3, v7
	s_waitcnt_vscnt null, 0x0
	s_barrier
	buffer_gl0_inv
	s_or_b32 s26, vcc_lo, s26
	s_delay_alu instid0(SALU_CYCLE_1)
	s_and_not1_b32 exec_lo, exec_lo, s26
	s_cbranch_execz .LBB103_78
.LBB103_9:                              ; =>This Loop Header: Depth=1
                                        ;     Child Loop BB103_24 Depth 2
                                        ;     Child Loop BB103_29 Depth 2
	;; [unrolled: 1-line block ×8, first 2 shown]
	v_add_co_u32 v17, vcc_lo, v17, 1
	s_delay_alu instid0(VALU_DEP_1) | instskip(SKIP_2) | instid1(VALU_DEP_1)
	v_cndmask_b32_e64 v4, 0, 1, vcc_lo
	v_add_co_ci_u32_e32 v18, vcc_lo, 0, v18, vcc_lo
	s_mov_b32 s20, exec_lo
	v_cmp_eq_u32_e32 vcc_lo, 0, v18
	s_delay_alu instid0(VALU_DEP_3) | instskip(NEXT) | instid1(VALU_DEP_1)
	v_cndmask_b32_e32 v4, 0, v4, vcc_lo
	v_add_nc_u32_e32 v36, v4, v36
	s_delay_alu instid0(VALU_DEP_1) | instskip(SKIP_2) | instid1(VALU_DEP_2)
	v_cmp_eq_u32_e32 vcc_lo, 0, v36
	v_mad_u64_u32 v[6:7], null, 0xcd9e8d57, v36, 0
	v_cndmask_b32_e32 v4, 0, v4, vcc_lo
	v_xor3_b32 v9, v7, v11, v18
	s_delay_alu instid0(VALU_DEP_2) | instskip(SKIP_1) | instid1(VALU_DEP_3)
	v_add_nc_u32_e32 v39, v4, v39
	v_mad_u64_u32 v[4:5], null, 0xd2511f53, v17, 0
	v_mad_u64_u32 v[7:8], null, 0xd2511f53, v9, 0
	s_delay_alu instid0(VALU_DEP_2) | instskip(NEXT) | instid1(VALU_DEP_2)
	v_xor_b32_e32 v5, v5, v12
	v_xor3_b32 v8, v19, v8, v4
	s_delay_alu instid0(VALU_DEP_2) | instskip(NEXT) | instid1(VALU_DEP_1)
	v_xor_b32_e32 v5, v39, v5
	v_mad_u64_u32 v[9:10], null, 0xcd9e8d57, v5, 0
	s_delay_alu instid0(VALU_DEP_3) | instskip(NEXT) | instid1(VALU_DEP_2)
	v_mad_u64_u32 v[4:5], null, 0xcd9e8d57, v8, 0
	v_xor3_b32 v6, v20, v10, v6
	s_delay_alu instid0(VALU_DEP_2) | instskip(NEXT) | instid1(VALU_DEP_2)
	v_xor3_b32 v8, v21, v5, v9
	v_mad_u64_u32 v[15:16], null, 0xd2511f53, v6, 0
	s_delay_alu instid0(VALU_DEP_2) | instskip(NEXT) | instid1(VALU_DEP_2)
	v_mad_u64_u32 v[5:6], null, 0xd2511f53, v8, 0
	v_xor3_b32 v9, v22, v16, v7
	s_delay_alu instid0(VALU_DEP_2) | instskip(NEXT) | instid1(VALU_DEP_2)
	v_xor3_b32 v6, v23, v6, v15
	v_mad_u64_u32 v[7:8], null, 0xcd9e8d57, v9, 0
	s_delay_alu instid0(VALU_DEP_1) | instskip(NEXT) | instid1(VALU_DEP_3)
	v_xor3_b32 v4, v24, v8, v4
	v_mad_u64_u32 v[8:9], null, 0xcd9e8d57, v6, 0
	s_delay_alu instid0(VALU_DEP_2) | instskip(NEXT) | instid1(VALU_DEP_2)
	v_mad_u64_u32 v[15:16], null, 0xd2511f53, v4, 0
	v_xor3_b32 v6, v25, v9, v7
	s_delay_alu instid0(VALU_DEP_2) | instskip(NEXT) | instid1(VALU_DEP_2)
	v_xor3_b32 v9, v27, v16, v5
	v_mad_u64_u32 v[4:5], null, 0xd2511f53, v6, 0
	s_delay_alu instid0(VALU_DEP_2) | instskip(NEXT) | instid1(VALU_DEP_2)
	v_mad_u64_u32 v[6:7], null, 0xcd9e8d57, v9, 0
	v_xor3_b32 v5, v30, v5, v15
	s_delay_alu instid0(VALU_DEP_2) | instskip(NEXT) | instid1(VALU_DEP_2)
	;; [unrolled: 6-line block ×6, first 2 shown]
	v_xor3_b32 v4, v6, v7, v28
	v_mov_b32_e32 v6, v10
	v_cmpx_lt_i32_e32 1, v26
	s_xor_b32 s20, exec_lo, s20
	s_cbranch_execnz .LBB103_12
; %bb.10:                               ;   in Loop: Header=BB103_9 Depth=1
	s_and_not1_saveexec_b32 s20, s20
	s_cbranch_execnz .LBB103_17
.LBB103_11:                             ;   in Loop: Header=BB103_9 Depth=1
	s_or_b32 exec_lo, exec_lo, s20
	s_delay_alu instid0(SALU_CYCLE_1)
	s_mov_b32 s35, exec_lo
	v_cmpx_gt_i64_e64 s[16:17], v[13:14]
	s_cbranch_execnz .LBB103_20
	s_branch .LBB103_34
.LBB103_12:                             ;   in Loop: Header=BB103_9 Depth=1
	s_mov_b32 s21, exec_lo
	v_cmpx_lt_i32_e32 2, v26
	s_xor_b32 s21, exec_lo, s21
; %bb.13:                               ;   in Loop: Header=BB103_9 Depth=1
	v_dual_mov_b32 v7, v3 :: v_dual_mov_b32 v8, v4
	v_mov_b32_e32 v9, v5
	s_delay_alu instid0(VALU_DEP_2) | instskip(NEXT) | instid1(VALU_DEP_2)
	v_dual_mov_b32 v0, v7 :: v_dual_mov_b32 v1, v8
	v_dual_mov_b32 v2, v9 :: v_dual_mov_b32 v3, v10
; %bb.14:                               ;   in Loop: Header=BB103_9 Depth=1
	s_and_not1_saveexec_b32 s21, s21
; %bb.15:                               ;   in Loop: Header=BB103_9 Depth=1
	s_delay_alu instid0(VALU_DEP_1)
	v_dual_mov_b32 v0, v2 :: v_dual_mov_b32 v1, v3
	v_dual_mov_b32 v2, v4 :: v_dual_mov_b32 v3, v5
; %bb.16:                               ;   in Loop: Header=BB103_9 Depth=1
	s_or_b32 exec_lo, exec_lo, s21
	s_and_not1_saveexec_b32 s20, s20
	s_cbranch_execz .LBB103_11
.LBB103_17:                             ;   in Loop: Header=BB103_9 Depth=1
	s_mov_b32 s21, exec_lo
	v_cmpx_eq_u32_e32 1, v26
; %bb.18:                               ;   in Loop: Header=BB103_9 Depth=1
	v_dual_mov_b32 v0, v1 :: v_dual_mov_b32 v1, v2
	v_dual_mov_b32 v2, v3 :: v_dual_mov_b32 v3, v4
; %bb.19:                               ;   in Loop: Header=BB103_9 Depth=1
	s_or_b32 exec_lo, exec_lo, s21
	s_delay_alu instid0(SALU_CYCLE_1) | instskip(NEXT) | instid1(SALU_CYCLE_1)
	s_or_b32 exec_lo, exec_lo, s20
	s_mov_b32 s35, exec_lo
	v_cmpx_gt_i64_e64 s[16:17], v[13:14]
	s_cbranch_execz .LBB103_34
.LBB103_20:                             ;   in Loop: Header=BB103_9 Depth=1
	s_and_not1_b32 vcc_lo, exec_lo, s11
	s_cbranch_vccnz .LBB103_26
; %bb.21:                               ;   in Loop: Header=BB103_9 Depth=1
	v_mov_b32_e32 v7, 0
	s_and_not1_b32 vcc_lo, exec_lo, s27
	s_cbranch_vccnz .LBB103_30
; %bb.22:                               ;   in Loop: Header=BB103_9 Depth=1
	s_and_not1_b32 vcc_lo, exec_lo, s30
	s_mov_b32 s20, 0
	s_cbranch_vccnz .LBB103_27
; %bb.23:                               ;   in Loop: Header=BB103_9 Depth=1
	v_dual_mov_b32 v7, 0 :: v_dual_mov_b32 v8, v13
	s_mov_b32 s36, 0
	s_mov_b64 s[20:21], s[12:13]
	s_mov_b64 s[22:23], s[0:1]
.LBB103_24:                             ;   Parent Loop BB103_9 Depth=1
                                        ; =>  This Inner Loop Header: Depth=2
	s_clause 0x1
	s_load_b256 s[40:47], s[20:21], 0x4
	s_load_b128 s[48:51], s[20:21], 0x24
	s_load_b128 s[52:55], s[22:23], 0x0
	s_add_u32 s20, s20, 48
	s_addc_u32 s21, s21, 0
	s_add_i32 s36, s36, 4
	s_add_u32 s22, s22, 16
	s_addc_u32 s23, s23, 0
	s_cmp_lg_u32 s31, s36
	s_waitcnt lgkmcnt(0)
	v_mul_hi_u32 v9, s41, v8
	s_delay_alu instid0(VALU_DEP_1) | instskip(NEXT) | instid1(VALU_DEP_1)
	v_add_nc_u32_e32 v9, v8, v9
	v_lshrrev_b32_e32 v9, s42, v9
	s_delay_alu instid0(VALU_DEP_1) | instskip(SKIP_1) | instid1(VALU_DEP_2)
	v_mul_hi_u32 v10, s44, v9
	v_mul_lo_u32 v41, v9, s40
	v_add_nc_u32_e32 v10, v9, v10
	s_delay_alu instid0(VALU_DEP_2) | instskip(NEXT) | instid1(VALU_DEP_2)
	v_sub_nc_u32_e32 v41, v8, v41
	v_lshrrev_b32_e32 v10, s45, v10
	s_delay_alu instid0(VALU_DEP_2) | instskip(NEXT) | instid1(VALU_DEP_2)
	v_mul_lo_u32 v41, v41, s52
	v_mul_hi_u32 v16, s47, v10
	v_mul_lo_u32 v42, v10, s43
	s_delay_alu instid0(VALU_DEP_2) | instskip(NEXT) | instid1(VALU_DEP_2)
	v_add_nc_u32_e32 v16, v10, v16
	v_sub_nc_u32_e32 v9, v9, v42
	s_delay_alu instid0(VALU_DEP_2) | instskip(NEXT) | instid1(VALU_DEP_2)
	v_lshrrev_b32_e32 v16, s48, v16
	v_mul_lo_u32 v9, v9, s53
	s_delay_alu instid0(VALU_DEP_2) | instskip(NEXT) | instid1(VALU_DEP_2)
	v_mul_hi_u32 v40, s50, v16
	v_add3_u32 v7, v41, v7, v9
	s_delay_alu instid0(VALU_DEP_2) | instskip(NEXT) | instid1(VALU_DEP_1)
	v_add_nc_u32_e32 v40, v16, v40
	v_lshrrev_b32_e32 v8, s51, v40
	v_mul_lo_u32 v40, v16, s46
	s_delay_alu instid0(VALU_DEP_2) | instskip(NEXT) | instid1(VALU_DEP_2)
	v_mul_lo_u32 v43, v8, s49
	v_sub_nc_u32_e32 v10, v10, v40
	s_delay_alu instid0(VALU_DEP_2) | instskip(NEXT) | instid1(VALU_DEP_2)
	v_sub_nc_u32_e32 v16, v16, v43
	v_mul_lo_u32 v10, v10, s54
	s_delay_alu instid0(VALU_DEP_2) | instskip(NEXT) | instid1(VALU_DEP_1)
	v_mul_lo_u32 v16, v16, s55
	v_add3_u32 v7, v10, v7, v16
	s_cbranch_scc1 .LBB103_24
; %bb.25:                               ;   in Loop: Header=BB103_9 Depth=1
	s_mov_b32 s20, s31
	s_and_not1_b32 vcc_lo, exec_lo, s34
	s_cbranch_vccz .LBB103_28
	s_branch .LBB103_30
.LBB103_26:                             ;   in Loop: Header=BB103_9 Depth=1
                                        ; implicit-def: $vgpr7
	s_branch .LBB103_31
.LBB103_27:                             ;   in Loop: Header=BB103_9 Depth=1
	v_mov_b32_e32 v8, v13
	s_and_not1_b32 vcc_lo, exec_lo, s34
	s_cbranch_vccnz .LBB103_30
.LBB103_28:                             ;   in Loop: Header=BB103_9 Depth=1
	s_lshl_b32 s21, s20, 2
	s_mul_i32 s22, s20, 12
	s_add_u32 s20, s0, s21
	s_addc_u32 s21, s1, 0
	s_add_u32 s22, s12, s22
	s_addc_u32 s23, s13, 0
	s_mov_b32 s36, s29
	.p2align	6
.LBB103_29:                             ;   Parent Loop BB103_9 Depth=1
                                        ; =>  This Inner Loop Header: Depth=2
	s_clause 0x1
	s_load_b64 s[38:39], s[22:23], 0x4
	s_load_b32 s37, s[22:23], 0xc
	s_add_u32 s22, s22, 12
	s_addc_u32 s23, s23, 0
	s_waitcnt lgkmcnt(0)
	v_mul_hi_u32 v9, s39, v8
	s_load_b32 s39, s[20:21], 0x0
	s_add_u32 s20, s20, 4
	s_addc_u32 s21, s21, 0
	s_add_i32 s36, s36, -1
	s_delay_alu instid0(SALU_CYCLE_1) | instskip(NEXT) | instid1(VALU_DEP_1)
	s_cmp_lg_u32 s36, 0
	v_add_nc_u32_e32 v9, v8, v9
	s_delay_alu instid0(VALU_DEP_1) | instskip(NEXT) | instid1(VALU_DEP_1)
	v_lshrrev_b32_e32 v16, s37, v9
	v_mul_lo_u32 v9, v16, s38
	s_delay_alu instid0(VALU_DEP_1) | instskip(SKIP_1) | instid1(VALU_DEP_1)
	v_sub_nc_u32_e32 v8, v8, v9
	s_waitcnt lgkmcnt(0)
	v_mad_u64_u32 v[9:10], null, v8, s39, v[7:8]
	s_delay_alu instid0(VALU_DEP_1)
	v_dual_mov_b32 v8, v16 :: v_dual_mov_b32 v7, v9
	s_cbranch_scc1 .LBB103_29
.LBB103_30:                             ;   in Loop: Header=BB103_9 Depth=1
	s_cbranch_execnz .LBB103_33
.LBB103_31:                             ;   in Loop: Header=BB103_9 Depth=1
	v_mul_hi_u32 v7, v13, s6
	s_and_not1_b32 vcc_lo, exec_lo, s4
	s_delay_alu instid0(VALU_DEP_1) | instskip(NEXT) | instid1(VALU_DEP_1)
	v_add_nc_u32_e32 v7, v7, v13
	v_lshrrev_b32_e32 v8, s7, v7
	s_delay_alu instid0(VALU_DEP_1) | instskip(NEXT) | instid1(VALU_DEP_1)
	v_mul_lo_u32 v7, v8, s5
	v_sub_nc_u32_e32 v7, v13, v7
	s_delay_alu instid0(VALU_DEP_1)
	v_mul_lo_u32 v7, v7, s14
	s_cbranch_vccnz .LBB103_33
; %bb.32:                               ;   in Loop: Header=BB103_9 Depth=1
	v_mul_hi_u32 v9, s9, v8
	s_delay_alu instid0(VALU_DEP_1) | instskip(NEXT) | instid1(VALU_DEP_1)
	v_add_nc_u32_e32 v9, v8, v9
	v_lshrrev_b32_e32 v9, s10, v9
	s_delay_alu instid0(VALU_DEP_1) | instskip(NEXT) | instid1(VALU_DEP_1)
	v_mul_lo_u32 v9, v9, s8
	v_sub_nc_u32_e32 v10, v8, v9
	s_delay_alu instid0(VALU_DEP_1) | instskip(NEXT) | instid1(VALU_DEP_1)
	v_mad_u64_u32 v[8:9], null, v10, s15, v[7:8]
	v_mov_b32_e32 v7, v8
.LBB103_33:                             ;   in Loop: Header=BB103_9 Depth=1
	v_mul_hi_u32 v8, 0xff00ff01, v0
	s_delay_alu instid0(VALU_DEP_1) | instskip(NEXT) | instid1(VALU_DEP_1)
	v_lshrrev_b32_e32 v8, 8, v8
	v_mul_u32_u24_e32 v8, 0x101, v8
	s_delay_alu instid0(VALU_DEP_1) | instskip(NEXT) | instid1(VALU_DEP_1)
	v_sub_nc_u32_e32 v0, v0, v8
	v_cvt_f32_u32_e32 v0, v0
	s_delay_alu instid0(VALU_DEP_1) | instskip(NEXT) | instid1(VALU_DEP_1)
	v_bfe_u32 v8, v0, 16, 1
	v_add3_u32 v0, v0, v8, 0x7fff
	global_store_d16_hi_b16 v7, v0, s[18:19]
.LBB103_34:                             ;   in Loop: Header=BB103_9 Depth=1
	s_or_b32 exec_lo, exec_lo, s35
	v_add_co_u32 v7, vcc_lo, v13, s24
	v_add_co_ci_u32_e32 v8, vcc_lo, 0, v14, vcc_lo
	s_mov_b32 s35, exec_lo
	s_delay_alu instid0(VALU_DEP_1)
	v_cmpx_gt_i64_e64 s[16:17], v[7:8]
	s_cbranch_execz .LBB103_49
; %bb.35:                               ;   in Loop: Header=BB103_9 Depth=1
	s_and_not1_b32 vcc_lo, exec_lo, s11
	s_cbranch_vccnz .LBB103_41
; %bb.36:                               ;   in Loop: Header=BB103_9 Depth=1
	v_mov_b32_e32 v0, 0
	s_and_not1_b32 vcc_lo, exec_lo, s27
	s_cbranch_vccnz .LBB103_45
; %bb.37:                               ;   in Loop: Header=BB103_9 Depth=1
	s_and_not1_b32 vcc_lo, exec_lo, s30
	s_mov_b32 s20, 0
	s_cbranch_vccnz .LBB103_42
; %bb.38:                               ;   in Loop: Header=BB103_9 Depth=1
	v_mov_b32_e32 v0, 0
	v_mov_b32_e32 v8, v7
	s_mov_b32 s36, 0
	s_mov_b64 s[20:21], s[12:13]
	s_mov_b64 s[22:23], s[0:1]
.LBB103_39:                             ;   Parent Loop BB103_9 Depth=1
                                        ; =>  This Inner Loop Header: Depth=2
	s_clause 0x1
	s_load_b256 s[40:47], s[20:21], 0x4
	s_load_b128 s[48:51], s[20:21], 0x24
	s_load_b128 s[52:55], s[22:23], 0x0
	s_add_u32 s20, s20, 48
	s_addc_u32 s21, s21, 0
	s_add_i32 s36, s36, 4
	s_add_u32 s22, s22, 16
	s_addc_u32 s23, s23, 0
	s_cmp_eq_u32 s31, s36
	s_waitcnt lgkmcnt(0)
	v_mul_hi_u32 v9, s41, v8
	s_delay_alu instid0(VALU_DEP_1) | instskip(NEXT) | instid1(VALU_DEP_1)
	v_add_nc_u32_e32 v9, v8, v9
	v_lshrrev_b32_e32 v9, s42, v9
	s_delay_alu instid0(VALU_DEP_1) | instskip(SKIP_1) | instid1(VALU_DEP_2)
	v_mul_hi_u32 v10, s44, v9
	v_mul_lo_u32 v41, v9, s40
	v_add_nc_u32_e32 v10, v9, v10
	s_delay_alu instid0(VALU_DEP_2) | instskip(NEXT) | instid1(VALU_DEP_2)
	v_sub_nc_u32_e32 v41, v8, v41
	v_lshrrev_b32_e32 v10, s45, v10
	s_delay_alu instid0(VALU_DEP_2) | instskip(NEXT) | instid1(VALU_DEP_2)
	v_mul_lo_u32 v41, v41, s52
	v_mul_hi_u32 v16, s47, v10
	v_mul_lo_u32 v42, v10, s43
	s_delay_alu instid0(VALU_DEP_2) | instskip(NEXT) | instid1(VALU_DEP_2)
	v_add_nc_u32_e32 v16, v10, v16
	v_sub_nc_u32_e32 v9, v9, v42
	s_delay_alu instid0(VALU_DEP_2) | instskip(NEXT) | instid1(VALU_DEP_2)
	v_lshrrev_b32_e32 v16, s48, v16
	v_mul_lo_u32 v9, v9, s53
	s_delay_alu instid0(VALU_DEP_2) | instskip(NEXT) | instid1(VALU_DEP_2)
	v_mul_hi_u32 v40, s50, v16
	v_add3_u32 v0, v41, v0, v9
	s_delay_alu instid0(VALU_DEP_2) | instskip(NEXT) | instid1(VALU_DEP_1)
	v_add_nc_u32_e32 v40, v16, v40
	v_lshrrev_b32_e32 v8, s51, v40
	v_mul_lo_u32 v40, v16, s46
	s_delay_alu instid0(VALU_DEP_2) | instskip(NEXT) | instid1(VALU_DEP_2)
	v_mul_lo_u32 v43, v8, s49
	v_sub_nc_u32_e32 v10, v10, v40
	s_delay_alu instid0(VALU_DEP_2) | instskip(NEXT) | instid1(VALU_DEP_2)
	v_sub_nc_u32_e32 v16, v16, v43
	v_mul_lo_u32 v10, v10, s54
	s_delay_alu instid0(VALU_DEP_2) | instskip(NEXT) | instid1(VALU_DEP_1)
	v_mul_lo_u32 v16, v16, s55
	v_add3_u32 v0, v10, v0, v16
	s_cbranch_scc0 .LBB103_39
; %bb.40:                               ;   in Loop: Header=BB103_9 Depth=1
	s_mov_b32 s20, s31
	s_and_not1_b32 vcc_lo, exec_lo, s34
	s_cbranch_vccz .LBB103_43
	s_branch .LBB103_45
.LBB103_41:                             ;   in Loop: Header=BB103_9 Depth=1
                                        ; implicit-def: $vgpr0
	s_branch .LBB103_46
.LBB103_42:                             ;   in Loop: Header=BB103_9 Depth=1
	v_mov_b32_e32 v8, v7
	s_and_not1_b32 vcc_lo, exec_lo, s34
	s_cbranch_vccnz .LBB103_45
.LBB103_43:                             ;   in Loop: Header=BB103_9 Depth=1
	s_lshl_b32 s21, s20, 2
	s_mul_i32 s22, s20, 12
	s_add_u32 s20, s0, s21
	s_addc_u32 s21, s1, 0
	s_add_u32 s22, s12, s22
	s_addc_u32 s23, s13, 0
	s_mov_b32 s36, s29
	.p2align	6
.LBB103_44:                             ;   Parent Loop BB103_9 Depth=1
                                        ; =>  This Inner Loop Header: Depth=2
	s_clause 0x1
	s_load_b64 s[38:39], s[22:23], 0x4
	s_load_b32 s37, s[22:23], 0xc
	s_add_u32 s22, s22, 12
	s_addc_u32 s23, s23, 0
	s_waitcnt lgkmcnt(0)
	v_mul_hi_u32 v9, s39, v8
	s_load_b32 s39, s[20:21], 0x0
	s_add_u32 s20, s20, 4
	s_addc_u32 s21, s21, 0
	s_add_i32 s36, s36, -1
	s_delay_alu instid0(SALU_CYCLE_1) | instskip(NEXT) | instid1(VALU_DEP_1)
	s_cmp_lg_u32 s36, 0
	v_add_nc_u32_e32 v9, v8, v9
	s_delay_alu instid0(VALU_DEP_1) | instskip(NEXT) | instid1(VALU_DEP_1)
	v_lshrrev_b32_e32 v16, s37, v9
	v_mul_lo_u32 v9, v16, s38
	s_delay_alu instid0(VALU_DEP_1) | instskip(SKIP_1) | instid1(VALU_DEP_1)
	v_sub_nc_u32_e32 v8, v8, v9
	s_waitcnt lgkmcnt(0)
	v_mad_u64_u32 v[9:10], null, v8, s39, v[0:1]
	v_mov_b32_e32 v8, v16
	s_delay_alu instid0(VALU_DEP_2)
	v_mov_b32_e32 v0, v9
	s_cbranch_scc1 .LBB103_44
.LBB103_45:                             ;   in Loop: Header=BB103_9 Depth=1
	s_cbranch_execnz .LBB103_48
.LBB103_46:                             ;   in Loop: Header=BB103_9 Depth=1
	v_mul_hi_u32 v0, v7, s6
	s_and_not1_b32 vcc_lo, exec_lo, s4
	s_delay_alu instid0(VALU_DEP_1) | instskip(NEXT) | instid1(VALU_DEP_1)
	v_add_nc_u32_e32 v0, v0, v7
	v_lshrrev_b32_e32 v8, s7, v0
	s_delay_alu instid0(VALU_DEP_1) | instskip(NEXT) | instid1(VALU_DEP_1)
	v_mul_lo_u32 v0, v8, s5
	v_sub_nc_u32_e32 v0, v7, v0
	s_delay_alu instid0(VALU_DEP_1)
	v_mul_lo_u32 v0, v0, s14
	s_cbranch_vccnz .LBB103_48
; %bb.47:                               ;   in Loop: Header=BB103_9 Depth=1
	v_mul_hi_u32 v7, s9, v8
	s_delay_alu instid0(VALU_DEP_1) | instskip(NEXT) | instid1(VALU_DEP_1)
	v_add_nc_u32_e32 v7, v8, v7
	v_lshrrev_b32_e32 v7, s10, v7
	s_delay_alu instid0(VALU_DEP_1) | instskip(NEXT) | instid1(VALU_DEP_1)
	v_mul_lo_u32 v7, v7, s8
	v_sub_nc_u32_e32 v9, v8, v7
	s_delay_alu instid0(VALU_DEP_1) | instskip(NEXT) | instid1(VALU_DEP_1)
	v_mad_u64_u32 v[7:8], null, v9, s15, v[0:1]
	v_mov_b32_e32 v0, v7
.LBB103_48:                             ;   in Loop: Header=BB103_9 Depth=1
	v_mul_hi_u32 v7, 0xff00ff01, v1
	s_delay_alu instid0(VALU_DEP_1) | instskip(NEXT) | instid1(VALU_DEP_1)
	v_lshrrev_b32_e32 v7, 8, v7
	v_mul_u32_u24_e32 v7, 0x101, v7
	s_delay_alu instid0(VALU_DEP_1) | instskip(NEXT) | instid1(VALU_DEP_1)
	v_sub_nc_u32_e32 v1, v1, v7
	v_cvt_f32_u32_e32 v1, v1
	s_delay_alu instid0(VALU_DEP_1) | instskip(NEXT) | instid1(VALU_DEP_1)
	v_bfe_u32 v7, v1, 16, 1
	v_add3_u32 v1, v1, v7, 0x7fff
	global_store_d16_hi_b16 v0, v1, s[18:19]
.LBB103_49:                             ;   in Loop: Header=BB103_9 Depth=1
	s_or_b32 exec_lo, exec_lo, s35
	v_add_co_u32 v0, vcc_lo, v13, s28
	v_add_co_ci_u32_e32 v1, vcc_lo, 0, v14, vcc_lo
	s_mov_b32 s35, exec_lo
	s_delay_alu instid0(VALU_DEP_1)
	v_cmpx_gt_i64_e64 s[16:17], v[0:1]
	s_cbranch_execz .LBB103_64
; %bb.50:                               ;   in Loop: Header=BB103_9 Depth=1
	s_and_not1_b32 vcc_lo, exec_lo, s11
	s_cbranch_vccnz .LBB103_56
; %bb.51:                               ;   in Loop: Header=BB103_9 Depth=1
	v_mov_b32_e32 v1, 0
	s_and_not1_b32 vcc_lo, exec_lo, s27
	s_cbranch_vccnz .LBB103_60
; %bb.52:                               ;   in Loop: Header=BB103_9 Depth=1
	s_and_not1_b32 vcc_lo, exec_lo, s30
	s_mov_b32 s20, 0
	s_cbranch_vccnz .LBB103_57
; %bb.53:                               ;   in Loop: Header=BB103_9 Depth=1
	v_mov_b32_e32 v1, 0
	v_mov_b32_e32 v7, v0
	s_mov_b32 s36, 0
	s_mov_b64 s[20:21], s[12:13]
	s_mov_b64 s[22:23], s[0:1]
.LBB103_54:                             ;   Parent Loop BB103_9 Depth=1
                                        ; =>  This Inner Loop Header: Depth=2
	s_clause 0x1
	s_load_b256 s[40:47], s[20:21], 0x4
	s_load_b128 s[48:51], s[20:21], 0x24
	s_load_b128 s[52:55], s[22:23], 0x0
	s_add_u32 s20, s20, 48
	s_addc_u32 s21, s21, 0
	s_add_i32 s36, s36, 4
	s_add_u32 s22, s22, 16
	s_addc_u32 s23, s23, 0
	s_cmp_eq_u32 s31, s36
	s_waitcnt lgkmcnt(0)
	v_mul_hi_u32 v8, s41, v7
	s_delay_alu instid0(VALU_DEP_1) | instskip(NEXT) | instid1(VALU_DEP_1)
	v_add_nc_u32_e32 v8, v7, v8
	v_lshrrev_b32_e32 v8, s42, v8
	s_delay_alu instid0(VALU_DEP_1) | instskip(SKIP_1) | instid1(VALU_DEP_2)
	v_mul_hi_u32 v9, s44, v8
	v_mul_lo_u32 v40, v8, s40
	v_add_nc_u32_e32 v9, v8, v9
	s_delay_alu instid0(VALU_DEP_2) | instskip(NEXT) | instid1(VALU_DEP_2)
	v_sub_nc_u32_e32 v40, v7, v40
	v_lshrrev_b32_e32 v9, s45, v9
	s_delay_alu instid0(VALU_DEP_2) | instskip(NEXT) | instid1(VALU_DEP_2)
	v_mul_lo_u32 v40, v40, s52
	v_mul_hi_u32 v10, s47, v9
	v_mul_lo_u32 v41, v9, s43
	s_delay_alu instid0(VALU_DEP_2) | instskip(NEXT) | instid1(VALU_DEP_2)
	v_add_nc_u32_e32 v10, v9, v10
	v_sub_nc_u32_e32 v8, v8, v41
	s_delay_alu instid0(VALU_DEP_2) | instskip(NEXT) | instid1(VALU_DEP_2)
	v_lshrrev_b32_e32 v10, s48, v10
	v_mul_lo_u32 v8, v8, s53
	s_delay_alu instid0(VALU_DEP_2) | instskip(NEXT) | instid1(VALU_DEP_2)
	v_mul_hi_u32 v16, s50, v10
	v_add3_u32 v1, v40, v1, v8
	s_delay_alu instid0(VALU_DEP_2) | instskip(NEXT) | instid1(VALU_DEP_1)
	v_add_nc_u32_e32 v16, v10, v16
	v_lshrrev_b32_e32 v7, s51, v16
	v_mul_lo_u32 v16, v10, s46
	s_delay_alu instid0(VALU_DEP_2) | instskip(NEXT) | instid1(VALU_DEP_2)
	v_mul_lo_u32 v42, v7, s49
	v_sub_nc_u32_e32 v9, v9, v16
	s_delay_alu instid0(VALU_DEP_2) | instskip(NEXT) | instid1(VALU_DEP_2)
	v_sub_nc_u32_e32 v10, v10, v42
	v_mul_lo_u32 v9, v9, s54
	s_delay_alu instid0(VALU_DEP_2) | instskip(NEXT) | instid1(VALU_DEP_1)
	v_mul_lo_u32 v10, v10, s55
	v_add3_u32 v1, v9, v1, v10
	s_cbranch_scc0 .LBB103_54
; %bb.55:                               ;   in Loop: Header=BB103_9 Depth=1
	s_mov_b32 s20, s31
	s_and_not1_b32 vcc_lo, exec_lo, s34
	s_cbranch_vccz .LBB103_58
	s_branch .LBB103_60
.LBB103_56:                             ;   in Loop: Header=BB103_9 Depth=1
                                        ; implicit-def: $vgpr1
	s_branch .LBB103_61
.LBB103_57:                             ;   in Loop: Header=BB103_9 Depth=1
	v_mov_b32_e32 v7, v0
	s_and_not1_b32 vcc_lo, exec_lo, s34
	s_cbranch_vccnz .LBB103_60
.LBB103_58:                             ;   in Loop: Header=BB103_9 Depth=1
	s_lshl_b32 s21, s20, 2
	s_mul_i32 s22, s20, 12
	s_add_u32 s20, s0, s21
	s_addc_u32 s21, s1, 0
	s_add_u32 s22, s12, s22
	s_addc_u32 s23, s13, 0
	s_mov_b32 s36, s29
	.p2align	6
.LBB103_59:                             ;   Parent Loop BB103_9 Depth=1
                                        ; =>  This Inner Loop Header: Depth=2
	s_clause 0x1
	s_load_b64 s[38:39], s[22:23], 0x4
	s_load_b32 s37, s[22:23], 0xc
	s_add_u32 s22, s22, 12
	s_addc_u32 s23, s23, 0
	s_waitcnt lgkmcnt(0)
	v_mul_hi_u32 v8, s39, v7
	s_load_b32 s39, s[20:21], 0x0
	s_add_u32 s20, s20, 4
	s_addc_u32 s21, s21, 0
	s_add_i32 s36, s36, -1
	s_delay_alu instid0(SALU_CYCLE_1) | instskip(NEXT) | instid1(VALU_DEP_1)
	s_cmp_lg_u32 s36, 0
	v_add_nc_u32_e32 v8, v7, v8
	s_delay_alu instid0(VALU_DEP_1) | instskip(NEXT) | instid1(VALU_DEP_1)
	v_lshrrev_b32_e32 v10, s37, v8
	v_mul_lo_u32 v8, v10, s38
	s_delay_alu instid0(VALU_DEP_1) | instskip(SKIP_1) | instid1(VALU_DEP_1)
	v_sub_nc_u32_e32 v7, v7, v8
	s_waitcnt lgkmcnt(0)
	v_mad_u64_u32 v[8:9], null, v7, s39, v[1:2]
	v_mov_b32_e32 v7, v10
	s_delay_alu instid0(VALU_DEP_2)
	v_mov_b32_e32 v1, v8
	s_cbranch_scc1 .LBB103_59
.LBB103_60:                             ;   in Loop: Header=BB103_9 Depth=1
	s_cbranch_execnz .LBB103_63
.LBB103_61:                             ;   in Loop: Header=BB103_9 Depth=1
	v_mul_hi_u32 v1, v0, s6
	s_and_not1_b32 vcc_lo, exec_lo, s4
	s_delay_alu instid0(VALU_DEP_1) | instskip(NEXT) | instid1(VALU_DEP_1)
	v_add_nc_u32_e32 v1, v1, v0
	v_lshrrev_b32_e32 v7, s7, v1
	s_delay_alu instid0(VALU_DEP_1) | instskip(NEXT) | instid1(VALU_DEP_1)
	v_mul_lo_u32 v1, v7, s5
	v_sub_nc_u32_e32 v0, v0, v1
	s_delay_alu instid0(VALU_DEP_1)
	v_mul_lo_u32 v1, v0, s14
	s_cbranch_vccnz .LBB103_63
; %bb.62:                               ;   in Loop: Header=BB103_9 Depth=1
	v_mul_hi_u32 v0, s9, v7
	s_delay_alu instid0(VALU_DEP_1) | instskip(NEXT) | instid1(VALU_DEP_1)
	v_add_nc_u32_e32 v0, v7, v0
	v_lshrrev_b32_e32 v0, s10, v0
	s_delay_alu instid0(VALU_DEP_1) | instskip(NEXT) | instid1(VALU_DEP_1)
	v_mul_lo_u32 v0, v0, s8
	v_sub_nc_u32_e32 v0, v7, v0
	s_delay_alu instid0(VALU_DEP_1) | instskip(NEXT) | instid1(VALU_DEP_1)
	v_mad_u64_u32 v[7:8], null, v0, s15, v[1:2]
	v_mov_b32_e32 v1, v7
.LBB103_63:                             ;   in Loop: Header=BB103_9 Depth=1
	v_mul_hi_u32 v0, 0xff00ff01, v2
	s_delay_alu instid0(VALU_DEP_1) | instskip(NEXT) | instid1(VALU_DEP_1)
	v_lshrrev_b32_e32 v0, 8, v0
	v_mul_u32_u24_e32 v0, 0x101, v0
	s_delay_alu instid0(VALU_DEP_1) | instskip(NEXT) | instid1(VALU_DEP_1)
	v_sub_nc_u32_e32 v0, v2, v0
	v_cvt_f32_u32_e32 v0, v0
	s_delay_alu instid0(VALU_DEP_1) | instskip(NEXT) | instid1(VALU_DEP_1)
	v_bfe_u32 v2, v0, 16, 1
	v_add3_u32 v0, v0, v2, 0x7fff
	global_store_d16_hi_b16 v1, v0, s[18:19]
.LBB103_64:                             ;   in Loop: Header=BB103_9 Depth=1
	s_or_b32 exec_lo, exec_lo, s35
	v_add_co_u32 v0, vcc_lo, v13, s33
	v_add_co_ci_u32_e32 v1, vcc_lo, 0, v14, vcc_lo
	s_mov_b32 s35, exec_lo
	s_delay_alu instid0(VALU_DEP_1)
	v_cmpx_gt_i64_e64 s[16:17], v[0:1]
	s_cbranch_execz .LBB103_8
; %bb.65:                               ;   in Loop: Header=BB103_9 Depth=1
	s_and_not1_b32 vcc_lo, exec_lo, s11
	s_cbranch_vccnz .LBB103_71
; %bb.66:                               ;   in Loop: Header=BB103_9 Depth=1
	v_mov_b32_e32 v1, 0
	s_and_not1_b32 vcc_lo, exec_lo, s27
	s_cbranch_vccnz .LBB103_75
; %bb.67:                               ;   in Loop: Header=BB103_9 Depth=1
	s_and_not1_b32 vcc_lo, exec_lo, s30
	s_mov_b32 s20, 0
	s_cbranch_vccnz .LBB103_72
; %bb.68:                               ;   in Loop: Header=BB103_9 Depth=1
	v_dual_mov_b32 v1, 0 :: v_dual_mov_b32 v2, v0
	s_mov_b32 s36, 0
	s_mov_b64 s[20:21], s[12:13]
	s_mov_b64 s[22:23], s[0:1]
.LBB103_69:                             ;   Parent Loop BB103_9 Depth=1
                                        ; =>  This Inner Loop Header: Depth=2
	s_clause 0x1
	s_load_b256 s[40:47], s[20:21], 0x4
	s_load_b128 s[48:51], s[20:21], 0x24
	s_load_b128 s[52:55], s[22:23], 0x0
	s_add_u32 s20, s20, 48
	s_addc_u32 s21, s21, 0
	s_add_i32 s36, s36, 4
	s_add_u32 s22, s22, 16
	s_addc_u32 s23, s23, 0
	s_cmp_eq_u32 s31, s36
	s_waitcnt lgkmcnt(0)
	v_mul_hi_u32 v7, s41, v2
	s_delay_alu instid0(VALU_DEP_1) | instskip(NEXT) | instid1(VALU_DEP_1)
	v_add_nc_u32_e32 v7, v2, v7
	v_lshrrev_b32_e32 v7, s42, v7
	s_delay_alu instid0(VALU_DEP_1) | instskip(SKIP_1) | instid1(VALU_DEP_2)
	v_mul_hi_u32 v8, s44, v7
	v_mul_lo_u32 v16, v7, s40
	v_add_nc_u32_e32 v8, v7, v8
	s_delay_alu instid0(VALU_DEP_2) | instskip(NEXT) | instid1(VALU_DEP_2)
	v_sub_nc_u32_e32 v16, v2, v16
	v_lshrrev_b32_e32 v8, s45, v8
	s_delay_alu instid0(VALU_DEP_2) | instskip(NEXT) | instid1(VALU_DEP_2)
	v_mul_lo_u32 v16, v16, s52
	v_mul_hi_u32 v9, s47, v8
	v_mul_lo_u32 v40, v8, s43
	s_delay_alu instid0(VALU_DEP_2) | instskip(NEXT) | instid1(VALU_DEP_2)
	v_add_nc_u32_e32 v9, v8, v9
	v_sub_nc_u32_e32 v7, v7, v40
	s_delay_alu instid0(VALU_DEP_2) | instskip(NEXT) | instid1(VALU_DEP_2)
	v_lshrrev_b32_e32 v9, s48, v9
	v_mul_lo_u32 v7, v7, s53
	s_delay_alu instid0(VALU_DEP_2) | instskip(NEXT) | instid1(VALU_DEP_2)
	v_mul_hi_u32 v10, s50, v9
	v_add3_u32 v1, v16, v1, v7
	s_delay_alu instid0(VALU_DEP_2) | instskip(NEXT) | instid1(VALU_DEP_1)
	v_add_nc_u32_e32 v10, v9, v10
	v_lshrrev_b32_e32 v2, s51, v10
	v_mul_lo_u32 v10, v9, s46
	s_delay_alu instid0(VALU_DEP_2) | instskip(NEXT) | instid1(VALU_DEP_2)
	v_mul_lo_u32 v41, v2, s49
	v_sub_nc_u32_e32 v8, v8, v10
	s_delay_alu instid0(VALU_DEP_2) | instskip(NEXT) | instid1(VALU_DEP_2)
	v_sub_nc_u32_e32 v9, v9, v41
	v_mul_lo_u32 v8, v8, s54
	s_delay_alu instid0(VALU_DEP_2) | instskip(NEXT) | instid1(VALU_DEP_1)
	v_mul_lo_u32 v9, v9, s55
	v_add3_u32 v1, v8, v1, v9
	s_cbranch_scc0 .LBB103_69
; %bb.70:                               ;   in Loop: Header=BB103_9 Depth=1
	s_mov_b32 s20, s31
	s_and_not1_b32 vcc_lo, exec_lo, s34
	s_cbranch_vccz .LBB103_73
	s_branch .LBB103_75
.LBB103_71:                             ;   in Loop: Header=BB103_9 Depth=1
                                        ; implicit-def: $vgpr1
	s_branch .LBB103_76
.LBB103_72:                             ;   in Loop: Header=BB103_9 Depth=1
	v_mov_b32_e32 v2, v0
	s_and_not1_b32 vcc_lo, exec_lo, s34
	s_cbranch_vccnz .LBB103_75
.LBB103_73:                             ;   in Loop: Header=BB103_9 Depth=1
	s_lshl_b32 s21, s20, 2
	s_mul_i32 s22, s20, 12
	s_add_u32 s20, s0, s21
	s_addc_u32 s21, s1, 0
	s_add_u32 s22, s12, s22
	s_addc_u32 s23, s13, 0
	s_mov_b32 s36, s29
	.p2align	6
.LBB103_74:                             ;   Parent Loop BB103_9 Depth=1
                                        ; =>  This Inner Loop Header: Depth=2
	s_clause 0x1
	s_load_b64 s[38:39], s[22:23], 0x4
	s_load_b32 s37, s[22:23], 0xc
	s_add_u32 s22, s22, 12
	s_addc_u32 s23, s23, 0
	s_waitcnt lgkmcnt(0)
	v_mul_hi_u32 v7, s39, v2
	s_load_b32 s39, s[20:21], 0x0
	s_add_u32 s20, s20, 4
	s_addc_u32 s21, s21, 0
	s_add_i32 s36, s36, -1
	s_delay_alu instid0(SALU_CYCLE_1) | instskip(NEXT) | instid1(VALU_DEP_1)
	s_cmp_lg_u32 s36, 0
	v_add_nc_u32_e32 v7, v2, v7
	s_delay_alu instid0(VALU_DEP_1) | instskip(NEXT) | instid1(VALU_DEP_1)
	v_lshrrev_b32_e32 v9, s37, v7
	v_mul_lo_u32 v7, v9, s38
	s_delay_alu instid0(VALU_DEP_1) | instskip(SKIP_1) | instid1(VALU_DEP_1)
	v_sub_nc_u32_e32 v2, v2, v7
	s_waitcnt lgkmcnt(0)
	v_mad_u64_u32 v[7:8], null, v2, s39, v[1:2]
	s_delay_alu instid0(VALU_DEP_1)
	v_dual_mov_b32 v2, v9 :: v_dual_mov_b32 v1, v7
	s_cbranch_scc1 .LBB103_74
.LBB103_75:                             ;   in Loop: Header=BB103_9 Depth=1
	s_cbranch_execnz .LBB103_7
.LBB103_76:                             ;   in Loop: Header=BB103_9 Depth=1
	v_mul_hi_u32 v1, v0, s6
	s_and_not1_b32 vcc_lo, exec_lo, s4
	s_delay_alu instid0(VALU_DEP_1) | instskip(NEXT) | instid1(VALU_DEP_1)
	v_add_nc_u32_e32 v1, v1, v0
	v_lshrrev_b32_e32 v2, s7, v1
	s_delay_alu instid0(VALU_DEP_1) | instskip(NEXT) | instid1(VALU_DEP_1)
	v_mul_lo_u32 v1, v2, s5
	v_sub_nc_u32_e32 v0, v0, v1
	s_delay_alu instid0(VALU_DEP_1)
	v_mul_lo_u32 v1, v0, s14
	s_cbranch_vccnz .LBB103_7
; %bb.77:                               ;   in Loop: Header=BB103_9 Depth=1
	v_mul_hi_u32 v0, s9, v2
	s_delay_alu instid0(VALU_DEP_1) | instskip(NEXT) | instid1(VALU_DEP_1)
	v_add_nc_u32_e32 v0, v2, v0
	v_lshrrev_b32_e32 v0, s10, v0
	s_delay_alu instid0(VALU_DEP_1) | instskip(NEXT) | instid1(VALU_DEP_1)
	v_mul_lo_u32 v0, v0, s8
	v_sub_nc_u32_e32 v0, v2, v0
	s_delay_alu instid0(VALU_DEP_1) | instskip(NEXT) | instid1(VALU_DEP_1)
	v_mad_u64_u32 v[7:8], null, v0, s15, v[1:2]
	v_mov_b32_e32 v1, v7
	s_branch .LBB103_7
.LBB103_78:
	s_endpgm
.LBB103_79:
                                        ; implicit-def: $sgpr2_sgpr3
	s_branch .LBB103_4
	.section	.rodata,"a",@progbits
	.p2align	6, 0x0
	.amdhsa_kernel _ZN2at6native12_GLOBAL__N_143distribution_elementwise_grid_stride_kernelIjLi4EZZZNS0_9templates4cuda13random_kernelIPNS_17CUDAGeneratorImplEEEvRNS_18TensorIteratorBaseET_ENKUlvE_clEvENKUlvE7_clEvEUlP25hiprandStatePhilox4_32_10E0_ZNS1_27distribution_nullary_kernelIN3c108BFloat16Ej15HIP_vector_typeIjLj4EES7_SF_ZZZNS5_IS7_EEvS9_SA_ENKSB_clEvENKSC_clEvEUljE_EEvS9_T2_RKT3_T4_EUlijE0_EEvlNS_15PhiloxCudaStateET1_SM_
		.amdhsa_group_segment_fixed_size 0
		.amdhsa_private_segment_fixed_size 0
		.amdhsa_kernarg_size 584
		.amdhsa_user_sgpr_count 15
		.amdhsa_user_sgpr_dispatch_ptr 0
		.amdhsa_user_sgpr_queue_ptr 0
		.amdhsa_user_sgpr_kernarg_segment_ptr 1
		.amdhsa_user_sgpr_dispatch_id 0
		.amdhsa_user_sgpr_private_segment_size 0
		.amdhsa_wavefront_size32 1
		.amdhsa_uses_dynamic_stack 0
		.amdhsa_enable_private_segment 0
		.amdhsa_system_sgpr_workgroup_id_x 1
		.amdhsa_system_sgpr_workgroup_id_y 0
		.amdhsa_system_sgpr_workgroup_id_z 0
		.amdhsa_system_sgpr_workgroup_info 0
		.amdhsa_system_vgpr_workitem_id 0
		.amdhsa_next_free_vgpr 44
		.amdhsa_next_free_sgpr 56
		.amdhsa_reserve_vcc 1
		.amdhsa_float_round_mode_32 0
		.amdhsa_float_round_mode_16_64 0
		.amdhsa_float_denorm_mode_32 3
		.amdhsa_float_denorm_mode_16_64 3
		.amdhsa_dx10_clamp 1
		.amdhsa_ieee_mode 1
		.amdhsa_fp16_overflow 0
		.amdhsa_workgroup_processor_mode 1
		.amdhsa_memory_ordered 1
		.amdhsa_forward_progress 0
		.amdhsa_shared_vgpr_count 0
		.amdhsa_exception_fp_ieee_invalid_op 0
		.amdhsa_exception_fp_denorm_src 0
		.amdhsa_exception_fp_ieee_div_zero 0
		.amdhsa_exception_fp_ieee_overflow 0
		.amdhsa_exception_fp_ieee_underflow 0
		.amdhsa_exception_fp_ieee_inexact 0
		.amdhsa_exception_int_div_zero 0
	.end_amdhsa_kernel
	.section	.text._ZN2at6native12_GLOBAL__N_143distribution_elementwise_grid_stride_kernelIjLi4EZZZNS0_9templates4cuda13random_kernelIPNS_17CUDAGeneratorImplEEEvRNS_18TensorIteratorBaseET_ENKUlvE_clEvENKUlvE7_clEvEUlP25hiprandStatePhilox4_32_10E0_ZNS1_27distribution_nullary_kernelIN3c108BFloat16Ej15HIP_vector_typeIjLj4EES7_SF_ZZZNS5_IS7_EEvS9_SA_ENKSB_clEvENKSC_clEvEUljE_EEvS9_T2_RKT3_T4_EUlijE0_EEvlNS_15PhiloxCudaStateET1_SM_,"axG",@progbits,_ZN2at6native12_GLOBAL__N_143distribution_elementwise_grid_stride_kernelIjLi4EZZZNS0_9templates4cuda13random_kernelIPNS_17CUDAGeneratorImplEEEvRNS_18TensorIteratorBaseET_ENKUlvE_clEvENKUlvE7_clEvEUlP25hiprandStatePhilox4_32_10E0_ZNS1_27distribution_nullary_kernelIN3c108BFloat16Ej15HIP_vector_typeIjLj4EES7_SF_ZZZNS5_IS7_EEvS9_SA_ENKSB_clEvENKSC_clEvEUljE_EEvS9_T2_RKT3_T4_EUlijE0_EEvlNS_15PhiloxCudaStateET1_SM_,comdat
.Lfunc_end103:
	.size	_ZN2at6native12_GLOBAL__N_143distribution_elementwise_grid_stride_kernelIjLi4EZZZNS0_9templates4cuda13random_kernelIPNS_17CUDAGeneratorImplEEEvRNS_18TensorIteratorBaseET_ENKUlvE_clEvENKUlvE7_clEvEUlP25hiprandStatePhilox4_32_10E0_ZNS1_27distribution_nullary_kernelIN3c108BFloat16Ej15HIP_vector_typeIjLj4EES7_SF_ZZZNS5_IS7_EEvS9_SA_ENKSB_clEvENKSC_clEvEUljE_EEvS9_T2_RKT3_T4_EUlijE0_EEvlNS_15PhiloxCudaStateET1_SM_, .Lfunc_end103-_ZN2at6native12_GLOBAL__N_143distribution_elementwise_grid_stride_kernelIjLi4EZZZNS0_9templates4cuda13random_kernelIPNS_17CUDAGeneratorImplEEEvRNS_18TensorIteratorBaseET_ENKUlvE_clEvENKUlvE7_clEvEUlP25hiprandStatePhilox4_32_10E0_ZNS1_27distribution_nullary_kernelIN3c108BFloat16Ej15HIP_vector_typeIjLj4EES7_SF_ZZZNS5_IS7_EEvS9_SA_ENKSB_clEvENKSC_clEvEUljE_EEvS9_T2_RKT3_T4_EUlijE0_EEvlNS_15PhiloxCudaStateET1_SM_
                                        ; -- End function
	.section	.AMDGPU.csdata,"",@progbits
; Kernel info:
; codeLenInByte = 5392
; NumSgprs: 58
; NumVgprs: 44
; ScratchSize: 0
; MemoryBound: 0
; FloatMode: 240
; IeeeMode: 1
; LDSByteSize: 0 bytes/workgroup (compile time only)
; SGPRBlocks: 7
; VGPRBlocks: 5
; NumSGPRsForWavesPerEU: 58
; NumVGPRsForWavesPerEU: 44
; Occupancy: 16
; WaveLimiterHint : 1
; COMPUTE_PGM_RSRC2:SCRATCH_EN: 0
; COMPUTE_PGM_RSRC2:USER_SGPR: 15
; COMPUTE_PGM_RSRC2:TRAP_HANDLER: 0
; COMPUTE_PGM_RSRC2:TGID_X_EN: 1
; COMPUTE_PGM_RSRC2:TGID_Y_EN: 0
; COMPUTE_PGM_RSRC2:TGID_Z_EN: 0
; COMPUTE_PGM_RSRC2:TIDIG_COMP_CNT: 0
	.section	.text._ZN2at6native12_GLOBAL__N_143distribution_elementwise_grid_stride_kernelImLi2EZZZNS0_9templates4cuda13random_kernelIPNS_17CUDAGeneratorImplEEEvRNS_18TensorIteratorBaseET_ENKUlvE_clEvENKUlvE8_clEvEUlP25hiprandStatePhilox4_32_10E_ZNS1_27distribution_nullary_kernelIbm15HIP_vector_typeIyLj2EES7_SF_ZZZNS5_IS7_EEvS9_SA_ENKSB_clEvENKSC_clEvEUlmE_EEvS9_T2_RKT3_T4_EUlimE_EEvlNS_15PhiloxCudaStateET1_SK_,"axG",@progbits,_ZN2at6native12_GLOBAL__N_143distribution_elementwise_grid_stride_kernelImLi2EZZZNS0_9templates4cuda13random_kernelIPNS_17CUDAGeneratorImplEEEvRNS_18TensorIteratorBaseET_ENKUlvE_clEvENKUlvE8_clEvEUlP25hiprandStatePhilox4_32_10E_ZNS1_27distribution_nullary_kernelIbm15HIP_vector_typeIyLj2EES7_SF_ZZZNS5_IS7_EEvS9_SA_ENKSB_clEvENKSC_clEvEUlmE_EEvS9_T2_RKT3_T4_EUlimE_EEvlNS_15PhiloxCudaStateET1_SK_,comdat
	.globl	_ZN2at6native12_GLOBAL__N_143distribution_elementwise_grid_stride_kernelImLi2EZZZNS0_9templates4cuda13random_kernelIPNS_17CUDAGeneratorImplEEEvRNS_18TensorIteratorBaseET_ENKUlvE_clEvENKUlvE8_clEvEUlP25hiprandStatePhilox4_32_10E_ZNS1_27distribution_nullary_kernelIbm15HIP_vector_typeIyLj2EES7_SF_ZZZNS5_IS7_EEvS9_SA_ENKSB_clEvENKSC_clEvEUlmE_EEvS9_T2_RKT3_T4_EUlimE_EEvlNS_15PhiloxCudaStateET1_SK_ ; -- Begin function _ZN2at6native12_GLOBAL__N_143distribution_elementwise_grid_stride_kernelImLi2EZZZNS0_9templates4cuda13random_kernelIPNS_17CUDAGeneratorImplEEEvRNS_18TensorIteratorBaseET_ENKUlvE_clEvENKUlvE8_clEvEUlP25hiprandStatePhilox4_32_10E_ZNS1_27distribution_nullary_kernelIbm15HIP_vector_typeIyLj2EES7_SF_ZZZNS5_IS7_EEvS9_SA_ENKSB_clEvENKSC_clEvEUlmE_EEvS9_T2_RKT3_T4_EUlimE_EEvlNS_15PhiloxCudaStateET1_SK_
	.p2align	8
	.type	_ZN2at6native12_GLOBAL__N_143distribution_elementwise_grid_stride_kernelImLi2EZZZNS0_9templates4cuda13random_kernelIPNS_17CUDAGeneratorImplEEEvRNS_18TensorIteratorBaseET_ENKUlvE_clEvENKUlvE8_clEvEUlP25hiprandStatePhilox4_32_10E_ZNS1_27distribution_nullary_kernelIbm15HIP_vector_typeIyLj2EES7_SF_ZZZNS5_IS7_EEvS9_SA_ENKSB_clEvENKSC_clEvEUlmE_EEvS9_T2_RKT3_T4_EUlimE_EEvlNS_15PhiloxCudaStateET1_SK_,@function
_ZN2at6native12_GLOBAL__N_143distribution_elementwise_grid_stride_kernelImLi2EZZZNS0_9templates4cuda13random_kernelIPNS_17CUDAGeneratorImplEEEvRNS_18TensorIteratorBaseET_ENKUlvE_clEvENKUlvE8_clEvEUlP25hiprandStatePhilox4_32_10E_ZNS1_27distribution_nullary_kernelIbm15HIP_vector_typeIyLj2EES7_SF_ZZZNS5_IS7_EEvS9_SA_ENKSB_clEvENKSC_clEvEUlmE_EEvS9_T2_RKT3_T4_EUlimE_EEvlNS_15PhiloxCudaStateET1_SK_: ; @_ZN2at6native12_GLOBAL__N_143distribution_elementwise_grid_stride_kernelImLi2EZZZNS0_9templates4cuda13random_kernelIPNS_17CUDAGeneratorImplEEEvRNS_18TensorIteratorBaseET_ENKUlvE_clEvENKUlvE8_clEvEUlP25hiprandStatePhilox4_32_10E_ZNS1_27distribution_nullary_kernelIbm15HIP_vector_typeIyLj2EES7_SF_ZZZNS5_IS7_EEvS9_SA_ENKSB_clEvENKSC_clEvEUlmE_EEvS9_T2_RKT3_T4_EUlimE_EEvlNS_15PhiloxCudaStateET1_SK_
; %bb.0:
	s_clause 0x2
	s_load_b64 s[8:9], s[0:1], 0x10
	s_load_b128 s[4:7], s[0:1], 0x0
	s_load_b32 s2, s[0:1], 0x20
	s_waitcnt lgkmcnt(0)
	v_dual_mov_b32 v2, s8 :: v_dual_mov_b32 v3, s9
	v_dual_mov_b32 v11, s7 :: v_dual_mov_b32 v10, s6
	s_bitcmp0_b32 s2, 0
	s_mov_b32 s2, 0
	s_cbranch_scc1 .LBB104_2
; %bb.1:
	v_dual_mov_b32 v1, s8 :: v_dual_mov_b32 v2, s9
	v_dual_mov_b32 v4, s6 :: v_dual_mov_b32 v5, s7
	s_load_b64 s[6:7], s[0:1], 0x18
	flat_load_b64 v[2:3], v[1:2]
	flat_load_b64 v[10:11], v[4:5]
	s_waitcnt vmcnt(1) lgkmcnt(0)
	v_add_co_u32 v2, vcc_lo, v2, s6
	v_add_co_ci_u32_e32 v3, vcc_lo, s7, v3, vcc_lo
.LBB104_2:
	s_clause 0x1
	s_load_b32 s3, s[0:1], 0x4c
	s_load_b32 s11, s[0:1], 0x40
	s_waitcnt lgkmcnt(0)
	s_and_b32 s10, s3, 0xffff
	s_add_u32 s6, s4, -1
	s_mul_i32 s8, s11, s10
	s_addc_u32 s3, s5, -1
	s_lshl_b32 s9, s8, 1
	s_cmp_lg_u64 s[2:3], 0
	s_cbranch_scc0 .LBB104_23
; %bb.3:
	v_cvt_f32_ubyte0_e32 v1, 0
	v_cvt_f32_u32_e32 v4, s9
	s_sub_u32 s12, 0, s9
	s_subb_u32 s13, 0, 0
	s_delay_alu instid0(VALU_DEP_1) | instskip(NEXT) | instid1(VALU_DEP_1)
	v_fmamk_f32 v1, v1, 0x4f800000, v4
	v_rcp_f32_e32 v1, v1
	s_waitcnt_depctr 0xfff
	v_mul_f32_e32 v1, 0x5f7ffffc, v1
	s_delay_alu instid0(VALU_DEP_1) | instskip(NEXT) | instid1(VALU_DEP_1)
	v_mul_f32_e32 v4, 0x2f800000, v1
	v_trunc_f32_e32 v4, v4
	s_delay_alu instid0(VALU_DEP_1) | instskip(SKIP_1) | instid1(VALU_DEP_2)
	v_fmamk_f32 v1, v4, 0xcf800000, v1
	v_cvt_u32_f32_e32 v4, v4
	v_cvt_u32_f32_e32 v1, v1
	s_delay_alu instid0(VALU_DEP_2) | instskip(NEXT) | instid1(VALU_DEP_2)
	v_readfirstlane_b32 s2, v4
	v_readfirstlane_b32 s7, v1
	s_delay_alu instid0(VALU_DEP_2) | instskip(NEXT) | instid1(VALU_DEP_1)
	s_mul_i32 s14, s12, s2
	s_mul_hi_u32 s17, s12, s7
	s_mul_i32 s16, s13, s7
	s_add_i32 s14, s17, s14
	s_mul_i32 s18, s12, s7
	s_add_i32 s14, s14, s16
	s_mul_hi_u32 s17, s7, s18
	s_mul_hi_u32 s19, s2, s18
	s_mul_i32 s16, s2, s18
	s_mul_hi_u32 s18, s7, s14
	s_mul_i32 s7, s7, s14
	s_mul_hi_u32 s20, s2, s14
	s_add_u32 s7, s17, s7
	s_addc_u32 s17, 0, s18
	s_add_u32 s7, s7, s16
	s_mul_i32 s14, s2, s14
	s_addc_u32 s7, s17, s19
	s_addc_u32 s16, s20, 0
	s_add_u32 s7, s7, s14
	s_addc_u32 s14, 0, s16
	v_add_co_u32 v1, s7, v1, s7
	s_delay_alu instid0(VALU_DEP_1) | instskip(SKIP_1) | instid1(VALU_DEP_1)
	s_cmp_lg_u32 s7, 0
	s_addc_u32 s2, s2, s14
	v_readfirstlane_b32 s7, v1
	s_mul_i32 s14, s12, s2
	s_delay_alu instid0(VALU_DEP_1)
	s_mul_hi_u32 s16, s12, s7
	s_mul_i32 s13, s13, s7
	s_add_i32 s14, s16, s14
	s_mul_i32 s12, s12, s7
	s_add_i32 s14, s14, s13
	s_mul_hi_u32 s16, s2, s12
	s_mul_i32 s17, s2, s12
	s_mul_hi_u32 s12, s7, s12
	s_mul_hi_u32 s18, s7, s14
	s_mul_i32 s7, s7, s14
	s_mul_hi_u32 s13, s2, s14
	s_add_u32 s7, s12, s7
	s_addc_u32 s12, 0, s18
	s_add_u32 s7, s7, s17
	s_mul_i32 s14, s2, s14
	s_addc_u32 s7, s12, s16
	s_addc_u32 s12, s13, 0
	s_add_u32 s7, s7, s14
	s_addc_u32 s12, 0, s12
	v_add_co_u32 v1, s7, v1, s7
	s_delay_alu instid0(VALU_DEP_1) | instskip(SKIP_2) | instid1(VALU_DEP_1)
	s_cmp_lg_u32 s7, 0
	s_addc_u32 s7, s2, s12
	s_ashr_i32 s12, s3, 31
	v_readfirstlane_b32 s14, v1
	s_add_u32 s2, s6, s12
	s_mov_b32 s13, s12
	s_addc_u32 s3, s3, s12
	s_delay_alu instid0(SALU_CYCLE_1) | instskip(NEXT) | instid1(SALU_CYCLE_1)
	s_xor_b64 s[2:3], s[2:3], s[12:13]
	s_mul_i32 s17, s2, s7
	s_mul_hi_u32 s18, s2, s14
	s_mul_hi_u32 s16, s2, s7
	;; [unrolled: 1-line block ×3, first 2 shown]
	s_mul_i32 s14, s3, s14
	s_add_u32 s17, s18, s17
	s_addc_u32 s16, 0, s16
	s_mul_hi_u32 s19, s3, s7
	s_add_u32 s14, s17, s14
	s_mul_i32 s7, s3, s7
	s_addc_u32 s14, s16, s20
	s_addc_u32 s16, s19, 0
	s_add_u32 s7, s14, s7
	s_addc_u32 s14, 0, s16
	s_mul_i32 s17, s9, s7
	s_add_u32 s16, s7, 1
	v_sub_co_u32 v1, s2, s2, s17
	s_mul_hi_u32 s17, s9, s7
	s_addc_u32 s18, s14, 0
	s_mul_i32 s19, s9, s14
	s_delay_alu instid0(VALU_DEP_1)
	v_sub_co_u32 v4, s20, v1, s9
	s_add_u32 s21, s7, 2
	s_addc_u32 s22, s14, 0
	s_add_i32 s17, s17, s19
	s_cmp_lg_u32 s2, 0
	v_readfirstlane_b32 s2, v4
	s_subb_u32 s3, s3, s17
	s_cmp_lg_u32 s20, 0
	s_subb_u32 s17, s3, 0
	s_delay_alu instid0(VALU_DEP_1) | instskip(SKIP_4) | instid1(SALU_CYCLE_1)
	s_cmp_ge_u32 s2, s9
	s_cselect_b32 s2, -1, 0
	s_cmp_eq_u32 s17, 0
	v_readfirstlane_b32 s17, v1
	s_cselect_b32 s2, s2, -1
	s_cmp_lg_u32 s2, 0
	s_cselect_b32 s2, s21, s16
	s_cselect_b32 s16, s22, s18
	s_cmp_ge_u32 s17, s9
	s_cselect_b32 s17, -1, 0
	s_cmp_eq_u32 s3, 0
	s_cselect_b32 s3, s17, -1
	s_delay_alu instid0(SALU_CYCLE_1) | instskip(SKIP_2) | instid1(SALU_CYCLE_1)
	s_cmp_lg_u32 s3, 0
	s_cselect_b32 s3, s16, s14
	s_cselect_b32 s2, s2, s7
	s_xor_b64 s[2:3], s[2:3], s[12:13]
	s_delay_alu instid0(SALU_CYCLE_1)
	s_sub_u32 s2, s2, s12
	s_subb_u32 s3, s3, s12
	s_cbranch_execnz .LBB104_5
.LBB104_4:
	v_cvt_f32_u32_e32 v1, s9
	s_sub_i32 s3, 0, s9
	s_delay_alu instid0(VALU_DEP_1) | instskip(SKIP_2) | instid1(VALU_DEP_1)
	v_rcp_iflag_f32_e32 v1, v1
	s_waitcnt_depctr 0xfff
	v_mul_f32_e32 v1, 0x4f7ffffe, v1
	v_cvt_u32_f32_e32 v1, v1
	s_delay_alu instid0(VALU_DEP_1) | instskip(NEXT) | instid1(VALU_DEP_1)
	v_readfirstlane_b32 s2, v1
	s_mul_i32 s3, s3, s2
	s_delay_alu instid0(SALU_CYCLE_1) | instskip(NEXT) | instid1(SALU_CYCLE_1)
	s_mul_hi_u32 s3, s2, s3
	s_add_i32 s2, s2, s3
	s_delay_alu instid0(SALU_CYCLE_1) | instskip(NEXT) | instid1(SALU_CYCLE_1)
	s_mul_hi_u32 s2, s6, s2
	s_mul_i32 s3, s2, s9
	s_delay_alu instid0(SALU_CYCLE_1)
	s_sub_i32 s3, s6, s3
	s_add_i32 s6, s2, 1
	s_sub_i32 s7, s3, s9
	s_cmp_ge_u32 s3, s9
	s_cselect_b32 s2, s6, s2
	s_cselect_b32 s3, s7, s3
	s_add_i32 s6, s2, 1
	s_cmp_ge_u32 s3, s9
	s_mov_b32 s3, 0
	s_cselect_b32 s2, s6, s2
.LBB104_5:
	v_mov_b32_e32 v1, 0
	s_add_u32 s2, s2, 1
	s_addc_u32 s3, s3, 0
	s_mul_hi_u32 s6, s8, s2
	s_mul_i32 s3, s8, s3
	v_mad_u64_u32 v[12:13], null, s10, s15, v[0:1]
	s_mul_hi_u32 s7, s11, s10
	s_add_i32 s3, s6, s3
	s_mul_i32 s7, s7, s2
	s_mul_i32 s2, s8, s2
	s_add_i32 s3, s3, s7
	s_mov_b32 s6, exec_lo
	s_lshl_b64 s[2:3], s[2:3], 1
	s_delay_alu instid0(SALU_CYCLE_1)
	v_cmpx_gt_i64_e64 s[2:3], v[12:13]
	s_cbranch_execz .LBB104_22
; %bb.6:
	v_mad_u64_u32 v[4:5], null, 0xcd9e8d57, v12, 0
	v_alignbit_b32 v16, v3, v2, 2
	v_lshrrev_b32_e32 v17, 2, v3
	s_waitcnt vmcnt(0)
	v_dual_mov_b32 v33, v11 :: v_dual_and_b32 v34, 3, v2
	v_add_co_u32 v19, null, 0x9e3779b9, v10
	v_mad_u64_u32 v[6:7], null, 0xd2511f53, v16, 0
	v_xor3_b32 v1, v10, v5, v17
	s_delay_alu instid0(VALU_DEP_4) | instskip(SKIP_1) | instid1(VALU_DEP_3)
	v_add_co_u32 v18, null, 0xbb67ae85, v33
	v_add_co_u32 v20, null, 0x3c6ef372, v10
	v_mad_u64_u32 v[8:9], null, 0xd2511f53, v1, 0
	v_xor_b32_e32 v1, v7, v11
	v_add_co_u32 v21, null, 0x76cf5d0a, v33
	v_add_co_u32 v22, null, 0x32370b8f, v33
	s_delay_alu instid0(VALU_DEP_3) | instskip(SKIP_3) | instid1(VALU_DEP_4)
	v_xor_b32_e32 v1, v1, v13
	v_xor3_b32 v3, v18, v9, v6
	v_add_co_u32 v23, null, 0xdaa66d2b, v10
	v_add_co_u32 v24, null, 0x78dde6e4, v10
	v_mad_u64_u32 v[5:6], null, 0xcd9e8d57, v1, 0
	s_delay_alu instid0(VALU_DEP_4) | instskip(SKIP_2) | instid1(VALU_DEP_4)
	v_mad_u64_u32 v[14:15], null, 0xcd9e8d57, v3, 0
	v_add_co_u32 v25, null, 0xed9eba14, v33
	v_add_co_u32 v26, null, 0xa9066899, v33
	v_xor3_b32 v1, v19, v6, v4
	v_add_co_u32 v27, null, 0x1715609d, v10
	v_xor3_b32 v7, v20, v15, v5
	v_add_co_u32 v28, null, 0xb54cda56, v10
	s_delay_alu instid0(VALU_DEP_4) | instskip(NEXT) | instid1(VALU_DEP_3)
	v_mad_u64_u32 v[3:4], null, 0xd2511f53, v1, 0
	v_mad_u64_u32 v[5:6], null, 0xd2511f53, v7, 0
	v_add_co_u32 v29, null, 0x646e171e, v33
	v_add_co_u32 v30, null, 0x1fd5c5a3, v33
	s_delay_alu instid0(VALU_DEP_4)
	v_xor3_b32 v1, v21, v4, v8
	v_add_co_u32 v31, null, 0x5384540f, v10
	v_xor3_b32 v8, v22, v6, v3
	s_clause 0x1
	s_load_b64 s[6:7], s[0:1], 0x30
	s_load_b32 s0, s[0:1], 0x38
	v_mad_u64_u32 v[3:4], null, 0xcd9e8d57, v1, 0
	v_add_co_u32 v32, null, 0xf1bbcdc8, v10
	v_mad_u64_u32 v[6:7], null, 0xcd9e8d57, v8, 0
	v_add_co_u32 v33, null, 0xdb3d7428, v33
	s_delay_alu instid0(VALU_DEP_4) | instskip(SKIP_3) | instid1(VALU_DEP_4)
	v_xor3_b32 v1, v23, v4, v14
	v_dual_mov_b32 v39, v12 :: v_dual_add_nc_u32 v36, 0x96a522ad, v11
	v_dual_mov_b32 v40, v13 :: v_dual_add_nc_u32 v35, 0x8ff34781, v10
	v_xor3_b32 v9, v24, v7, v3
	v_mad_u64_u32 v[3:4], null, 0xd2511f53, v1, 0
	s_delay_alu instid0(VALU_DEP_2) | instskip(SKIP_2) | instid1(VALU_DEP_2)
	v_mad_u64_u32 v[7:8], null, 0xd2511f53, v9, 0
	s_waitcnt lgkmcnt(0)
	s_mul_i32 s1, s11, s0
	v_xor3_b32 v1, v25, v4, v5
	s_mul_i32 s1, s1, s10
	s_delay_alu instid0(SALU_CYCLE_1) | instskip(NEXT) | instid1(VALU_DEP_2)
	s_lshl_b32 s1, s1, 1
	v_xor3_b32 v5, v26, v8, v3
	s_delay_alu instid0(VALU_DEP_2) | instskip(NEXT) | instid1(VALU_DEP_2)
	v_mad_u64_u32 v[3:4], null, 0xcd9e8d57, v1, 0
	v_mad_u64_u32 v[8:9], null, 0xcd9e8d57, v5, 0
	s_delay_alu instid0(VALU_DEP_2) | instskip(NEXT) | instid1(VALU_DEP_2)
	v_xor3_b32 v1, v27, v4, v6
	v_xor3_b32 v9, v28, v9, v3
	s_delay_alu instid0(VALU_DEP_2) | instskip(NEXT) | instid1(VALU_DEP_2)
	v_mad_u64_u32 v[3:4], null, 0xd2511f53, v1, 0
	v_mad_u64_u32 v[5:6], null, 0xd2511f53, v9, 0
	s_delay_alu instid0(VALU_DEP_2) | instskip(NEXT) | instid1(VALU_DEP_2)
	v_xor3_b32 v1, v29, v4, v7
	v_xor3_b32 v9, v30, v6, v3
	s_delay_alu instid0(VALU_DEP_2) | instskip(SKIP_1) | instid1(VALU_DEP_3)
	v_mad_u64_u32 v[3:4], null, 0xcd9e8d57, v1, 0
	v_mad_u64_u32 v[14:15], null, s15, s10, v[0:1]
	;; [unrolled: 1-line block ×3, first 2 shown]
	s_add_i32 s15, s15, s11
	s_delay_alu instid0(VALU_DEP_3) | instskip(SKIP_1) | instid1(VALU_DEP_4)
	v_xor3_b32 v4, v31, v4, v8
	v_mad_u64_u32 v[8:9], null, s15, s10, v[0:1]
	v_mul_lo_u32 v37, s0, v14
	s_delay_alu instid0(VALU_DEP_4) | instskip(NEXT) | instid1(VALU_DEP_4)
	v_xor3_b32 v6, v32, v7, v3
	v_mad_u64_u32 v[0:1], null, 0xd2511f53, v4, 0
	s_mov_b32 s10, 0
	s_delay_alu instid0(VALU_DEP_2) | instskip(SKIP_2) | instid1(VALU_DEP_3)
	v_mad_u64_u32 v[3:4], null, 0xd2511f53, v6, 0
	v_mul_lo_u32 v38, s0, v8
	s_mov_b32 s0, 0
	v_xor3_b32 v5, v33, v1, v5
	s_delay_alu instid0(VALU_DEP_1) | instskip(NEXT) | instid1(VALU_DEP_4)
	v_mad_u64_u32 v[1:2], null, 0xcd9e8d57, v5, 0
	v_xor3_b32 v2, v4, v0, v36
	s_branch .LBB104_8
.LBB104_7:                              ;   in Loop: Header=BB104_8 Depth=1
	s_or_b32 exec_lo, exec_lo, s11
	v_add_co_u32 v12, vcc_lo, v12, s9
	v_add_co_ci_u32_e32 v13, vcc_lo, 0, v13, vcc_lo
	v_mov_b32_e32 v6, v14
	v_mov_b32_e32 v0, v3
	v_dual_mov_b32 v1, v4 :: v_dual_mov_b32 v2, v5
	s_delay_alu instid0(VALU_DEP_4) | instskip(NEXT) | instid1(VALU_DEP_4)
	v_cmp_le_i64_e32 vcc_lo, s[2:3], v[12:13]
	v_mov_b32_e32 v3, v6
	s_add_i32 s10, s10, s1
	s_waitcnt_vscnt null, 0x0
	s_barrier
	buffer_gl0_inv
	s_or_b32 s0, vcc_lo, s0
	s_delay_alu instid0(SALU_CYCLE_1)
	s_and_not1_b32 exec_lo, exec_lo, s0
	s_cbranch_execz .LBB104_22
.LBB104_8:                              ; =>This Inner Loop Header: Depth=1
	v_add_co_u32 v16, vcc_lo, v16, 1
	s_delay_alu instid0(VALU_DEP_1) | instskip(SKIP_1) | instid1(VALU_DEP_3)
	v_cndmask_b32_e64 v0, 0, 1, vcc_lo
	v_add_co_ci_u32_e32 v17, vcc_lo, 0, v17, vcc_lo
	v_mad_u64_u32 v[4:5], null, 0xd2511f53, v16, 0
	s_mov_b32 s11, exec_lo
	s_delay_alu instid0(VALU_DEP_2) | instskip(SKIP_1) | instid1(VALU_DEP_1)
	v_cmp_eq_u32_e32 vcc_lo, 0, v17
	v_cndmask_b32_e32 v0, 0, v0, vcc_lo
	v_add_nc_u32_e32 v39, v0, v39
	s_delay_alu instid0(VALU_DEP_1) | instskip(SKIP_2) | instid1(VALU_DEP_2)
	v_cmp_eq_u32_e32 vcc_lo, 0, v39
	v_cndmask_b32_e32 v0, 0, v0, vcc_lo
	v_mad_u64_u32 v[6:7], null, 0xcd9e8d57, v39, 0
	v_add_nc_u32_e32 v40, v0, v40
	v_xor_b32_e32 v0, v5, v11
	s_delay_alu instid0(VALU_DEP_3) | instskip(NEXT) | instid1(VALU_DEP_2)
	v_xor3_b32 v5, v7, v10, v17
	v_xor_b32_e32 v0, v40, v0
	s_delay_alu instid0(VALU_DEP_2) | instskip(NEXT) | instid1(VALU_DEP_2)
	v_mad_u64_u32 v[7:8], null, 0xd2511f53, v5, 0
	v_mad_u64_u32 v[14:15], null, 0xcd9e8d57, v0, 0
	s_delay_alu instid0(VALU_DEP_2) | instskip(NEXT) | instid1(VALU_DEP_2)
	v_xor3_b32 v0, v18, v8, v4
	v_xor3_b32 v6, v19, v15, v6
	s_delay_alu instid0(VALU_DEP_2) | instskip(NEXT) | instid1(VALU_DEP_2)
	v_mad_u64_u32 v[4:5], null, 0xcd9e8d57, v0, 0
	v_mad_u64_u32 v[8:9], null, 0xd2511f53, v6, 0
	s_delay_alu instid0(VALU_DEP_2) | instskip(NEXT) | instid1(VALU_DEP_2)
	v_xor3_b32 v0, v20, v5, v14
	v_xor3_b32 v7, v21, v9, v7
	;; [unrolled: 6-line block ×9, first 2 shown]
	s_delay_alu instid0(VALU_DEP_2)
	v_mov_b32_e32 v5, v8
	v_cmpx_lt_i32_e32 1, v34
	s_xor_b32 s11, exec_lo, s11
	s_cbranch_execnz .LBB104_14
; %bb.9:                                ;   in Loop: Header=BB104_8 Depth=1
	s_and_not1_saveexec_b32 s11, s11
	s_cbranch_execnz .LBB104_19
.LBB104_10:                             ;   in Loop: Header=BB104_8 Depth=1
	s_or_b32 exec_lo, exec_lo, s11
	s_delay_alu instid0(SALU_CYCLE_1)
	s_mov_b32 s11, exec_lo
	v_cmpx_gt_i64_e64 s[4:5], v[12:13]
	s_cbranch_execz .LBB104_12
.LBB104_11:                             ;   in Loop: Header=BB104_8 Depth=1
	v_add_nc_u32_e32 v0, s10, v37
	s_delay_alu instid0(VALU_DEP_1) | instskip(SKIP_2) | instid1(VALU_DEP_3)
	v_ashrrev_i32_e32 v2, 31, v0
	v_add_co_u32 v6, vcc_lo, s6, v0
	v_and_b32_e32 v0, 1, v1
	v_add_co_ci_u32_e32 v7, vcc_lo, s7, v2, vcc_lo
	global_store_b8 v[6:7], v0, off
.LBB104_12:                             ;   in Loop: Header=BB104_8 Depth=1
	s_or_b32 exec_lo, exec_lo, s11
	v_add_co_u32 v0, vcc_lo, s8, v12
	v_add_co_ci_u32_e32 v1, vcc_lo, 0, v13, vcc_lo
	s_mov_b32 s11, exec_lo
	s_delay_alu instid0(VALU_DEP_1)
	v_cmpx_gt_i64_e64 s[4:5], v[0:1]
	s_cbranch_execz .LBB104_7
; %bb.13:                               ;   in Loop: Header=BB104_8 Depth=1
	v_add_nc_u32_e32 v0, s10, v38
	v_and_b32_e32 v2, 1, v3
	s_delay_alu instid0(VALU_DEP_2) | instskip(SKIP_1) | instid1(VALU_DEP_2)
	v_ashrrev_i32_e32 v1, 31, v0
	v_add_co_u32 v0, vcc_lo, s6, v0
	v_add_co_ci_u32_e32 v1, vcc_lo, s7, v1, vcc_lo
	global_store_b8 v[0:1], v2, off
	s_branch .LBB104_7
.LBB104_14:                             ;   in Loop: Header=BB104_8 Depth=1
	s_mov_b32 s12, exec_lo
	v_cmpx_lt_i32_e32 2, v34
	s_xor_b32 s12, exec_lo, s12
; %bb.15:                               ;   in Loop: Header=BB104_8 Depth=1
	v_dual_mov_b32 v0, v5 :: v_dual_mov_b32 v1, v6
	v_dual_mov_b32 v2, v7 :: v_dual_mov_b32 v3, v8
; %bb.16:                               ;   in Loop: Header=BB104_8 Depth=1
	s_and_not1_saveexec_b32 s12, s12
; %bb.17:                               ;   in Loop: Header=BB104_8 Depth=1
	s_delay_alu instid0(VALU_DEP_1)
	v_mov_b32_e32 v1, v3
	v_mov_b32_e32 v3, v4
; %bb.18:                               ;   in Loop: Header=BB104_8 Depth=1
	s_or_b32 exec_lo, exec_lo, s12
                                        ; implicit-def: $vgpr6_vgpr7_vgpr8_vgpr9
	s_and_not1_saveexec_b32 s11, s11
	s_cbranch_execz .LBB104_10
.LBB104_19:                             ;   in Loop: Header=BB104_8 Depth=1
	s_mov_b32 s12, exec_lo
	v_cmpx_eq_u32_e32 1, v34
; %bb.20:                               ;   in Loop: Header=BB104_8 Depth=1
	v_mov_b32_e32 v1, v2
	v_mov_b32_e32 v3, v6
; %bb.21:                               ;   in Loop: Header=BB104_8 Depth=1
	s_or_b32 exec_lo, exec_lo, s12
	s_delay_alu instid0(SALU_CYCLE_1) | instskip(NEXT) | instid1(SALU_CYCLE_1)
	s_or_b32 exec_lo, exec_lo, s11
	s_mov_b32 s11, exec_lo
	v_cmpx_gt_i64_e64 s[4:5], v[12:13]
	s_cbranch_execnz .LBB104_11
	s_branch .LBB104_12
.LBB104_22:
	s_endpgm
.LBB104_23:
                                        ; implicit-def: $sgpr2_sgpr3
	s_branch .LBB104_4
	.section	.rodata,"a",@progbits
	.p2align	6, 0x0
	.amdhsa_kernel _ZN2at6native12_GLOBAL__N_143distribution_elementwise_grid_stride_kernelImLi2EZZZNS0_9templates4cuda13random_kernelIPNS_17CUDAGeneratorImplEEEvRNS_18TensorIteratorBaseET_ENKUlvE_clEvENKUlvE8_clEvEUlP25hiprandStatePhilox4_32_10E_ZNS1_27distribution_nullary_kernelIbm15HIP_vector_typeIyLj2EES7_SF_ZZZNS5_IS7_EEvS9_SA_ENKSB_clEvENKSC_clEvEUlmE_EEvS9_T2_RKT3_T4_EUlimE_EEvlNS_15PhiloxCudaStateET1_SK_
		.amdhsa_group_segment_fixed_size 0
		.amdhsa_private_segment_fixed_size 0
		.amdhsa_kernarg_size 320
		.amdhsa_user_sgpr_count 15
		.amdhsa_user_sgpr_dispatch_ptr 0
		.amdhsa_user_sgpr_queue_ptr 0
		.amdhsa_user_sgpr_kernarg_segment_ptr 1
		.amdhsa_user_sgpr_dispatch_id 0
		.amdhsa_user_sgpr_private_segment_size 0
		.amdhsa_wavefront_size32 1
		.amdhsa_uses_dynamic_stack 0
		.amdhsa_enable_private_segment 0
		.amdhsa_system_sgpr_workgroup_id_x 1
		.amdhsa_system_sgpr_workgroup_id_y 0
		.amdhsa_system_sgpr_workgroup_id_z 0
		.amdhsa_system_sgpr_workgroup_info 0
		.amdhsa_system_vgpr_workitem_id 0
		.amdhsa_next_free_vgpr 43
		.amdhsa_next_free_sgpr 23
		.amdhsa_reserve_vcc 1
		.amdhsa_float_round_mode_32 0
		.amdhsa_float_round_mode_16_64 0
		.amdhsa_float_denorm_mode_32 3
		.amdhsa_float_denorm_mode_16_64 3
		.amdhsa_dx10_clamp 1
		.amdhsa_ieee_mode 1
		.amdhsa_fp16_overflow 0
		.amdhsa_workgroup_processor_mode 1
		.amdhsa_memory_ordered 1
		.amdhsa_forward_progress 0
		.amdhsa_shared_vgpr_count 0
		.amdhsa_exception_fp_ieee_invalid_op 0
		.amdhsa_exception_fp_denorm_src 0
		.amdhsa_exception_fp_ieee_div_zero 0
		.amdhsa_exception_fp_ieee_overflow 0
		.amdhsa_exception_fp_ieee_underflow 0
		.amdhsa_exception_fp_ieee_inexact 0
		.amdhsa_exception_int_div_zero 0
	.end_amdhsa_kernel
	.section	.text._ZN2at6native12_GLOBAL__N_143distribution_elementwise_grid_stride_kernelImLi2EZZZNS0_9templates4cuda13random_kernelIPNS_17CUDAGeneratorImplEEEvRNS_18TensorIteratorBaseET_ENKUlvE_clEvENKUlvE8_clEvEUlP25hiprandStatePhilox4_32_10E_ZNS1_27distribution_nullary_kernelIbm15HIP_vector_typeIyLj2EES7_SF_ZZZNS5_IS7_EEvS9_SA_ENKSB_clEvENKSC_clEvEUlmE_EEvS9_T2_RKT3_T4_EUlimE_EEvlNS_15PhiloxCudaStateET1_SK_,"axG",@progbits,_ZN2at6native12_GLOBAL__N_143distribution_elementwise_grid_stride_kernelImLi2EZZZNS0_9templates4cuda13random_kernelIPNS_17CUDAGeneratorImplEEEvRNS_18TensorIteratorBaseET_ENKUlvE_clEvENKUlvE8_clEvEUlP25hiprandStatePhilox4_32_10E_ZNS1_27distribution_nullary_kernelIbm15HIP_vector_typeIyLj2EES7_SF_ZZZNS5_IS7_EEvS9_SA_ENKSB_clEvENKSC_clEvEUlmE_EEvS9_T2_RKT3_T4_EUlimE_EEvlNS_15PhiloxCudaStateET1_SK_,comdat
.Lfunc_end104:
	.size	_ZN2at6native12_GLOBAL__N_143distribution_elementwise_grid_stride_kernelImLi2EZZZNS0_9templates4cuda13random_kernelIPNS_17CUDAGeneratorImplEEEvRNS_18TensorIteratorBaseET_ENKUlvE_clEvENKUlvE8_clEvEUlP25hiprandStatePhilox4_32_10E_ZNS1_27distribution_nullary_kernelIbm15HIP_vector_typeIyLj2EES7_SF_ZZZNS5_IS7_EEvS9_SA_ENKSB_clEvENKSC_clEvEUlmE_EEvS9_T2_RKT3_T4_EUlimE_EEvlNS_15PhiloxCudaStateET1_SK_, .Lfunc_end104-_ZN2at6native12_GLOBAL__N_143distribution_elementwise_grid_stride_kernelImLi2EZZZNS0_9templates4cuda13random_kernelIPNS_17CUDAGeneratorImplEEEvRNS_18TensorIteratorBaseET_ENKUlvE_clEvENKUlvE8_clEvEUlP25hiprandStatePhilox4_32_10E_ZNS1_27distribution_nullary_kernelIbm15HIP_vector_typeIyLj2EES7_SF_ZZZNS5_IS7_EEvS9_SA_ENKSB_clEvENKSC_clEvEUlmE_EEvS9_T2_RKT3_T4_EUlimE_EEvlNS_15PhiloxCudaStateET1_SK_
                                        ; -- End function
	.section	.AMDGPU.csdata,"",@progbits
; Kernel info:
; codeLenInByte = 2580
; NumSgprs: 25
; NumVgprs: 43
; ScratchSize: 0
; MemoryBound: 0
; FloatMode: 240
; IeeeMode: 1
; LDSByteSize: 0 bytes/workgroup (compile time only)
; SGPRBlocks: 3
; VGPRBlocks: 5
; NumSGPRsForWavesPerEU: 25
; NumVGPRsForWavesPerEU: 43
; Occupancy: 16
; WaveLimiterHint : 0
; COMPUTE_PGM_RSRC2:SCRATCH_EN: 0
; COMPUTE_PGM_RSRC2:USER_SGPR: 15
; COMPUTE_PGM_RSRC2:TRAP_HANDLER: 0
; COMPUTE_PGM_RSRC2:TGID_X_EN: 1
; COMPUTE_PGM_RSRC2:TGID_Y_EN: 0
; COMPUTE_PGM_RSRC2:TGID_Z_EN: 0
; COMPUTE_PGM_RSRC2:TIDIG_COMP_CNT: 0
	.section	.text._ZN2at6native12_GLOBAL__N_143distribution_elementwise_grid_stride_kernelImLi2EZZZNS0_9templates4cuda13random_kernelIPNS_17CUDAGeneratorImplEEEvRNS_18TensorIteratorBaseET_ENKUlvE_clEvENKUlvE8_clEvEUlP25hiprandStatePhilox4_32_10E_ZNS1_27distribution_nullary_kernelIbm15HIP_vector_typeIyLj2EES7_SF_ZZZNS5_IS7_EEvS9_SA_ENKSB_clEvENKSC_clEvEUlmE_EEvS9_T2_RKT3_T4_EUlimE0_EEvlNS_15PhiloxCudaStateET1_SK_,"axG",@progbits,_ZN2at6native12_GLOBAL__N_143distribution_elementwise_grid_stride_kernelImLi2EZZZNS0_9templates4cuda13random_kernelIPNS_17CUDAGeneratorImplEEEvRNS_18TensorIteratorBaseET_ENKUlvE_clEvENKUlvE8_clEvEUlP25hiprandStatePhilox4_32_10E_ZNS1_27distribution_nullary_kernelIbm15HIP_vector_typeIyLj2EES7_SF_ZZZNS5_IS7_EEvS9_SA_ENKSB_clEvENKSC_clEvEUlmE_EEvS9_T2_RKT3_T4_EUlimE0_EEvlNS_15PhiloxCudaStateET1_SK_,comdat
	.globl	_ZN2at6native12_GLOBAL__N_143distribution_elementwise_grid_stride_kernelImLi2EZZZNS0_9templates4cuda13random_kernelIPNS_17CUDAGeneratorImplEEEvRNS_18TensorIteratorBaseET_ENKUlvE_clEvENKUlvE8_clEvEUlP25hiprandStatePhilox4_32_10E_ZNS1_27distribution_nullary_kernelIbm15HIP_vector_typeIyLj2EES7_SF_ZZZNS5_IS7_EEvS9_SA_ENKSB_clEvENKSC_clEvEUlmE_EEvS9_T2_RKT3_T4_EUlimE0_EEvlNS_15PhiloxCudaStateET1_SK_ ; -- Begin function _ZN2at6native12_GLOBAL__N_143distribution_elementwise_grid_stride_kernelImLi2EZZZNS0_9templates4cuda13random_kernelIPNS_17CUDAGeneratorImplEEEvRNS_18TensorIteratorBaseET_ENKUlvE_clEvENKUlvE8_clEvEUlP25hiprandStatePhilox4_32_10E_ZNS1_27distribution_nullary_kernelIbm15HIP_vector_typeIyLj2EES7_SF_ZZZNS5_IS7_EEvS9_SA_ENKSB_clEvENKSC_clEvEUlmE_EEvS9_T2_RKT3_T4_EUlimE0_EEvlNS_15PhiloxCudaStateET1_SK_
	.p2align	8
	.type	_ZN2at6native12_GLOBAL__N_143distribution_elementwise_grid_stride_kernelImLi2EZZZNS0_9templates4cuda13random_kernelIPNS_17CUDAGeneratorImplEEEvRNS_18TensorIteratorBaseET_ENKUlvE_clEvENKUlvE8_clEvEUlP25hiprandStatePhilox4_32_10E_ZNS1_27distribution_nullary_kernelIbm15HIP_vector_typeIyLj2EES7_SF_ZZZNS5_IS7_EEvS9_SA_ENKSB_clEvENKSC_clEvEUlmE_EEvS9_T2_RKT3_T4_EUlimE0_EEvlNS_15PhiloxCudaStateET1_SK_,@function
_ZN2at6native12_GLOBAL__N_143distribution_elementwise_grid_stride_kernelImLi2EZZZNS0_9templates4cuda13random_kernelIPNS_17CUDAGeneratorImplEEEvRNS_18TensorIteratorBaseET_ENKUlvE_clEvENKUlvE8_clEvEUlP25hiprandStatePhilox4_32_10E_ZNS1_27distribution_nullary_kernelIbm15HIP_vector_typeIyLj2EES7_SF_ZZZNS5_IS7_EEvS9_SA_ENKSB_clEvENKSC_clEvEUlmE_EEvS9_T2_RKT3_T4_EUlimE0_EEvlNS_15PhiloxCudaStateET1_SK_: ; @_ZN2at6native12_GLOBAL__N_143distribution_elementwise_grid_stride_kernelImLi2EZZZNS0_9templates4cuda13random_kernelIPNS_17CUDAGeneratorImplEEEvRNS_18TensorIteratorBaseET_ENKUlvE_clEvENKUlvE8_clEvEUlP25hiprandStatePhilox4_32_10E_ZNS1_27distribution_nullary_kernelIbm15HIP_vector_typeIyLj2EES7_SF_ZZZNS5_IS7_EEvS9_SA_ENKSB_clEvENKSC_clEvEUlmE_EEvS9_T2_RKT3_T4_EUlimE0_EEvlNS_15PhiloxCudaStateET1_SK_
; %bb.0:
	s_clause 0x2
	s_load_b64 s[4:5], s[0:1], 0x10
	s_load_b128 s[16:19], s[0:1], 0x0
	s_load_b32 s2, s[0:1], 0x20
	s_waitcnt lgkmcnt(0)
	v_dual_mov_b32 v2, s4 :: v_dual_mov_b32 v3, s5
	v_dual_mov_b32 v10, s18 :: v_dual_mov_b32 v11, s19
	s_bitcmp0_b32 s2, 0
	s_mov_b32 s2, 0
	s_cbranch_scc1 .LBB105_2
; %bb.1:
	v_dual_mov_b32 v1, s4 :: v_dual_mov_b32 v2, s5
	v_dual_mov_b32 v4, s18 :: v_dual_mov_b32 v5, s19
	s_load_b64 s[4:5], s[0:1], 0x18
	flat_load_b64 v[2:3], v[1:2]
	flat_load_b64 v[10:11], v[4:5]
	s_waitcnt vmcnt(1) lgkmcnt(0)
	v_add_co_u32 v2, vcc_lo, v2, s4
	v_add_co_ci_u32_e32 v3, vcc_lo, s5, v3, vcc_lo
.LBB105_2:
	s_clause 0x1
	s_load_b32 s3, s[0:1], 0x154
	s_load_b32 s4, s[0:1], 0x148
	s_waitcnt lgkmcnt(0)
	s_and_b32 s5, s3, 0xffff
	s_add_u32 s6, s16, -1
	s_mul_i32 s24, s4, s5
	s_addc_u32 s3, s17, -1
	s_lshl_b32 s25, s24, 1
	s_cmp_lg_u64 s[2:3], 0
	s_cbranch_scc0 .LBB105_49
; %bb.3:
	v_cvt_f32_ubyte0_e32 v1, 0
	v_cvt_f32_u32_e32 v4, s25
	s_sub_u32 s8, 0, s25
	s_subb_u32 s9, 0, 0
	s_delay_alu instid0(VALU_DEP_1) | instskip(NEXT) | instid1(VALU_DEP_1)
	v_fmamk_f32 v1, v1, 0x4f800000, v4
	v_rcp_f32_e32 v1, v1
	s_waitcnt_depctr 0xfff
	v_mul_f32_e32 v1, 0x5f7ffffc, v1
	s_delay_alu instid0(VALU_DEP_1) | instskip(NEXT) | instid1(VALU_DEP_1)
	v_mul_f32_e32 v4, 0x2f800000, v1
	v_trunc_f32_e32 v4, v4
	s_delay_alu instid0(VALU_DEP_1) | instskip(SKIP_1) | instid1(VALU_DEP_2)
	v_fmamk_f32 v1, v4, 0xcf800000, v1
	v_cvt_u32_f32_e32 v4, v4
	v_cvt_u32_f32_e32 v1, v1
	s_delay_alu instid0(VALU_DEP_2) | instskip(NEXT) | instid1(VALU_DEP_2)
	v_readfirstlane_b32 s2, v4
	v_readfirstlane_b32 s7, v1
	s_delay_alu instid0(VALU_DEP_2) | instskip(NEXT) | instid1(VALU_DEP_1)
	s_mul_i32 s10, s8, s2
	s_mul_hi_u32 s12, s8, s7
	s_mul_i32 s11, s9, s7
	s_add_i32 s10, s12, s10
	s_mul_i32 s13, s8, s7
	s_add_i32 s10, s10, s11
	s_mul_hi_u32 s12, s7, s13
	s_mul_hi_u32 s14, s2, s13
	s_mul_i32 s11, s2, s13
	s_mul_hi_u32 s13, s7, s10
	s_mul_i32 s7, s7, s10
	s_mul_hi_u32 s18, s2, s10
	s_add_u32 s7, s12, s7
	s_addc_u32 s12, 0, s13
	s_add_u32 s7, s7, s11
	s_mul_i32 s10, s2, s10
	s_addc_u32 s7, s12, s14
	s_addc_u32 s11, s18, 0
	s_add_u32 s7, s7, s10
	s_addc_u32 s10, 0, s11
	v_add_co_u32 v1, s7, v1, s7
	s_delay_alu instid0(VALU_DEP_1) | instskip(SKIP_1) | instid1(VALU_DEP_1)
	s_cmp_lg_u32 s7, 0
	s_addc_u32 s2, s2, s10
	v_readfirstlane_b32 s7, v1
	s_mul_i32 s10, s8, s2
	s_delay_alu instid0(VALU_DEP_1)
	s_mul_hi_u32 s11, s8, s7
	s_mul_i32 s9, s9, s7
	s_add_i32 s10, s11, s10
	s_mul_i32 s8, s8, s7
	s_add_i32 s10, s10, s9
	s_mul_hi_u32 s11, s2, s8
	s_mul_i32 s12, s2, s8
	s_mul_hi_u32 s8, s7, s8
	s_mul_hi_u32 s13, s7, s10
	s_mul_i32 s7, s7, s10
	s_mul_hi_u32 s9, s2, s10
	s_add_u32 s7, s8, s7
	s_addc_u32 s8, 0, s13
	s_add_u32 s7, s7, s12
	s_mul_i32 s10, s2, s10
	s_addc_u32 s7, s8, s11
	s_addc_u32 s8, s9, 0
	s_add_u32 s7, s7, s10
	s_addc_u32 s8, 0, s8
	v_add_co_u32 v1, s7, v1, s7
	s_delay_alu instid0(VALU_DEP_1) | instskip(SKIP_2) | instid1(VALU_DEP_1)
	s_cmp_lg_u32 s7, 0
	s_addc_u32 s7, s2, s8
	s_ashr_i32 s8, s3, 31
	v_readfirstlane_b32 s10, v1
	s_add_u32 s2, s6, s8
	s_mov_b32 s9, s8
	s_addc_u32 s3, s3, s8
	s_delay_alu instid0(SALU_CYCLE_1) | instskip(NEXT) | instid1(SALU_CYCLE_1)
	s_xor_b64 s[2:3], s[2:3], s[8:9]
	s_mul_i32 s12, s2, s7
	s_mul_hi_u32 s13, s2, s10
	s_mul_hi_u32 s11, s2, s7
	;; [unrolled: 1-line block ×3, first 2 shown]
	s_mul_i32 s10, s3, s10
	s_add_u32 s12, s13, s12
	s_addc_u32 s11, 0, s11
	s_mul_hi_u32 s14, s3, s7
	s_add_u32 s10, s12, s10
	s_mul_i32 s7, s3, s7
	s_addc_u32 s10, s11, s18
	s_addc_u32 s11, s14, 0
	s_add_u32 s7, s10, s7
	s_addc_u32 s10, 0, s11
	s_mul_i32 s12, s25, s7
	s_add_u32 s11, s7, 1
	v_sub_co_u32 v1, s2, s2, s12
	s_mul_hi_u32 s12, s25, s7
	s_addc_u32 s13, s10, 0
	s_mul_i32 s14, s25, s10
	s_delay_alu instid0(VALU_DEP_1)
	v_sub_co_u32 v4, s18, v1, s25
	s_add_u32 s19, s7, 2
	s_addc_u32 s20, s10, 0
	s_add_i32 s12, s12, s14
	s_cmp_lg_u32 s2, 0
	v_readfirstlane_b32 s2, v4
	s_subb_u32 s3, s3, s12
	s_cmp_lg_u32 s18, 0
	s_subb_u32 s12, s3, 0
	s_delay_alu instid0(VALU_DEP_1) | instskip(SKIP_4) | instid1(SALU_CYCLE_1)
	s_cmp_ge_u32 s2, s25
	s_cselect_b32 s2, -1, 0
	s_cmp_eq_u32 s12, 0
	v_readfirstlane_b32 s12, v1
	s_cselect_b32 s2, s2, -1
	s_cmp_lg_u32 s2, 0
	s_cselect_b32 s2, s19, s11
	s_cselect_b32 s11, s20, s13
	s_cmp_ge_u32 s12, s25
	s_cselect_b32 s12, -1, 0
	s_cmp_eq_u32 s3, 0
	s_cselect_b32 s3, s12, -1
	s_delay_alu instid0(SALU_CYCLE_1) | instskip(SKIP_2) | instid1(SALU_CYCLE_1)
	s_cmp_lg_u32 s3, 0
	s_cselect_b32 s3, s11, s10
	s_cselect_b32 s2, s2, s7
	s_xor_b64 s[2:3], s[2:3], s[8:9]
	s_delay_alu instid0(SALU_CYCLE_1)
	s_sub_u32 s2, s2, s8
	s_subb_u32 s3, s3, s8
	s_cbranch_execnz .LBB105_5
.LBB105_4:
	v_cvt_f32_u32_e32 v1, s25
	s_sub_i32 s3, 0, s25
	s_delay_alu instid0(VALU_DEP_1) | instskip(SKIP_2) | instid1(VALU_DEP_1)
	v_rcp_iflag_f32_e32 v1, v1
	s_waitcnt_depctr 0xfff
	v_mul_f32_e32 v1, 0x4f7ffffe, v1
	v_cvt_u32_f32_e32 v1, v1
	s_delay_alu instid0(VALU_DEP_1) | instskip(NEXT) | instid1(VALU_DEP_1)
	v_readfirstlane_b32 s2, v1
	s_mul_i32 s3, s3, s2
	s_delay_alu instid0(SALU_CYCLE_1) | instskip(NEXT) | instid1(SALU_CYCLE_1)
	s_mul_hi_u32 s3, s2, s3
	s_add_i32 s2, s2, s3
	s_delay_alu instid0(SALU_CYCLE_1) | instskip(NEXT) | instid1(SALU_CYCLE_1)
	s_mul_hi_u32 s2, s6, s2
	s_mul_i32 s3, s2, s25
	s_delay_alu instid0(SALU_CYCLE_1)
	s_sub_i32 s3, s6, s3
	s_add_i32 s6, s2, 1
	s_sub_i32 s7, s3, s25
	s_cmp_ge_u32 s3, s25
	s_cselect_b32 s2, s6, s2
	s_cselect_b32 s3, s7, s3
	s_add_i32 s6, s2, 1
	s_cmp_ge_u32 s3, s25
	s_mov_b32 s3, 0
	s_cselect_b32 s2, s6, s2
.LBB105_5:
	v_mov_b32_e32 v1, 0
	s_add_u32 s2, s2, 1
	s_addc_u32 s3, s3, 0
	s_mul_hi_u32 s6, s24, s2
	s_mul_i32 s3, s24, s3
	v_mad_u64_u32 v[12:13], null, s5, s15, v[0:1]
	s_mul_hi_u32 s4, s4, s5
	s_add_i32 s3, s6, s3
	s_mul_i32 s4, s4, s2
	s_mul_i32 s2, s24, s2
	s_add_i32 s3, s3, s4
	s_mov_b32 s4, exec_lo
	s_lshl_b64 s[2:3], s[2:3], 1
	s_delay_alu instid0(SALU_CYCLE_1)
	v_cmpx_gt_i64_e64 s[2:3], v[12:13]
	s_cbranch_execz .LBB105_48
; %bb.6:
	v_alignbit_b32 v16, v3, v2, 2
	v_mad_u64_u32 v[0:1], null, 0xcd9e8d57, v12, 0
	v_lshrrev_b32_e32 v17, 2, v3
	s_waitcnt vmcnt(0)
	v_dual_mov_b32 v9, v11 :: v_dual_and_b32 v26, 3, v2
	v_mad_u64_u32 v[3:4], null, 0xd2511f53, v16, 0
	v_add_co_u32 v19, null, 0x9e3779b9, v10
	v_xor3_b32 v1, v10, v1, v17
	s_delay_alu instid0(VALU_DEP_4) | instskip(SKIP_2) | instid1(VALU_DEP_4)
	v_add_co_u32 v18, null, 0xbb67ae85, v9
	v_add_co_u32 v20, null, 0x3c6ef372, v10
	v_xor_b32_e32 v6, v4, v11
	v_mad_u64_u32 v[4:5], null, 0xd2511f53, v1, 0
	v_add_co_u32 v21, null, 0x76cf5d0a, v9
	s_delay_alu instid0(VALU_DEP_3) | instskip(SKIP_3) | instid1(VALU_DEP_4)
	v_xor_b32_e32 v1, v6, v13
	v_add_co_u32 v22, null, 0x32370b8f, v9
	v_add_co_u32 v23, null, 0xdaa66d2b, v10
	v_xor3_b32 v3, v18, v5, v3
	v_mad_u64_u32 v[5:6], null, 0xcd9e8d57, v1, 0
	v_add_co_u32 v24, null, 0x78dde6e4, v10
	s_delay_alu instid0(VALU_DEP_3) | instskip(SKIP_1) | instid1(VALU_DEP_4)
	v_mad_u64_u32 v[7:8], null, 0xcd9e8d57, v3, 0
	v_add_co_u32 v25, null, 0xed9eba14, v9
	v_xor3_b32 v3, v19, v6, v0
	v_add_co_u32 v27, null, 0xa9066899, v9
	v_add_co_u32 v29, null, 0x1715609d, v10
	v_xor3_b32 v8, v20, v8, v5
	s_delay_alu instid0(VALU_DEP_4) | instskip(SKIP_1) | instid1(VALU_DEP_3)
	v_mad_u64_u32 v[0:1], null, 0xd2511f53, v3, 0
	v_add_co_u32 v30, null, 0xb54cda56, v10
	v_mad_u64_u32 v[5:6], null, 0xd2511f53, v8, 0
	v_add_co_u32 v32, null, 0x646e171e, v9
	s_delay_alu instid0(VALU_DEP_4) | instskip(SKIP_2) | instid1(VALU_DEP_4)
	v_xor3_b32 v3, v21, v1, v4
	s_load_b256 s[4:11], s[0:1], 0x30
	v_add_co_u32 v33, null, 0x1fd5c5a3, v9
	v_xor3_b32 v6, v22, v6, v0
	s_delay_alu instid0(VALU_DEP_3) | instskip(SKIP_1) | instid1(VALU_DEP_3)
	v_mad_u64_u32 v[0:1], null, 0xcd9e8d57, v3, 0
	v_add_co_u32 v28, null, 0x5384540f, v10
	v_mad_u64_u32 v[3:4], null, 0xcd9e8d57, v6, 0
	v_add_co_u32 v31, null, 0xf1bbcdc8, v10
	s_delay_alu instid0(VALU_DEP_4)
	v_xor3_b32 v6, v23, v1, v7
	s_add_u32 s12, s0, 48
	s_addc_u32 s13, s1, 0
	s_clause 0x1
	s_load_b64 s[14:15], s[0:1], 0xf4
	s_load_b64 s[18:19], s[0:1], 0x138
	v_xor3_b32 v4, v24, v4, v0
	v_mad_u64_u32 v[0:1], null, 0xd2511f53, v6, 0
	v_add_co_u32 v34, null, 0xdb3d7428, v9
	s_delay_alu instid0(VALU_DEP_3) | instskip(SKIP_3) | instid1(VALU_DEP_4)
	v_mad_u64_u32 v[6:7], null, 0xd2511f53, v4, 0
	s_waitcnt lgkmcnt(0)
	s_add_i32 s20, s4, -1
	v_dual_mov_b32 v37, v12 :: v_dual_add_nc_u32 v36, 0x96a522ad, v11
	v_xor3_b32 v2, v25, v1, v5
	s_cmp_gt_u32 s20, 1
	v_dual_mov_b32 v38, v13 :: v_dual_add_nc_u32 v35, 0x8ff34781, v10
	s_delay_alu instid0(VALU_DEP_4) | instskip(NEXT) | instid1(VALU_DEP_3)
	v_xor3_b32 v7, v27, v7, v0
	v_mad_u64_u32 v[0:1], null, 0xcd9e8d57, v2, 0
	s_cselect_b32 s11, -1, 0
	s_cmp_lg_u32 s4, 0
	s_delay_alu instid0(VALU_DEP_2) | instskip(SKIP_2) | instid1(VALU_DEP_2)
	v_mad_u64_u32 v[4:5], null, 0xcd9e8d57, v7, 0
	s_cselect_b32 s27, -1, 0
	s_add_u32 s0, s0, 0xf4
	v_xor3_b32 v2, v29, v1, v3
	s_addc_u32 s1, s1, 0
	s_min_u32 s21, s20, 15
	s_cmp_gt_u32 s4, 1
	s_delay_alu instid0(VALU_DEP_2) | instskip(SKIP_3) | instid1(VALU_DEP_2)
	v_xor3_b32 v5, v30, v5, v0
	v_mad_u64_u32 v[0:1], null, 0xd2511f53, v2, 0
	s_cselect_b32 s4, -1, 0
	s_add_i32 s21, s21, 1
	v_mad_u64_u32 v[2:3], null, 0xd2511f53, v5, 0
	s_and_b32 s28, s21, 3
	s_cmp_lg_u32 s20, 2
	s_delay_alu instid0(VALU_DEP_2) | instskip(SKIP_3) | instid1(VALU_DEP_2)
	v_xor3_b32 v5, v32, v1, v6
	s_cselect_b32 s29, -1, 0
	s_and_b32 s30, s21, 28
	s_cmp_lg_u32 s28, 0
	v_xor3_b32 v3, v33, v3, v0
	v_mad_u64_u32 v[0:1], null, 0xcd9e8d57, v5, 0
	s_mov_b32 s26, 0
	s_cselect_b32 s31, -1, 0
	s_delay_alu instid0(VALU_DEP_2) | instskip(NEXT) | instid1(VALU_DEP_2)
	v_mad_u64_u32 v[5:6], null, 0xcd9e8d57, v3, 0
	v_xor3_b32 v3, v28, v1, v4
	s_delay_alu instid0(VALU_DEP_2) | instskip(NEXT) | instid1(VALU_DEP_2)
	v_xor3_b32 v5, v31, v6, v0
	v_mad_u64_u32 v[0:1], null, 0xd2511f53, v3, 0
	s_delay_alu instid0(VALU_DEP_2) | instskip(NEXT) | instid1(VALU_DEP_2)
	v_mad_u64_u32 v[3:4], null, 0xd2511f53, v5, 0
	v_xor3_b32 v5, v34, v1, v2
	s_delay_alu instid0(VALU_DEP_1) | instskip(NEXT) | instid1(VALU_DEP_3)
	v_mad_u64_u32 v[1:2], null, 0xcd9e8d57, v5, 0
	v_xor3_b32 v2, v4, v0, v36
	s_branch .LBB105_9
.LBB105_7:                              ;   in Loop: Header=BB105_9 Depth=1
	v_and_b32_e32 v0, 1, v3
	global_store_b8 v1, v0, s[18:19]
.LBB105_8:                              ;   in Loop: Header=BB105_9 Depth=1
	s_or_b32 exec_lo, exec_lo, s33
	v_add_co_u32 v12, vcc_lo, v12, s25
	v_add_co_ci_u32_e32 v13, vcc_lo, 0, v13, vcc_lo
	v_mov_b32_e32 v6, v14
	v_mov_b32_e32 v0, v3
	v_dual_mov_b32 v1, v4 :: v_dual_mov_b32 v2, v5
	s_delay_alu instid0(VALU_DEP_4) | instskip(NEXT) | instid1(VALU_DEP_4)
	v_cmp_le_i64_e32 vcc_lo, s[2:3], v[12:13]
	v_mov_b32_e32 v3, v6
	s_waitcnt_vscnt null, 0x0
	s_barrier
	buffer_gl0_inv
	s_or_b32 s26, vcc_lo, s26
	s_delay_alu instid0(SALU_CYCLE_1)
	s_and_not1_b32 exec_lo, exec_lo, s26
	s_cbranch_execz .LBB105_48
.LBB105_9:                              ; =>This Loop Header: Depth=1
                                        ;     Child Loop BB105_24 Depth 2
                                        ;     Child Loop BB105_29 Depth 2
	;; [unrolled: 1-line block ×4, first 2 shown]
	v_add_co_u32 v16, vcc_lo, v16, 1
	s_delay_alu instid0(VALU_DEP_1) | instskip(SKIP_1) | instid1(VALU_DEP_3)
	v_cndmask_b32_e64 v0, 0, 1, vcc_lo
	v_add_co_ci_u32_e32 v17, vcc_lo, 0, v17, vcc_lo
	v_mad_u64_u32 v[4:5], null, 0xd2511f53, v16, 0
	s_mov_b32 s20, exec_lo
	s_delay_alu instid0(VALU_DEP_2) | instskip(SKIP_1) | instid1(VALU_DEP_1)
	v_cmp_eq_u32_e32 vcc_lo, 0, v17
	v_cndmask_b32_e32 v0, 0, v0, vcc_lo
	v_add_nc_u32_e32 v37, v0, v37
	s_delay_alu instid0(VALU_DEP_1) | instskip(SKIP_2) | instid1(VALU_DEP_2)
	v_cmp_eq_u32_e32 vcc_lo, 0, v37
	v_cndmask_b32_e32 v0, 0, v0, vcc_lo
	v_mad_u64_u32 v[6:7], null, 0xcd9e8d57, v37, 0
	v_add_nc_u32_e32 v38, v0, v38
	v_xor_b32_e32 v0, v5, v11
	s_delay_alu instid0(VALU_DEP_3) | instskip(NEXT) | instid1(VALU_DEP_2)
	v_xor3_b32 v5, v7, v10, v17
	v_xor_b32_e32 v0, v38, v0
	s_delay_alu instid0(VALU_DEP_2) | instskip(NEXT) | instid1(VALU_DEP_2)
	v_mad_u64_u32 v[7:8], null, 0xd2511f53, v5, 0
	v_mad_u64_u32 v[14:15], null, 0xcd9e8d57, v0, 0
	s_delay_alu instid0(VALU_DEP_2) | instskip(NEXT) | instid1(VALU_DEP_2)
	v_xor3_b32 v0, v18, v8, v4
	v_xor3_b32 v6, v19, v15, v6
	s_delay_alu instid0(VALU_DEP_2) | instskip(NEXT) | instid1(VALU_DEP_2)
	v_mad_u64_u32 v[4:5], null, 0xcd9e8d57, v0, 0
	v_mad_u64_u32 v[8:9], null, 0xd2511f53, v6, 0
	s_delay_alu instid0(VALU_DEP_2) | instskip(NEXT) | instid1(VALU_DEP_2)
	v_xor3_b32 v0, v20, v5, v14
	v_xor3_b32 v7, v21, v9, v7
	;; [unrolled: 6-line block ×9, first 2 shown]
	s_delay_alu instid0(VALU_DEP_2)
	v_mov_b32_e32 v5, v8
	v_cmpx_lt_i32_e32 1, v26
	s_xor_b32 s20, exec_lo, s20
	s_cbranch_execnz .LBB105_12
; %bb.10:                               ;   in Loop: Header=BB105_9 Depth=1
	s_and_not1_saveexec_b32 s20, s20
	s_cbranch_execnz .LBB105_17
.LBB105_11:                             ;   in Loop: Header=BB105_9 Depth=1
	s_or_b32 exec_lo, exec_lo, s20
	s_delay_alu instid0(SALU_CYCLE_1)
	s_mov_b32 s33, exec_lo
	v_cmpx_gt_i64_e64 s[16:17], v[12:13]
	s_cbranch_execnz .LBB105_20
	s_branch .LBB105_34
.LBB105_12:                             ;   in Loop: Header=BB105_9 Depth=1
	s_mov_b32 s21, exec_lo
	v_cmpx_lt_i32_e32 2, v26
	s_xor_b32 s21, exec_lo, s21
; %bb.13:                               ;   in Loop: Header=BB105_9 Depth=1
	v_dual_mov_b32 v0, v5 :: v_dual_mov_b32 v1, v6
	v_dual_mov_b32 v2, v7 :: v_dual_mov_b32 v3, v8
; %bb.14:                               ;   in Loop: Header=BB105_9 Depth=1
	s_and_not1_saveexec_b32 s21, s21
; %bb.15:                               ;   in Loop: Header=BB105_9 Depth=1
	s_delay_alu instid0(VALU_DEP_1)
	v_mov_b32_e32 v1, v3
	v_mov_b32_e32 v3, v4
; %bb.16:                               ;   in Loop: Header=BB105_9 Depth=1
	s_or_b32 exec_lo, exec_lo, s21
                                        ; implicit-def: $vgpr6_vgpr7_vgpr8_vgpr9
	s_and_not1_saveexec_b32 s20, s20
	s_cbranch_execz .LBB105_11
.LBB105_17:                             ;   in Loop: Header=BB105_9 Depth=1
	s_mov_b32 s21, exec_lo
	v_cmpx_eq_u32_e32 1, v26
; %bb.18:                               ;   in Loop: Header=BB105_9 Depth=1
	v_mov_b32_e32 v1, v2
	v_mov_b32_e32 v3, v6
; %bb.19:                               ;   in Loop: Header=BB105_9 Depth=1
	s_or_b32 exec_lo, exec_lo, s21
	s_delay_alu instid0(SALU_CYCLE_1) | instskip(NEXT) | instid1(SALU_CYCLE_1)
	s_or_b32 exec_lo, exec_lo, s20
	s_mov_b32 s33, exec_lo
	v_cmpx_gt_i64_e64 s[16:17], v[12:13]
	s_cbranch_execz .LBB105_34
.LBB105_20:                             ;   in Loop: Header=BB105_9 Depth=1
	s_and_not1_b32 vcc_lo, exec_lo, s11
	s_cbranch_vccnz .LBB105_26
; %bb.21:                               ;   in Loop: Header=BB105_9 Depth=1
	v_mov_b32_e32 v0, 0
	s_and_not1_b32 vcc_lo, exec_lo, s27
	s_cbranch_vccnz .LBB105_30
; %bb.22:                               ;   in Loop: Header=BB105_9 Depth=1
	s_and_not1_b32 vcc_lo, exec_lo, s29
	s_mov_b32 s20, 0
	s_cbranch_vccnz .LBB105_27
; %bb.23:                               ;   in Loop: Header=BB105_9 Depth=1
	v_mov_b32_e32 v0, 0
	v_mov_b32_e32 v2, v12
	s_mov_b32 s34, 0
	s_mov_b64 s[20:21], s[12:13]
	s_mov_b64 s[22:23], s[0:1]
.LBB105_24:                             ;   Parent Loop BB105_9 Depth=1
                                        ; =>  This Inner Loop Header: Depth=2
	s_clause 0x1
	s_load_b256 s[36:43], s[20:21], 0x4
	s_load_b128 s[44:47], s[20:21], 0x24
	s_load_b128 s[48:51], s[22:23], 0x0
	s_add_u32 s20, s20, 48
	s_addc_u32 s21, s21, 0
	s_add_i32 s34, s34, 4
	s_add_u32 s22, s22, 16
	s_addc_u32 s23, s23, 0
	s_cmp_lg_u32 s30, s34
	s_waitcnt lgkmcnt(0)
	v_mul_hi_u32 v6, s37, v2
	s_delay_alu instid0(VALU_DEP_1) | instskip(NEXT) | instid1(VALU_DEP_1)
	v_add_nc_u32_e32 v6, v2, v6
	v_lshrrev_b32_e32 v6, s38, v6
	s_delay_alu instid0(VALU_DEP_1) | instskip(SKIP_1) | instid1(VALU_DEP_2)
	v_mul_hi_u32 v7, s40, v6
	v_mul_lo_u32 v15, v6, s36
	v_add_nc_u32_e32 v7, v6, v7
	s_delay_alu instid0(VALU_DEP_2) | instskip(NEXT) | instid1(VALU_DEP_2)
	v_sub_nc_u32_e32 v15, v2, v15
	v_lshrrev_b32_e32 v7, s41, v7
	s_delay_alu instid0(VALU_DEP_2) | instskip(NEXT) | instid1(VALU_DEP_2)
	v_mul_lo_u32 v15, v15, s48
	v_mul_hi_u32 v8, s43, v7
	v_mul_lo_u32 v39, v7, s39
	s_delay_alu instid0(VALU_DEP_2) | instskip(NEXT) | instid1(VALU_DEP_2)
	v_add_nc_u32_e32 v8, v7, v8
	v_sub_nc_u32_e32 v6, v6, v39
	s_delay_alu instid0(VALU_DEP_2) | instskip(NEXT) | instid1(VALU_DEP_2)
	v_lshrrev_b32_e32 v8, s44, v8
	v_mul_lo_u32 v6, v6, s49
	s_delay_alu instid0(VALU_DEP_2) | instskip(NEXT) | instid1(VALU_DEP_2)
	v_mul_hi_u32 v9, s46, v8
	v_add3_u32 v0, v15, v0, v6
	s_delay_alu instid0(VALU_DEP_2) | instskip(NEXT) | instid1(VALU_DEP_1)
	v_add_nc_u32_e32 v9, v8, v9
	v_lshrrev_b32_e32 v2, s47, v9
	v_mul_lo_u32 v9, v8, s42
	s_delay_alu instid0(VALU_DEP_2) | instskip(NEXT) | instid1(VALU_DEP_2)
	v_mul_lo_u32 v40, v2, s45
	v_sub_nc_u32_e32 v7, v7, v9
	s_delay_alu instid0(VALU_DEP_2) | instskip(NEXT) | instid1(VALU_DEP_2)
	v_sub_nc_u32_e32 v8, v8, v40
	v_mul_lo_u32 v7, v7, s50
	s_delay_alu instid0(VALU_DEP_2) | instskip(NEXT) | instid1(VALU_DEP_1)
	v_mul_lo_u32 v8, v8, s51
	v_add3_u32 v0, v7, v0, v8
	s_cbranch_scc1 .LBB105_24
; %bb.25:                               ;   in Loop: Header=BB105_9 Depth=1
	s_mov_b32 s20, s30
	s_and_not1_b32 vcc_lo, exec_lo, s31
	s_cbranch_vccz .LBB105_28
	s_branch .LBB105_30
.LBB105_26:                             ;   in Loop: Header=BB105_9 Depth=1
                                        ; implicit-def: $vgpr0
	s_branch .LBB105_31
.LBB105_27:                             ;   in Loop: Header=BB105_9 Depth=1
	v_mov_b32_e32 v2, v12
	s_and_not1_b32 vcc_lo, exec_lo, s31
	s_cbranch_vccnz .LBB105_30
.LBB105_28:                             ;   in Loop: Header=BB105_9 Depth=1
	s_lshl_b32 s21, s20, 2
	s_mul_i32 s22, s20, 12
	s_add_u32 s20, s0, s21
	s_addc_u32 s21, s1, 0
	s_add_u32 s22, s12, s22
	s_addc_u32 s23, s13, 0
	s_mov_b32 s34, s28
	.p2align	6
.LBB105_29:                             ;   Parent Loop BB105_9 Depth=1
                                        ; =>  This Inner Loop Header: Depth=2
	s_clause 0x1
	s_load_b64 s[36:37], s[22:23], 0x4
	s_load_b32 s35, s[22:23], 0xc
	s_add_u32 s22, s22, 12
	s_addc_u32 s23, s23, 0
	s_waitcnt lgkmcnt(0)
	v_mul_hi_u32 v6, s37, v2
	s_load_b32 s37, s[20:21], 0x0
	s_add_u32 s20, s20, 4
	s_addc_u32 s21, s21, 0
	s_add_i32 s34, s34, -1
	s_delay_alu instid0(SALU_CYCLE_1) | instskip(NEXT) | instid1(VALU_DEP_1)
	s_cmp_lg_u32 s34, 0
	v_add_nc_u32_e32 v6, v2, v6
	s_delay_alu instid0(VALU_DEP_1) | instskip(NEXT) | instid1(VALU_DEP_1)
	v_lshrrev_b32_e32 v8, s35, v6
	v_mul_lo_u32 v6, v8, s36
	s_delay_alu instid0(VALU_DEP_1) | instskip(SKIP_1) | instid1(VALU_DEP_1)
	v_sub_nc_u32_e32 v2, v2, v6
	s_waitcnt lgkmcnt(0)
	v_mad_u64_u32 v[6:7], null, v2, s37, v[0:1]
	v_mov_b32_e32 v2, v8
	s_delay_alu instid0(VALU_DEP_2)
	v_mov_b32_e32 v0, v6
	s_cbranch_scc1 .LBB105_29
.LBB105_30:                             ;   in Loop: Header=BB105_9 Depth=1
	s_cbranch_execnz .LBB105_33
.LBB105_31:                             ;   in Loop: Header=BB105_9 Depth=1
	v_mul_hi_u32 v0, v12, s6
	s_and_not1_b32 vcc_lo, exec_lo, s4
	s_delay_alu instid0(VALU_DEP_1) | instskip(NEXT) | instid1(VALU_DEP_1)
	v_add_nc_u32_e32 v0, v0, v12
	v_lshrrev_b32_e32 v2, s7, v0
	s_delay_alu instid0(VALU_DEP_1) | instskip(NEXT) | instid1(VALU_DEP_1)
	v_mul_lo_u32 v0, v2, s5
	v_sub_nc_u32_e32 v0, v12, v0
	s_delay_alu instid0(VALU_DEP_1)
	v_mul_lo_u32 v0, v0, s14
	s_cbranch_vccnz .LBB105_33
; %bb.32:                               ;   in Loop: Header=BB105_9 Depth=1
	v_mul_hi_u32 v6, s9, v2
	s_delay_alu instid0(VALU_DEP_1) | instskip(NEXT) | instid1(VALU_DEP_1)
	v_add_nc_u32_e32 v6, v2, v6
	v_lshrrev_b32_e32 v6, s10, v6
	s_delay_alu instid0(VALU_DEP_1) | instskip(NEXT) | instid1(VALU_DEP_1)
	v_mul_lo_u32 v6, v6, s8
	v_sub_nc_u32_e32 v2, v2, v6
	s_delay_alu instid0(VALU_DEP_1) | instskip(NEXT) | instid1(VALU_DEP_1)
	v_mad_u64_u32 v[6:7], null, v2, s15, v[0:1]
	v_mov_b32_e32 v0, v6
.LBB105_33:                             ;   in Loop: Header=BB105_9 Depth=1
	v_and_b32_e32 v1, 1, v1
	global_store_b8 v0, v1, s[18:19]
.LBB105_34:                             ;   in Loop: Header=BB105_9 Depth=1
	s_or_b32 exec_lo, exec_lo, s33
	v_add_co_u32 v0, vcc_lo, v12, s24
	v_add_co_ci_u32_e32 v1, vcc_lo, 0, v13, vcc_lo
	s_mov_b32 s33, exec_lo
	s_delay_alu instid0(VALU_DEP_1)
	v_cmpx_gt_i64_e64 s[16:17], v[0:1]
	s_cbranch_execz .LBB105_8
; %bb.35:                               ;   in Loop: Header=BB105_9 Depth=1
	s_and_not1_b32 vcc_lo, exec_lo, s11
	s_cbranch_vccnz .LBB105_41
; %bb.36:                               ;   in Loop: Header=BB105_9 Depth=1
	v_mov_b32_e32 v1, 0
	s_and_not1_b32 vcc_lo, exec_lo, s27
	s_cbranch_vccnz .LBB105_45
; %bb.37:                               ;   in Loop: Header=BB105_9 Depth=1
	s_and_not1_b32 vcc_lo, exec_lo, s29
	s_mov_b32 s20, 0
	s_cbranch_vccnz .LBB105_42
; %bb.38:                               ;   in Loop: Header=BB105_9 Depth=1
	v_dual_mov_b32 v1, 0 :: v_dual_mov_b32 v2, v0
	s_mov_b32 s34, 0
	s_mov_b64 s[20:21], s[12:13]
	s_mov_b64 s[22:23], s[0:1]
.LBB105_39:                             ;   Parent Loop BB105_9 Depth=1
                                        ; =>  This Inner Loop Header: Depth=2
	s_clause 0x1
	s_load_b256 s[36:43], s[20:21], 0x4
	s_load_b128 s[44:47], s[20:21], 0x24
	s_load_b128 s[48:51], s[22:23], 0x0
	s_add_u32 s20, s20, 48
	s_addc_u32 s21, s21, 0
	s_add_i32 s34, s34, 4
	s_add_u32 s22, s22, 16
	s_addc_u32 s23, s23, 0
	s_cmp_eq_u32 s30, s34
	s_waitcnt lgkmcnt(0)
	v_mul_hi_u32 v6, s37, v2
	s_delay_alu instid0(VALU_DEP_1) | instskip(NEXT) | instid1(VALU_DEP_1)
	v_add_nc_u32_e32 v6, v2, v6
	v_lshrrev_b32_e32 v6, s38, v6
	s_delay_alu instid0(VALU_DEP_1) | instskip(SKIP_1) | instid1(VALU_DEP_2)
	v_mul_hi_u32 v7, s40, v6
	v_mul_lo_u32 v15, v6, s36
	v_add_nc_u32_e32 v7, v6, v7
	s_delay_alu instid0(VALU_DEP_2) | instskip(NEXT) | instid1(VALU_DEP_2)
	v_sub_nc_u32_e32 v15, v2, v15
	v_lshrrev_b32_e32 v7, s41, v7
	s_delay_alu instid0(VALU_DEP_2) | instskip(NEXT) | instid1(VALU_DEP_2)
	v_mul_lo_u32 v15, v15, s48
	v_mul_hi_u32 v8, s43, v7
	v_mul_lo_u32 v39, v7, s39
	s_delay_alu instid0(VALU_DEP_2) | instskip(NEXT) | instid1(VALU_DEP_2)
	v_add_nc_u32_e32 v8, v7, v8
	v_sub_nc_u32_e32 v6, v6, v39
	s_delay_alu instid0(VALU_DEP_2) | instskip(NEXT) | instid1(VALU_DEP_2)
	v_lshrrev_b32_e32 v8, s44, v8
	v_mul_lo_u32 v6, v6, s49
	s_delay_alu instid0(VALU_DEP_2) | instskip(NEXT) | instid1(VALU_DEP_2)
	v_mul_hi_u32 v9, s46, v8
	v_add3_u32 v1, v15, v1, v6
	s_delay_alu instid0(VALU_DEP_2) | instskip(NEXT) | instid1(VALU_DEP_1)
	v_add_nc_u32_e32 v9, v8, v9
	v_lshrrev_b32_e32 v2, s47, v9
	v_mul_lo_u32 v9, v8, s42
	s_delay_alu instid0(VALU_DEP_2) | instskip(NEXT) | instid1(VALU_DEP_2)
	v_mul_lo_u32 v40, v2, s45
	v_sub_nc_u32_e32 v7, v7, v9
	s_delay_alu instid0(VALU_DEP_2) | instskip(NEXT) | instid1(VALU_DEP_2)
	v_sub_nc_u32_e32 v8, v8, v40
	v_mul_lo_u32 v7, v7, s50
	s_delay_alu instid0(VALU_DEP_2) | instskip(NEXT) | instid1(VALU_DEP_1)
	v_mul_lo_u32 v8, v8, s51
	v_add3_u32 v1, v7, v1, v8
	s_cbranch_scc0 .LBB105_39
; %bb.40:                               ;   in Loop: Header=BB105_9 Depth=1
	s_mov_b32 s20, s30
	s_and_not1_b32 vcc_lo, exec_lo, s31
	s_cbranch_vccz .LBB105_43
	s_branch .LBB105_45
.LBB105_41:                             ;   in Loop: Header=BB105_9 Depth=1
                                        ; implicit-def: $vgpr1
	s_branch .LBB105_46
.LBB105_42:                             ;   in Loop: Header=BB105_9 Depth=1
	v_mov_b32_e32 v2, v0
	s_and_not1_b32 vcc_lo, exec_lo, s31
	s_cbranch_vccnz .LBB105_45
.LBB105_43:                             ;   in Loop: Header=BB105_9 Depth=1
	s_lshl_b32 s21, s20, 2
	s_mul_i32 s22, s20, 12
	s_add_u32 s20, s0, s21
	s_addc_u32 s21, s1, 0
	s_add_u32 s22, s12, s22
	s_addc_u32 s23, s13, 0
	s_mov_b32 s34, s28
	.p2align	6
.LBB105_44:                             ;   Parent Loop BB105_9 Depth=1
                                        ; =>  This Inner Loop Header: Depth=2
	s_clause 0x1
	s_load_b64 s[36:37], s[22:23], 0x4
	s_load_b32 s35, s[22:23], 0xc
	s_add_u32 s22, s22, 12
	s_addc_u32 s23, s23, 0
	s_waitcnt lgkmcnt(0)
	v_mul_hi_u32 v6, s37, v2
	s_load_b32 s37, s[20:21], 0x0
	s_add_u32 s20, s20, 4
	s_addc_u32 s21, s21, 0
	s_add_i32 s34, s34, -1
	s_delay_alu instid0(SALU_CYCLE_1) | instskip(NEXT) | instid1(VALU_DEP_1)
	s_cmp_lg_u32 s34, 0
	v_add_nc_u32_e32 v6, v2, v6
	s_delay_alu instid0(VALU_DEP_1) | instskip(NEXT) | instid1(VALU_DEP_1)
	v_lshrrev_b32_e32 v8, s35, v6
	v_mul_lo_u32 v6, v8, s36
	s_delay_alu instid0(VALU_DEP_1) | instskip(SKIP_1) | instid1(VALU_DEP_1)
	v_sub_nc_u32_e32 v2, v2, v6
	s_waitcnt lgkmcnt(0)
	v_mad_u64_u32 v[6:7], null, v2, s37, v[1:2]
	s_delay_alu instid0(VALU_DEP_1)
	v_dual_mov_b32 v2, v8 :: v_dual_mov_b32 v1, v6
	s_cbranch_scc1 .LBB105_44
.LBB105_45:                             ;   in Loop: Header=BB105_9 Depth=1
	s_cbranch_execnz .LBB105_7
.LBB105_46:                             ;   in Loop: Header=BB105_9 Depth=1
	v_mul_hi_u32 v1, v0, s6
	s_and_not1_b32 vcc_lo, exec_lo, s4
	s_delay_alu instid0(VALU_DEP_1) | instskip(NEXT) | instid1(VALU_DEP_1)
	v_add_nc_u32_e32 v1, v1, v0
	v_lshrrev_b32_e32 v2, s7, v1
	s_delay_alu instid0(VALU_DEP_1) | instskip(NEXT) | instid1(VALU_DEP_1)
	v_mul_lo_u32 v1, v2, s5
	v_sub_nc_u32_e32 v0, v0, v1
	s_delay_alu instid0(VALU_DEP_1)
	v_mul_lo_u32 v1, v0, s14
	s_cbranch_vccnz .LBB105_7
; %bb.47:                               ;   in Loop: Header=BB105_9 Depth=1
	v_mul_hi_u32 v0, s9, v2
	s_delay_alu instid0(VALU_DEP_1) | instskip(NEXT) | instid1(VALU_DEP_1)
	v_add_nc_u32_e32 v0, v2, v0
	v_lshrrev_b32_e32 v0, s10, v0
	s_delay_alu instid0(VALU_DEP_1) | instskip(NEXT) | instid1(VALU_DEP_1)
	v_mul_lo_u32 v0, v0, s8
	v_sub_nc_u32_e32 v0, v2, v0
	s_delay_alu instid0(VALU_DEP_1) | instskip(NEXT) | instid1(VALU_DEP_1)
	v_mad_u64_u32 v[6:7], null, v0, s15, v[1:2]
	v_mov_b32_e32 v1, v6
	s_branch .LBB105_7
.LBB105_48:
	s_endpgm
.LBB105_49:
                                        ; implicit-def: $sgpr2_sgpr3
	s_branch .LBB105_4
	.section	.rodata,"a",@progbits
	.p2align	6, 0x0
	.amdhsa_kernel _ZN2at6native12_GLOBAL__N_143distribution_elementwise_grid_stride_kernelImLi2EZZZNS0_9templates4cuda13random_kernelIPNS_17CUDAGeneratorImplEEEvRNS_18TensorIteratorBaseET_ENKUlvE_clEvENKUlvE8_clEvEUlP25hiprandStatePhilox4_32_10E_ZNS1_27distribution_nullary_kernelIbm15HIP_vector_typeIyLj2EES7_SF_ZZZNS5_IS7_EEvS9_SA_ENKSB_clEvENKSC_clEvEUlmE_EEvS9_T2_RKT3_T4_EUlimE0_EEvlNS_15PhiloxCudaStateET1_SK_
		.amdhsa_group_segment_fixed_size 0
		.amdhsa_private_segment_fixed_size 0
		.amdhsa_kernarg_size 584
		.amdhsa_user_sgpr_count 15
		.amdhsa_user_sgpr_dispatch_ptr 0
		.amdhsa_user_sgpr_queue_ptr 0
		.amdhsa_user_sgpr_kernarg_segment_ptr 1
		.amdhsa_user_sgpr_dispatch_id 0
		.amdhsa_user_sgpr_private_segment_size 0
		.amdhsa_wavefront_size32 1
		.amdhsa_uses_dynamic_stack 0
		.amdhsa_enable_private_segment 0
		.amdhsa_system_sgpr_workgroup_id_x 1
		.amdhsa_system_sgpr_workgroup_id_y 0
		.amdhsa_system_sgpr_workgroup_id_z 0
		.amdhsa_system_sgpr_workgroup_info 0
		.amdhsa_system_vgpr_workitem_id 0
		.amdhsa_next_free_vgpr 41
		.amdhsa_next_free_sgpr 52
		.amdhsa_reserve_vcc 1
		.amdhsa_float_round_mode_32 0
		.amdhsa_float_round_mode_16_64 0
		.amdhsa_float_denorm_mode_32 3
		.amdhsa_float_denorm_mode_16_64 3
		.amdhsa_dx10_clamp 1
		.amdhsa_ieee_mode 1
		.amdhsa_fp16_overflow 0
		.amdhsa_workgroup_processor_mode 1
		.amdhsa_memory_ordered 1
		.amdhsa_forward_progress 0
		.amdhsa_shared_vgpr_count 0
		.amdhsa_exception_fp_ieee_invalid_op 0
		.amdhsa_exception_fp_denorm_src 0
		.amdhsa_exception_fp_ieee_div_zero 0
		.amdhsa_exception_fp_ieee_overflow 0
		.amdhsa_exception_fp_ieee_underflow 0
		.amdhsa_exception_fp_ieee_inexact 0
		.amdhsa_exception_int_div_zero 0
	.end_amdhsa_kernel
	.section	.text._ZN2at6native12_GLOBAL__N_143distribution_elementwise_grid_stride_kernelImLi2EZZZNS0_9templates4cuda13random_kernelIPNS_17CUDAGeneratorImplEEEvRNS_18TensorIteratorBaseET_ENKUlvE_clEvENKUlvE8_clEvEUlP25hiprandStatePhilox4_32_10E_ZNS1_27distribution_nullary_kernelIbm15HIP_vector_typeIyLj2EES7_SF_ZZZNS5_IS7_EEvS9_SA_ENKSB_clEvENKSC_clEvEUlmE_EEvS9_T2_RKT3_T4_EUlimE0_EEvlNS_15PhiloxCudaStateET1_SK_,"axG",@progbits,_ZN2at6native12_GLOBAL__N_143distribution_elementwise_grid_stride_kernelImLi2EZZZNS0_9templates4cuda13random_kernelIPNS_17CUDAGeneratorImplEEEvRNS_18TensorIteratorBaseET_ENKUlvE_clEvENKUlvE8_clEvEUlP25hiprandStatePhilox4_32_10E_ZNS1_27distribution_nullary_kernelIbm15HIP_vector_typeIyLj2EES7_SF_ZZZNS5_IS7_EEvS9_SA_ENKSB_clEvENKSC_clEvEUlmE_EEvS9_T2_RKT3_T4_EUlimE0_EEvlNS_15PhiloxCudaStateET1_SK_,comdat
.Lfunc_end105:
	.size	_ZN2at6native12_GLOBAL__N_143distribution_elementwise_grid_stride_kernelImLi2EZZZNS0_9templates4cuda13random_kernelIPNS_17CUDAGeneratorImplEEEvRNS_18TensorIteratorBaseET_ENKUlvE_clEvENKUlvE8_clEvEUlP25hiprandStatePhilox4_32_10E_ZNS1_27distribution_nullary_kernelIbm15HIP_vector_typeIyLj2EES7_SF_ZZZNS5_IS7_EEvS9_SA_ENKSB_clEvENKSC_clEvEUlmE_EEvS9_T2_RKT3_T4_EUlimE0_EEvlNS_15PhiloxCudaStateET1_SK_, .Lfunc_end105-_ZN2at6native12_GLOBAL__N_143distribution_elementwise_grid_stride_kernelImLi2EZZZNS0_9templates4cuda13random_kernelIPNS_17CUDAGeneratorImplEEEvRNS_18TensorIteratorBaseET_ENKUlvE_clEvENKUlvE8_clEvEUlP25hiprandStatePhilox4_32_10E_ZNS1_27distribution_nullary_kernelIbm15HIP_vector_typeIyLj2EES7_SF_ZZZNS5_IS7_EEvS9_SA_ENKSB_clEvENKSC_clEvEUlmE_EEvS9_T2_RKT3_T4_EUlimE0_EEvlNS_15PhiloxCudaStateET1_SK_
                                        ; -- End function
	.section	.AMDGPU.csdata,"",@progbits
; Kernel info:
; codeLenInByte = 3784
; NumSgprs: 54
; NumVgprs: 41
; ScratchSize: 0
; MemoryBound: 0
; FloatMode: 240
; IeeeMode: 1
; LDSByteSize: 0 bytes/workgroup (compile time only)
; SGPRBlocks: 6
; VGPRBlocks: 5
; NumSGPRsForWavesPerEU: 54
; NumVGPRsForWavesPerEU: 41
; Occupancy: 16
; WaveLimiterHint : 1
; COMPUTE_PGM_RSRC2:SCRATCH_EN: 0
; COMPUTE_PGM_RSRC2:USER_SGPR: 15
; COMPUTE_PGM_RSRC2:TRAP_HANDLER: 0
; COMPUTE_PGM_RSRC2:TGID_X_EN: 1
; COMPUTE_PGM_RSRC2:TGID_Y_EN: 0
; COMPUTE_PGM_RSRC2:TGID_Z_EN: 0
; COMPUTE_PGM_RSRC2:TIDIG_COMP_CNT: 0
	.section	.text._ZN2at6native12_GLOBAL__N_143distribution_elementwise_grid_stride_kernelIjLi4EZZZNS0_9templates4cuda13random_kernelIPNS_17CUDAGeneratorImplEEEvRNS_18TensorIteratorBaseET_ENKUlvE_clEvENKUlvE8_clEvEUlP25hiprandStatePhilox4_32_10E0_ZNS1_27distribution_nullary_kernelIbj15HIP_vector_typeIjLj4EES7_SF_ZZZNS5_IS7_EEvS9_SA_ENKSB_clEvENKSC_clEvEUljE_EEvS9_T2_RKT3_T4_EUlijE_EEvlNS_15PhiloxCudaStateET1_SK_,"axG",@progbits,_ZN2at6native12_GLOBAL__N_143distribution_elementwise_grid_stride_kernelIjLi4EZZZNS0_9templates4cuda13random_kernelIPNS_17CUDAGeneratorImplEEEvRNS_18TensorIteratorBaseET_ENKUlvE_clEvENKUlvE8_clEvEUlP25hiprandStatePhilox4_32_10E0_ZNS1_27distribution_nullary_kernelIbj15HIP_vector_typeIjLj4EES7_SF_ZZZNS5_IS7_EEvS9_SA_ENKSB_clEvENKSC_clEvEUljE_EEvS9_T2_RKT3_T4_EUlijE_EEvlNS_15PhiloxCudaStateET1_SK_,comdat
	.globl	_ZN2at6native12_GLOBAL__N_143distribution_elementwise_grid_stride_kernelIjLi4EZZZNS0_9templates4cuda13random_kernelIPNS_17CUDAGeneratorImplEEEvRNS_18TensorIteratorBaseET_ENKUlvE_clEvENKUlvE8_clEvEUlP25hiprandStatePhilox4_32_10E0_ZNS1_27distribution_nullary_kernelIbj15HIP_vector_typeIjLj4EES7_SF_ZZZNS5_IS7_EEvS9_SA_ENKSB_clEvENKSC_clEvEUljE_EEvS9_T2_RKT3_T4_EUlijE_EEvlNS_15PhiloxCudaStateET1_SK_ ; -- Begin function _ZN2at6native12_GLOBAL__N_143distribution_elementwise_grid_stride_kernelIjLi4EZZZNS0_9templates4cuda13random_kernelIPNS_17CUDAGeneratorImplEEEvRNS_18TensorIteratorBaseET_ENKUlvE_clEvENKUlvE8_clEvEUlP25hiprandStatePhilox4_32_10E0_ZNS1_27distribution_nullary_kernelIbj15HIP_vector_typeIjLj4EES7_SF_ZZZNS5_IS7_EEvS9_SA_ENKSB_clEvENKSC_clEvEUljE_EEvS9_T2_RKT3_T4_EUlijE_EEvlNS_15PhiloxCudaStateET1_SK_
	.p2align	8
	.type	_ZN2at6native12_GLOBAL__N_143distribution_elementwise_grid_stride_kernelIjLi4EZZZNS0_9templates4cuda13random_kernelIPNS_17CUDAGeneratorImplEEEvRNS_18TensorIteratorBaseET_ENKUlvE_clEvENKUlvE8_clEvEUlP25hiprandStatePhilox4_32_10E0_ZNS1_27distribution_nullary_kernelIbj15HIP_vector_typeIjLj4EES7_SF_ZZZNS5_IS7_EEvS9_SA_ENKSB_clEvENKSC_clEvEUljE_EEvS9_T2_RKT3_T4_EUlijE_EEvlNS_15PhiloxCudaStateET1_SK_,@function
_ZN2at6native12_GLOBAL__N_143distribution_elementwise_grid_stride_kernelIjLi4EZZZNS0_9templates4cuda13random_kernelIPNS_17CUDAGeneratorImplEEEvRNS_18TensorIteratorBaseET_ENKUlvE_clEvENKUlvE8_clEvEUlP25hiprandStatePhilox4_32_10E0_ZNS1_27distribution_nullary_kernelIbj15HIP_vector_typeIjLj4EES7_SF_ZZZNS5_IS7_EEvS9_SA_ENKSB_clEvENKSC_clEvEUljE_EEvS9_T2_RKT3_T4_EUlijE_EEvlNS_15PhiloxCudaStateET1_SK_: ; @_ZN2at6native12_GLOBAL__N_143distribution_elementwise_grid_stride_kernelIjLi4EZZZNS0_9templates4cuda13random_kernelIPNS_17CUDAGeneratorImplEEEvRNS_18TensorIteratorBaseET_ENKUlvE_clEvENKUlvE8_clEvEUlP25hiprandStatePhilox4_32_10E0_ZNS1_27distribution_nullary_kernelIbj15HIP_vector_typeIjLj4EES7_SF_ZZZNS5_IS7_EEvS9_SA_ENKSB_clEvENKSC_clEvEUljE_EEvS9_T2_RKT3_T4_EUlijE_EEvlNS_15PhiloxCudaStateET1_SK_
; %bb.0:
	s_clause 0x2
	s_load_b64 s[8:9], s[0:1], 0x10
	s_load_b128 s[4:7], s[0:1], 0x0
	s_load_b32 s2, s[0:1], 0x20
	s_waitcnt lgkmcnt(0)
	v_dual_mov_b32 v2, s8 :: v_dual_mov_b32 v3, s9
	v_dual_mov_b32 v12, s7 :: v_dual_mov_b32 v11, s6
	s_bitcmp0_b32 s2, 0
	s_mov_b32 s2, 0
	s_cbranch_scc1 .LBB106_2
; %bb.1:
	v_dual_mov_b32 v1, s8 :: v_dual_mov_b32 v2, s9
	v_dual_mov_b32 v4, s6 :: v_dual_mov_b32 v5, s7
	s_load_b64 s[6:7], s[0:1], 0x18
	flat_load_b64 v[2:3], v[1:2]
	flat_load_b64 v[11:12], v[4:5]
	s_waitcnt vmcnt(1) lgkmcnt(0)
	v_add_co_u32 v2, vcc_lo, v2, s6
	v_add_co_ci_u32_e32 v3, vcc_lo, s7, v3, vcc_lo
.LBB106_2:
	s_clause 0x1
	s_load_b32 s3, s[0:1], 0x4c
	s_load_b32 s11, s[0:1], 0x40
	s_waitcnt lgkmcnt(0)
	s_and_b32 s10, s3, 0xffff
	s_add_u32 s6, s4, -1
	s_mul_i32 s8, s11, s10
	s_addc_u32 s3, s5, -1
	s_lshl_b32 s9, s8, 2
	s_cmp_lg_u64 s[2:3], 0
	s_cbranch_scc0 .LBB106_27
; %bb.3:
	v_cvt_f32_ubyte0_e32 v1, 0
	v_cvt_f32_u32_e32 v4, s9
	s_sub_u32 s12, 0, s9
	s_subb_u32 s13, 0, 0
	s_delay_alu instid0(VALU_DEP_1) | instskip(NEXT) | instid1(VALU_DEP_1)
	v_fmamk_f32 v1, v1, 0x4f800000, v4
	v_rcp_f32_e32 v1, v1
	s_waitcnt_depctr 0xfff
	v_mul_f32_e32 v1, 0x5f7ffffc, v1
	s_delay_alu instid0(VALU_DEP_1) | instskip(NEXT) | instid1(VALU_DEP_1)
	v_mul_f32_e32 v4, 0x2f800000, v1
	v_trunc_f32_e32 v4, v4
	s_delay_alu instid0(VALU_DEP_1) | instskip(SKIP_1) | instid1(VALU_DEP_2)
	v_fmamk_f32 v1, v4, 0xcf800000, v1
	v_cvt_u32_f32_e32 v4, v4
	v_cvt_u32_f32_e32 v1, v1
	s_delay_alu instid0(VALU_DEP_2) | instskip(NEXT) | instid1(VALU_DEP_2)
	v_readfirstlane_b32 s2, v4
	v_readfirstlane_b32 s7, v1
	s_delay_alu instid0(VALU_DEP_2) | instskip(NEXT) | instid1(VALU_DEP_1)
	s_mul_i32 s14, s12, s2
	s_mul_hi_u32 s17, s12, s7
	s_mul_i32 s16, s13, s7
	s_add_i32 s14, s17, s14
	s_mul_i32 s18, s12, s7
	s_add_i32 s14, s14, s16
	s_mul_hi_u32 s17, s7, s18
	s_mul_hi_u32 s19, s2, s18
	s_mul_i32 s16, s2, s18
	s_mul_hi_u32 s18, s7, s14
	s_mul_i32 s7, s7, s14
	s_mul_hi_u32 s20, s2, s14
	s_add_u32 s7, s17, s7
	s_addc_u32 s17, 0, s18
	s_add_u32 s7, s7, s16
	s_mul_i32 s14, s2, s14
	s_addc_u32 s7, s17, s19
	s_addc_u32 s16, s20, 0
	s_add_u32 s7, s7, s14
	s_addc_u32 s14, 0, s16
	v_add_co_u32 v1, s7, v1, s7
	s_delay_alu instid0(VALU_DEP_1) | instskip(SKIP_1) | instid1(VALU_DEP_1)
	s_cmp_lg_u32 s7, 0
	s_addc_u32 s2, s2, s14
	v_readfirstlane_b32 s7, v1
	s_mul_i32 s14, s12, s2
	s_delay_alu instid0(VALU_DEP_1)
	s_mul_hi_u32 s16, s12, s7
	s_mul_i32 s13, s13, s7
	s_add_i32 s14, s16, s14
	s_mul_i32 s12, s12, s7
	s_add_i32 s14, s14, s13
	s_mul_hi_u32 s16, s2, s12
	s_mul_i32 s17, s2, s12
	s_mul_hi_u32 s12, s7, s12
	s_mul_hi_u32 s18, s7, s14
	s_mul_i32 s7, s7, s14
	s_mul_hi_u32 s13, s2, s14
	s_add_u32 s7, s12, s7
	s_addc_u32 s12, 0, s18
	s_add_u32 s7, s7, s17
	s_mul_i32 s14, s2, s14
	s_addc_u32 s7, s12, s16
	s_addc_u32 s12, s13, 0
	s_add_u32 s7, s7, s14
	s_addc_u32 s12, 0, s12
	v_add_co_u32 v1, s7, v1, s7
	s_delay_alu instid0(VALU_DEP_1) | instskip(SKIP_2) | instid1(VALU_DEP_1)
	s_cmp_lg_u32 s7, 0
	s_addc_u32 s7, s2, s12
	s_ashr_i32 s12, s3, 31
	v_readfirstlane_b32 s14, v1
	s_add_u32 s2, s6, s12
	s_mov_b32 s13, s12
	s_addc_u32 s3, s3, s12
	s_delay_alu instid0(SALU_CYCLE_1) | instskip(NEXT) | instid1(SALU_CYCLE_1)
	s_xor_b64 s[2:3], s[2:3], s[12:13]
	s_mul_i32 s17, s2, s7
	s_mul_hi_u32 s18, s2, s14
	s_mul_hi_u32 s16, s2, s7
	;; [unrolled: 1-line block ×3, first 2 shown]
	s_mul_i32 s14, s3, s14
	s_add_u32 s17, s18, s17
	s_addc_u32 s16, 0, s16
	s_mul_hi_u32 s19, s3, s7
	s_add_u32 s14, s17, s14
	s_mul_i32 s7, s3, s7
	s_addc_u32 s14, s16, s20
	s_addc_u32 s16, s19, 0
	s_add_u32 s7, s14, s7
	s_addc_u32 s14, 0, s16
	s_mul_i32 s17, s9, s7
	s_add_u32 s16, s7, 1
	v_sub_co_u32 v1, s2, s2, s17
	s_mul_hi_u32 s17, s9, s7
	s_addc_u32 s18, s14, 0
	s_mul_i32 s19, s9, s14
	s_delay_alu instid0(VALU_DEP_1)
	v_sub_co_u32 v4, s20, v1, s9
	s_add_u32 s21, s7, 2
	s_addc_u32 s22, s14, 0
	s_add_i32 s17, s17, s19
	s_cmp_lg_u32 s2, 0
	v_readfirstlane_b32 s2, v4
	s_subb_u32 s3, s3, s17
	s_cmp_lg_u32 s20, 0
	s_subb_u32 s17, s3, 0
	s_delay_alu instid0(VALU_DEP_1) | instskip(SKIP_4) | instid1(SALU_CYCLE_1)
	s_cmp_ge_u32 s2, s9
	s_cselect_b32 s2, -1, 0
	s_cmp_eq_u32 s17, 0
	v_readfirstlane_b32 s17, v1
	s_cselect_b32 s2, s2, -1
	s_cmp_lg_u32 s2, 0
	s_cselect_b32 s2, s21, s16
	s_cselect_b32 s16, s22, s18
	s_cmp_ge_u32 s17, s9
	s_cselect_b32 s17, -1, 0
	s_cmp_eq_u32 s3, 0
	s_cselect_b32 s3, s17, -1
	s_delay_alu instid0(SALU_CYCLE_1) | instskip(SKIP_2) | instid1(SALU_CYCLE_1)
	s_cmp_lg_u32 s3, 0
	s_cselect_b32 s3, s16, s14
	s_cselect_b32 s2, s2, s7
	s_xor_b64 s[2:3], s[2:3], s[12:13]
	s_delay_alu instid0(SALU_CYCLE_1)
	s_sub_u32 s2, s2, s12
	s_subb_u32 s3, s3, s12
	s_cbranch_execnz .LBB106_5
.LBB106_4:
	v_cvt_f32_u32_e32 v1, s9
	s_sub_i32 s3, 0, s9
	s_delay_alu instid0(VALU_DEP_1) | instskip(SKIP_2) | instid1(VALU_DEP_1)
	v_rcp_iflag_f32_e32 v1, v1
	s_waitcnt_depctr 0xfff
	v_mul_f32_e32 v1, 0x4f7ffffe, v1
	v_cvt_u32_f32_e32 v1, v1
	s_delay_alu instid0(VALU_DEP_1) | instskip(NEXT) | instid1(VALU_DEP_1)
	v_readfirstlane_b32 s2, v1
	s_mul_i32 s3, s3, s2
	s_delay_alu instid0(SALU_CYCLE_1) | instskip(NEXT) | instid1(SALU_CYCLE_1)
	s_mul_hi_u32 s3, s2, s3
	s_add_i32 s2, s2, s3
	s_delay_alu instid0(SALU_CYCLE_1) | instskip(NEXT) | instid1(SALU_CYCLE_1)
	s_mul_hi_u32 s2, s6, s2
	s_mul_i32 s3, s2, s9
	s_delay_alu instid0(SALU_CYCLE_1)
	s_sub_i32 s3, s6, s3
	s_add_i32 s6, s2, 1
	s_sub_i32 s7, s3, s9
	s_cmp_ge_u32 s3, s9
	s_cselect_b32 s2, s6, s2
	s_cselect_b32 s3, s7, s3
	s_add_i32 s6, s2, 1
	s_cmp_ge_u32 s3, s9
	s_mov_b32 s3, 0
	s_cselect_b32 s2, s6, s2
.LBB106_5:
	v_mov_b32_e32 v1, 0
	s_add_u32 s2, s2, 1
	s_addc_u32 s3, s3, 0
	s_mul_hi_u32 s6, s8, s2
	s_mul_i32 s3, s8, s3
	v_mad_u64_u32 v[13:14], null, s10, s15, v[0:1]
	s_mul_hi_u32 s7, s11, s10
	s_add_i32 s3, s6, s3
	s_mul_i32 s7, s7, s2
	s_mul_i32 s2, s8, s2
	s_add_i32 s3, s3, s7
	s_mov_b32 s6, exec_lo
	s_lshl_b64 s[2:3], s[2:3], 2
	s_delay_alu instid0(SALU_CYCLE_1)
	v_cmpx_gt_i64_e64 s[2:3], v[13:14]
	s_cbranch_execz .LBB106_26
; %bb.6:
	v_alignbit_b32 v17, v3, v2, 2
	v_mad_u64_u32 v[6:7], null, 0xcd9e8d57, v13, 0
	v_lshrrev_b32_e32 v18, 2, v3
	s_waitcnt vmcnt(0)
	v_dual_mov_b32 v15, v12 :: v_dual_add_nc_u32 v30, 0x8ff34781, v11
	v_mad_u64_u32 v[4:5], null, 0xd2511f53, v17, 0
	v_add_co_u32 v20, null, 0x9e3779b9, v11
	v_xor3_b32 v3, v11, v7, v18
	s_delay_alu instid0(VALU_DEP_4) | instskip(SKIP_2) | instid1(VALU_DEP_4)
	v_add_co_u32 v19, null, 0xbb67ae85, v15
	v_add_co_u32 v21, null, 0x3c6ef372, v11
	v_xor_b32_e32 v1, v5, v12
	v_mad_u64_u32 v[7:8], null, 0xd2511f53, v3, 0
	v_add_co_u32 v22, null, 0x76cf5d0a, v15
	s_delay_alu instid0(VALU_DEP_3) | instskip(SKIP_2) | instid1(VALU_DEP_3)
	v_xor_b32_e32 v1, v1, v14
	v_add_co_u32 v23, null, 0x32370b8f, v15
	v_add_co_u32 v24, null, 0xdaa66d2b, v11
	v_mad_u64_u32 v[9:10], null, 0xcd9e8d57, v1, 0
	v_xor3_b32 v1, v19, v8, v4
	v_add_co_u32 v25, null, 0x78dde6e4, v11
	v_add_co_u32 v26, null, 0xed9eba14, v15
	s_delay_alu instid0(VALU_DEP_3) | instskip(SKIP_3) | instid1(VALU_DEP_3)
	v_mad_u64_u32 v[3:4], null, 0xcd9e8d57, v1, 0
	v_xor3_b32 v8, v20, v10, v6
	v_add_co_u32 v27, null, 0xa9066899, v15
	v_add_co_u32 v28, null, 0x1715609d, v11
	v_mad_u64_u32 v[5:6], null, 0xd2511f53, v8, 0
	v_xor3_b32 v1, v21, v4, v9
	v_and_b32_e32 v29, 3, v2
	v_add_co_u32 v33, null, 0xb54cda56, v11
	v_add_co_u32 v34, null, 0x646e171e, v15
	v_xor3_b32 v4, v22, v6, v7
	v_mad_u64_u32 v[6:7], null, 0xd2511f53, v1, 0
	v_add_co_u32 v36, null, 0x1fd5c5a3, v15
	s_delay_alu instid0(VALU_DEP_3) | instskip(SKIP_1) | instid1(VALU_DEP_4)
	v_mad_u64_u32 v[8:9], null, 0xcd9e8d57, v4, 0
	v_add_co_u32 v32, null, 0x5384540f, v11
	v_xor3_b32 v1, v23, v7, v5
	s_clause 0x1
	s_load_b64 s[6:7], s[0:1], 0x30
	s_load_b32 s12, s[0:1], 0x38
	v_add_co_u32 v35, null, 0xf1bbcdc8, v11
	s_delay_alu instid0(VALU_DEP_4) | instskip(SKIP_3) | instid1(VALU_DEP_2)
	v_xor3_b32 v5, v24, v9, v3
	v_mad_u64_u32 v[3:4], null, 0xcd9e8d57, v1, 0
	s_mul_i32 s13, s11, 3
	s_add_i32 s16, s15, s11
	v_mad_u64_u32 v[9:10], null, 0xd2511f53, v5, 0
	s_add_i32 s13, s15, s13
	v_add_co_u32 v38, null, 0xdb3d7428, v15
	s_delay_alu instid0(VALU_DEP_3) | instskip(SKIP_2) | instid1(VALU_DEP_4)
	v_xor3_b32 v1, v25, v4, v8
	s_lshl_b32 s14, s11, 1
	v_add_nc_u32_e32 v31, 0x96a522ad, v12
	v_xor3_b32 v8, v26, v10, v6
	v_mov_b32_e32 v37, v13
	v_mad_u64_u32 v[4:5], null, 0xd2511f53, v1, 0
	s_waitcnt lgkmcnt(0)
	s_mul_i32 s11, s11, s12
	v_mad_u64_u32 v[6:7], null, 0xcd9e8d57, v8, 0
	v_mov_b32_e32 v43, v14
	s_mul_i32 s11, s11, s10
	s_mov_b32 s0, 0
	s_delay_alu instid0(VALU_DEP_3) | instskip(SKIP_2) | instid1(VALU_DEP_3)
	v_xor3_b32 v5, v27, v5, v9
	s_lshl_b32 s1, s8, 1
	s_lshl_b32 s11, s11, 2
	v_xor3_b32 v3, v28, v7, v3
	s_delay_alu instid0(VALU_DEP_2) | instskip(NEXT) | instid1(VALU_DEP_2)
	v_mad_u64_u32 v[1:2], null, 0xcd9e8d57, v5, 0
	v_mad_u64_u32 v[7:8], null, 0xd2511f53, v3, 0
	s_delay_alu instid0(VALU_DEP_2) | instskip(NEXT) | instid1(VALU_DEP_2)
	v_xor3_b32 v2, v33, v2, v6
	v_xor3_b32 v6, v34, v8, v4
	s_delay_alu instid0(VALU_DEP_4) | instskip(NEXT) | instid1(VALU_DEP_3)
	v_mad_u64_u32 v[3:4], null, s15, s10, v[0:1]
	v_mad_u64_u32 v[4:5], null, 0xd2511f53, v2, 0
	s_delay_alu instid0(VALU_DEP_3) | instskip(SKIP_1) | instid1(VALU_DEP_3)
	v_mad_u64_u32 v[8:9], null, 0xcd9e8d57, v6, 0
	s_add_i32 s15, s15, s14
	v_mul_lo_u32 v39, s12, v3
	s_delay_alu instid0(VALU_DEP_3) | instskip(NEXT) | instid1(VALU_DEP_3)
	v_xor3_b32 v2, v36, v5, v7
	v_xor3_b32 v1, v32, v9, v1
	s_delay_alu instid0(VALU_DEP_2) | instskip(NEXT) | instid1(VALU_DEP_2)
	v_mad_u64_u32 v[5:6], null, 0xcd9e8d57, v2, 0
	v_mad_u64_u32 v[9:10], null, 0xd2511f53, v1, 0
	;; [unrolled: 1-line block ×4, first 2 shown]
	s_delay_alu instid0(VALU_DEP_4) | instskip(NEXT) | instid1(VALU_DEP_4)
	v_xor3_b32 v1, v35, v6, v8
	v_xor3_b32 v4, v38, v10, v4
	s_delay_alu instid0(VALU_DEP_4) | instskip(NEXT) | instid1(VALU_DEP_3)
	v_mul_lo_u32 v42, s12, v15
	v_mad_u64_u32 v[6:7], null, s15, s10, v[0:1]
	v_mad_u64_u32 v[7:8], null, 0xd2511f53, v1, 0
	s_delay_alu instid0(VALU_DEP_4) | instskip(SKIP_2) | instid1(VALU_DEP_4)
	v_mad_u64_u32 v[1:2], null, 0xcd9e8d57, v4, 0
	v_mul_lo_u32 v40, s12, v40
	s_mul_i32 s10, s8, 3
	v_mul_lo_u32 v41, s12, v6
	s_mov_b32 s12, 0
	s_delay_alu instid0(VALU_DEP_4) | instskip(NEXT) | instid1(VALU_DEP_4)
	v_mov_b32_e32 v3, v7
	v_xor3_b32 v0, v2, v5, v30
	v_xor3_b32 v2, v8, v9, v31
	s_branch .LBB106_8
.LBB106_7:                              ;   in Loop: Header=BB106_8 Depth=1
	s_or_b32 exec_lo, exec_lo, s13
	v_add_co_u32 v13, vcc_lo, v13, s9
	v_add_co_ci_u32_e32 v14, vcc_lo, 0, v14, vcc_lo
	v_mov_b32_e32 v7, v15
	v_dual_mov_b32 v0, v4 :: v_dual_mov_b32 v1, v5
	s_delay_alu instid0(VALU_DEP_3) | instskip(NEXT) | instid1(VALU_DEP_3)
	v_cmp_le_i64_e32 vcc_lo, s[2:3], v[13:14]
	v_dual_mov_b32 v2, v6 :: v_dual_mov_b32 v3, v7
	s_add_i32 s12, s12, s11
	s_waitcnt_vscnt null, 0x0
	s_barrier
	s_or_b32 s0, vcc_lo, s0
	buffer_gl0_inv
	s_and_not1_b32 exec_lo, exec_lo, s0
	s_cbranch_execz .LBB106_26
.LBB106_8:                              ; =>This Inner Loop Header: Depth=1
	v_add_co_u32 v17, vcc_lo, v17, 1
	s_delay_alu instid0(VALU_DEP_1) | instskip(SKIP_2) | instid1(VALU_DEP_1)
	v_cndmask_b32_e64 v4, 0, 1, vcc_lo
	v_add_co_ci_u32_e32 v18, vcc_lo, 0, v18, vcc_lo
	s_mov_b32 s13, exec_lo
	v_cmp_eq_u32_e32 vcc_lo, 0, v18
	s_delay_alu instid0(VALU_DEP_3) | instskip(NEXT) | instid1(VALU_DEP_1)
	v_cndmask_b32_e32 v4, 0, v4, vcc_lo
	v_add_nc_u32_e32 v37, v4, v37
	s_delay_alu instid0(VALU_DEP_1) | instskip(SKIP_2) | instid1(VALU_DEP_2)
	v_cmp_eq_u32_e32 vcc_lo, 0, v37
	v_cndmask_b32_e32 v4, 0, v4, vcc_lo
	v_mad_u64_u32 v[6:7], null, 0xcd9e8d57, v37, 0
	v_add_nc_u32_e32 v43, v4, v43
	v_mad_u64_u32 v[4:5], null, 0xd2511f53, v17, 0
	s_delay_alu instid0(VALU_DEP_3) | instskip(NEXT) | instid1(VALU_DEP_2)
	v_xor3_b32 v9, v7, v11, v18
	v_xor_b32_e32 v5, v5, v12
	s_delay_alu instid0(VALU_DEP_2) | instskip(NEXT) | instid1(VALU_DEP_2)
	v_mad_u64_u32 v[7:8], null, 0xd2511f53, v9, 0
	v_xor_b32_e32 v5, v43, v5
	s_delay_alu instid0(VALU_DEP_2) | instskip(NEXT) | instid1(VALU_DEP_2)
	v_xor3_b32 v8, v19, v8, v4
	v_mad_u64_u32 v[9:10], null, 0xcd9e8d57, v5, 0
	s_delay_alu instid0(VALU_DEP_2) | instskip(NEXT) | instid1(VALU_DEP_2)
	v_mad_u64_u32 v[4:5], null, 0xcd9e8d57, v8, 0
	v_xor3_b32 v6, v20, v10, v6
	s_delay_alu instid0(VALU_DEP_2) | instskip(NEXT) | instid1(VALU_DEP_2)
	v_xor3_b32 v8, v21, v5, v9
	v_mad_u64_u32 v[15:16], null, 0xd2511f53, v6, 0
	s_delay_alu instid0(VALU_DEP_2) | instskip(NEXT) | instid1(VALU_DEP_2)
	v_mad_u64_u32 v[5:6], null, 0xd2511f53, v8, 0
	v_xor3_b32 v9, v22, v16, v7
	s_delay_alu instid0(VALU_DEP_2) | instskip(NEXT) | instid1(VALU_DEP_2)
	v_xor3_b32 v6, v23, v6, v15
	v_mad_u64_u32 v[7:8], null, 0xcd9e8d57, v9, 0
	s_delay_alu instid0(VALU_DEP_1) | instskip(NEXT) | instid1(VALU_DEP_3)
	v_xor3_b32 v4, v24, v8, v4
	v_mad_u64_u32 v[8:9], null, 0xcd9e8d57, v6, 0
	s_delay_alu instid0(VALU_DEP_2) | instskip(NEXT) | instid1(VALU_DEP_2)
	v_mad_u64_u32 v[15:16], null, 0xd2511f53, v4, 0
	v_xor3_b32 v6, v25, v9, v7
	s_delay_alu instid0(VALU_DEP_2) | instskip(NEXT) | instid1(VALU_DEP_2)
	v_xor3_b32 v9, v26, v16, v5
	v_mad_u64_u32 v[4:5], null, 0xd2511f53, v6, 0
	s_delay_alu instid0(VALU_DEP_2) | instskip(NEXT) | instid1(VALU_DEP_2)
	v_mad_u64_u32 v[6:7], null, 0xcd9e8d57, v9, 0
	v_xor3_b32 v5, v27, v5, v15
	s_delay_alu instid0(VALU_DEP_2) | instskip(NEXT) | instid1(VALU_DEP_2)
	;; [unrolled: 6-line block ×6, first 2 shown]
	v_xor3_b32 v4, v6, v7, v30
	v_mov_b32_e32 v6, v10
	v_cmpx_lt_i32_e32 1, v29
	s_xor_b32 s13, exec_lo, s13
	s_cbranch_execnz .LBB106_18
; %bb.9:                                ;   in Loop: Header=BB106_8 Depth=1
	s_and_not1_saveexec_b32 s13, s13
	s_cbranch_execnz .LBB106_23
.LBB106_10:                             ;   in Loop: Header=BB106_8 Depth=1
	s_or_b32 exec_lo, exec_lo, s13
	s_delay_alu instid0(SALU_CYCLE_1)
	s_mov_b32 s13, exec_lo
	v_cmpx_gt_i64_e64 s[4:5], v[13:14]
	s_cbranch_execz .LBB106_12
.LBB106_11:                             ;   in Loop: Header=BB106_8 Depth=1
	v_add_nc_u32_e32 v7, s12, v39
	v_and_b32_e32 v0, 1, v0
	s_delay_alu instid0(VALU_DEP_2) | instskip(SKIP_1) | instid1(VALU_DEP_2)
	v_ashrrev_i32_e32 v8, 31, v7
	v_add_co_u32 v7, vcc_lo, s6, v7
	v_add_co_ci_u32_e32 v8, vcc_lo, s7, v8, vcc_lo
	global_store_b8 v[7:8], v0, off
.LBB106_12:                             ;   in Loop: Header=BB106_8 Depth=1
	s_or_b32 exec_lo, exec_lo, s13
	v_add_co_u32 v7, vcc_lo, s8, v13
	v_add_co_ci_u32_e32 v8, vcc_lo, 0, v14, vcc_lo
	s_mov_b32 s13, exec_lo
	s_delay_alu instid0(VALU_DEP_1)
	v_cmpx_gt_i64_e64 s[4:5], v[7:8]
	s_cbranch_execz .LBB106_14
; %bb.13:                               ;   in Loop: Header=BB106_8 Depth=1
	v_add_nc_u32_e32 v0, s12, v42
	s_delay_alu instid0(VALU_DEP_1) | instskip(SKIP_2) | instid1(VALU_DEP_3)
	v_ashrrev_i32_e32 v8, 31, v0
	v_add_co_u32 v7, vcc_lo, s6, v0
	v_and_b32_e32 v0, 1, v1
	v_add_co_ci_u32_e32 v8, vcc_lo, s7, v8, vcc_lo
	global_store_b8 v[7:8], v0, off
.LBB106_14:                             ;   in Loop: Header=BB106_8 Depth=1
	s_or_b32 exec_lo, exec_lo, s13
	v_add_co_u32 v0, vcc_lo, s1, v13
	v_add_co_ci_u32_e32 v1, vcc_lo, 0, v14, vcc_lo
	s_mov_b32 s13, exec_lo
	s_delay_alu instid0(VALU_DEP_1)
	v_cmpx_gt_i64_e64 s[4:5], v[0:1]
	s_cbranch_execz .LBB106_16
; %bb.15:                               ;   in Loop: Header=BB106_8 Depth=1
	v_add_nc_u32_e32 v0, s12, v41
	v_and_b32_e32 v2, 1, v2
	s_delay_alu instid0(VALU_DEP_2) | instskip(SKIP_1) | instid1(VALU_DEP_2)
	v_ashrrev_i32_e32 v1, 31, v0
	v_add_co_u32 v0, vcc_lo, s6, v0
	v_add_co_ci_u32_e32 v1, vcc_lo, s7, v1, vcc_lo
	global_store_b8 v[0:1], v2, off
.LBB106_16:                             ;   in Loop: Header=BB106_8 Depth=1
	s_or_b32 exec_lo, exec_lo, s13
	v_add_co_u32 v0, vcc_lo, s10, v13
	v_add_co_ci_u32_e32 v1, vcc_lo, 0, v14, vcc_lo
	s_mov_b32 s13, exec_lo
	s_delay_alu instid0(VALU_DEP_1)
	v_cmpx_gt_i64_e64 s[4:5], v[0:1]
	s_cbranch_execz .LBB106_7
; %bb.17:                               ;   in Loop: Header=BB106_8 Depth=1
	v_add_nc_u32_e32 v0, s12, v40
	v_and_b32_e32 v2, 1, v3
	s_delay_alu instid0(VALU_DEP_2) | instskip(SKIP_1) | instid1(VALU_DEP_2)
	v_ashrrev_i32_e32 v1, 31, v0
	v_add_co_u32 v0, vcc_lo, s6, v0
	v_add_co_ci_u32_e32 v1, vcc_lo, s7, v1, vcc_lo
	global_store_b8 v[0:1], v2, off
	s_branch .LBB106_7
.LBB106_18:                             ;   in Loop: Header=BB106_8 Depth=1
	s_mov_b32 s14, exec_lo
	v_cmpx_lt_i32_e32 2, v29
	s_xor_b32 s14, exec_lo, s14
; %bb.19:                               ;   in Loop: Header=BB106_8 Depth=1
	v_dual_mov_b32 v7, v3 :: v_dual_mov_b32 v8, v4
	v_mov_b32_e32 v9, v5
	s_delay_alu instid0(VALU_DEP_2) | instskip(NEXT) | instid1(VALU_DEP_2)
	v_dual_mov_b32 v0, v7 :: v_dual_mov_b32 v1, v8
	v_dual_mov_b32 v2, v9 :: v_dual_mov_b32 v3, v10
; %bb.20:                               ;   in Loop: Header=BB106_8 Depth=1
	s_and_not1_saveexec_b32 s14, s14
; %bb.21:                               ;   in Loop: Header=BB106_8 Depth=1
	s_delay_alu instid0(VALU_DEP_1)
	v_dual_mov_b32 v0, v2 :: v_dual_mov_b32 v1, v3
	v_dual_mov_b32 v2, v4 :: v_dual_mov_b32 v3, v5
; %bb.22:                               ;   in Loop: Header=BB106_8 Depth=1
	s_or_b32 exec_lo, exec_lo, s14
	s_and_not1_saveexec_b32 s13, s13
	s_cbranch_execz .LBB106_10
.LBB106_23:                             ;   in Loop: Header=BB106_8 Depth=1
	s_mov_b32 s14, exec_lo
	v_cmpx_eq_u32_e32 1, v29
; %bb.24:                               ;   in Loop: Header=BB106_8 Depth=1
	v_dual_mov_b32 v0, v1 :: v_dual_mov_b32 v1, v2
	v_dual_mov_b32 v2, v3 :: v_dual_mov_b32 v3, v4
; %bb.25:                               ;   in Loop: Header=BB106_8 Depth=1
	s_or_b32 exec_lo, exec_lo, s14
	s_delay_alu instid0(SALU_CYCLE_1) | instskip(NEXT) | instid1(SALU_CYCLE_1)
	s_or_b32 exec_lo, exec_lo, s13
	s_mov_b32 s13, exec_lo
	v_cmpx_gt_i64_e64 s[4:5], v[13:14]
	s_cbranch_execnz .LBB106_11
	s_branch .LBB106_12
.LBB106_26:
	s_endpgm
.LBB106_27:
                                        ; implicit-def: $sgpr2_sgpr3
	s_branch .LBB106_4
	.section	.rodata,"a",@progbits
	.p2align	6, 0x0
	.amdhsa_kernel _ZN2at6native12_GLOBAL__N_143distribution_elementwise_grid_stride_kernelIjLi4EZZZNS0_9templates4cuda13random_kernelIPNS_17CUDAGeneratorImplEEEvRNS_18TensorIteratorBaseET_ENKUlvE_clEvENKUlvE8_clEvEUlP25hiprandStatePhilox4_32_10E0_ZNS1_27distribution_nullary_kernelIbj15HIP_vector_typeIjLj4EES7_SF_ZZZNS5_IS7_EEvS9_SA_ENKSB_clEvENKSC_clEvEUljE_EEvS9_T2_RKT3_T4_EUlijE_EEvlNS_15PhiloxCudaStateET1_SK_
		.amdhsa_group_segment_fixed_size 0
		.amdhsa_private_segment_fixed_size 0
		.amdhsa_kernarg_size 320
		.amdhsa_user_sgpr_count 15
		.amdhsa_user_sgpr_dispatch_ptr 0
		.amdhsa_user_sgpr_queue_ptr 0
		.amdhsa_user_sgpr_kernarg_segment_ptr 1
		.amdhsa_user_sgpr_dispatch_id 0
		.amdhsa_user_sgpr_private_segment_size 0
		.amdhsa_wavefront_size32 1
		.amdhsa_uses_dynamic_stack 0
		.amdhsa_enable_private_segment 0
		.amdhsa_system_sgpr_workgroup_id_x 1
		.amdhsa_system_sgpr_workgroup_id_y 0
		.amdhsa_system_sgpr_workgroup_id_z 0
		.amdhsa_system_sgpr_workgroup_info 0
		.amdhsa_system_vgpr_workitem_id 0
		.amdhsa_next_free_vgpr 44
		.amdhsa_next_free_sgpr 23
		.amdhsa_reserve_vcc 1
		.amdhsa_float_round_mode_32 0
		.amdhsa_float_round_mode_16_64 0
		.amdhsa_float_denorm_mode_32 3
		.amdhsa_float_denorm_mode_16_64 3
		.amdhsa_dx10_clamp 1
		.amdhsa_ieee_mode 1
		.amdhsa_fp16_overflow 0
		.amdhsa_workgroup_processor_mode 1
		.amdhsa_memory_ordered 1
		.amdhsa_forward_progress 0
		.amdhsa_shared_vgpr_count 0
		.amdhsa_exception_fp_ieee_invalid_op 0
		.amdhsa_exception_fp_denorm_src 0
		.amdhsa_exception_fp_ieee_div_zero 0
		.amdhsa_exception_fp_ieee_overflow 0
		.amdhsa_exception_fp_ieee_underflow 0
		.amdhsa_exception_fp_ieee_inexact 0
		.amdhsa_exception_int_div_zero 0
	.end_amdhsa_kernel
	.section	.text._ZN2at6native12_GLOBAL__N_143distribution_elementwise_grid_stride_kernelIjLi4EZZZNS0_9templates4cuda13random_kernelIPNS_17CUDAGeneratorImplEEEvRNS_18TensorIteratorBaseET_ENKUlvE_clEvENKUlvE8_clEvEUlP25hiprandStatePhilox4_32_10E0_ZNS1_27distribution_nullary_kernelIbj15HIP_vector_typeIjLj4EES7_SF_ZZZNS5_IS7_EEvS9_SA_ENKSB_clEvENKSC_clEvEUljE_EEvS9_T2_RKT3_T4_EUlijE_EEvlNS_15PhiloxCudaStateET1_SK_,"axG",@progbits,_ZN2at6native12_GLOBAL__N_143distribution_elementwise_grid_stride_kernelIjLi4EZZZNS0_9templates4cuda13random_kernelIPNS_17CUDAGeneratorImplEEEvRNS_18TensorIteratorBaseET_ENKUlvE_clEvENKUlvE8_clEvEUlP25hiprandStatePhilox4_32_10E0_ZNS1_27distribution_nullary_kernelIbj15HIP_vector_typeIjLj4EES7_SF_ZZZNS5_IS7_EEvS9_SA_ENKSB_clEvENKSC_clEvEUljE_EEvS9_T2_RKT3_T4_EUlijE_EEvlNS_15PhiloxCudaStateET1_SK_,comdat
.Lfunc_end106:
	.size	_ZN2at6native12_GLOBAL__N_143distribution_elementwise_grid_stride_kernelIjLi4EZZZNS0_9templates4cuda13random_kernelIPNS_17CUDAGeneratorImplEEEvRNS_18TensorIteratorBaseET_ENKUlvE_clEvENKUlvE8_clEvEUlP25hiprandStatePhilox4_32_10E0_ZNS1_27distribution_nullary_kernelIbj15HIP_vector_typeIjLj4EES7_SF_ZZZNS5_IS7_EEvS9_SA_ENKSB_clEvENKSC_clEvEUljE_EEvS9_T2_RKT3_T4_EUlijE_EEvlNS_15PhiloxCudaStateET1_SK_, .Lfunc_end106-_ZN2at6native12_GLOBAL__N_143distribution_elementwise_grid_stride_kernelIjLi4EZZZNS0_9templates4cuda13random_kernelIPNS_17CUDAGeneratorImplEEEvRNS_18TensorIteratorBaseET_ENKUlvE_clEvENKUlvE8_clEvEUlP25hiprandStatePhilox4_32_10E0_ZNS1_27distribution_nullary_kernelIbj15HIP_vector_typeIjLj4EES7_SF_ZZZNS5_IS7_EEvS9_SA_ENKSB_clEvENKSC_clEvEUljE_EEvS9_T2_RKT3_T4_EUlijE_EEvlNS_15PhiloxCudaStateET1_SK_
                                        ; -- End function
	.section	.AMDGPU.csdata,"",@progbits
; Kernel info:
; codeLenInByte = 2820
; NumSgprs: 25
; NumVgprs: 44
; ScratchSize: 0
; MemoryBound: 0
; FloatMode: 240
; IeeeMode: 1
; LDSByteSize: 0 bytes/workgroup (compile time only)
; SGPRBlocks: 3
; VGPRBlocks: 5
; NumSGPRsForWavesPerEU: 25
; NumVGPRsForWavesPerEU: 44
; Occupancy: 16
; WaveLimiterHint : 0
; COMPUTE_PGM_RSRC2:SCRATCH_EN: 0
; COMPUTE_PGM_RSRC2:USER_SGPR: 15
; COMPUTE_PGM_RSRC2:TRAP_HANDLER: 0
; COMPUTE_PGM_RSRC2:TGID_X_EN: 1
; COMPUTE_PGM_RSRC2:TGID_Y_EN: 0
; COMPUTE_PGM_RSRC2:TGID_Z_EN: 0
; COMPUTE_PGM_RSRC2:TIDIG_COMP_CNT: 0
	.section	.text._ZN2at6native12_GLOBAL__N_143distribution_elementwise_grid_stride_kernelIjLi4EZZZNS0_9templates4cuda13random_kernelIPNS_17CUDAGeneratorImplEEEvRNS_18TensorIteratorBaseET_ENKUlvE_clEvENKUlvE8_clEvEUlP25hiprandStatePhilox4_32_10E0_ZNS1_27distribution_nullary_kernelIbj15HIP_vector_typeIjLj4EES7_SF_ZZZNS5_IS7_EEvS9_SA_ENKSB_clEvENKSC_clEvEUljE_EEvS9_T2_RKT3_T4_EUlijE0_EEvlNS_15PhiloxCudaStateET1_SK_,"axG",@progbits,_ZN2at6native12_GLOBAL__N_143distribution_elementwise_grid_stride_kernelIjLi4EZZZNS0_9templates4cuda13random_kernelIPNS_17CUDAGeneratorImplEEEvRNS_18TensorIteratorBaseET_ENKUlvE_clEvENKUlvE8_clEvEUlP25hiprandStatePhilox4_32_10E0_ZNS1_27distribution_nullary_kernelIbj15HIP_vector_typeIjLj4EES7_SF_ZZZNS5_IS7_EEvS9_SA_ENKSB_clEvENKSC_clEvEUljE_EEvS9_T2_RKT3_T4_EUlijE0_EEvlNS_15PhiloxCudaStateET1_SK_,comdat
	.globl	_ZN2at6native12_GLOBAL__N_143distribution_elementwise_grid_stride_kernelIjLi4EZZZNS0_9templates4cuda13random_kernelIPNS_17CUDAGeneratorImplEEEvRNS_18TensorIteratorBaseET_ENKUlvE_clEvENKUlvE8_clEvEUlP25hiprandStatePhilox4_32_10E0_ZNS1_27distribution_nullary_kernelIbj15HIP_vector_typeIjLj4EES7_SF_ZZZNS5_IS7_EEvS9_SA_ENKSB_clEvENKSC_clEvEUljE_EEvS9_T2_RKT3_T4_EUlijE0_EEvlNS_15PhiloxCudaStateET1_SK_ ; -- Begin function _ZN2at6native12_GLOBAL__N_143distribution_elementwise_grid_stride_kernelIjLi4EZZZNS0_9templates4cuda13random_kernelIPNS_17CUDAGeneratorImplEEEvRNS_18TensorIteratorBaseET_ENKUlvE_clEvENKUlvE8_clEvEUlP25hiprandStatePhilox4_32_10E0_ZNS1_27distribution_nullary_kernelIbj15HIP_vector_typeIjLj4EES7_SF_ZZZNS5_IS7_EEvS9_SA_ENKSB_clEvENKSC_clEvEUljE_EEvS9_T2_RKT3_T4_EUlijE0_EEvlNS_15PhiloxCudaStateET1_SK_
	.p2align	8
	.type	_ZN2at6native12_GLOBAL__N_143distribution_elementwise_grid_stride_kernelIjLi4EZZZNS0_9templates4cuda13random_kernelIPNS_17CUDAGeneratorImplEEEvRNS_18TensorIteratorBaseET_ENKUlvE_clEvENKUlvE8_clEvEUlP25hiprandStatePhilox4_32_10E0_ZNS1_27distribution_nullary_kernelIbj15HIP_vector_typeIjLj4EES7_SF_ZZZNS5_IS7_EEvS9_SA_ENKSB_clEvENKSC_clEvEUljE_EEvS9_T2_RKT3_T4_EUlijE0_EEvlNS_15PhiloxCudaStateET1_SK_,@function
_ZN2at6native12_GLOBAL__N_143distribution_elementwise_grid_stride_kernelIjLi4EZZZNS0_9templates4cuda13random_kernelIPNS_17CUDAGeneratorImplEEEvRNS_18TensorIteratorBaseET_ENKUlvE_clEvENKUlvE8_clEvEUlP25hiprandStatePhilox4_32_10E0_ZNS1_27distribution_nullary_kernelIbj15HIP_vector_typeIjLj4EES7_SF_ZZZNS5_IS7_EEvS9_SA_ENKSB_clEvENKSC_clEvEUljE_EEvS9_T2_RKT3_T4_EUlijE0_EEvlNS_15PhiloxCudaStateET1_SK_: ; @_ZN2at6native12_GLOBAL__N_143distribution_elementwise_grid_stride_kernelIjLi4EZZZNS0_9templates4cuda13random_kernelIPNS_17CUDAGeneratorImplEEEvRNS_18TensorIteratorBaseET_ENKUlvE_clEvENKUlvE8_clEvEUlP25hiprandStatePhilox4_32_10E0_ZNS1_27distribution_nullary_kernelIbj15HIP_vector_typeIjLj4EES7_SF_ZZZNS5_IS7_EEvS9_SA_ENKSB_clEvENKSC_clEvEUljE_EEvS9_T2_RKT3_T4_EUlijE0_EEvlNS_15PhiloxCudaStateET1_SK_
; %bb.0:
	s_clause 0x2
	s_load_b64 s[4:5], s[0:1], 0x10
	s_load_b128 s[16:19], s[0:1], 0x0
	s_load_b32 s2, s[0:1], 0x20
	s_waitcnt lgkmcnt(0)
	v_dual_mov_b32 v2, s4 :: v_dual_mov_b32 v3, s5
	v_dual_mov_b32 v11, s18 :: v_dual_mov_b32 v12, s19
	s_bitcmp0_b32 s2, 0
	s_mov_b32 s2, 0
	s_cbranch_scc1 .LBB107_2
; %bb.1:
	v_dual_mov_b32 v1, s4 :: v_dual_mov_b32 v2, s5
	v_dual_mov_b32 v4, s18 :: v_dual_mov_b32 v5, s19
	s_load_b64 s[4:5], s[0:1], 0x18
	flat_load_b64 v[2:3], v[1:2]
	flat_load_b64 v[11:12], v[4:5]
	s_waitcnt vmcnt(1) lgkmcnt(0)
	v_add_co_u32 v2, vcc_lo, v2, s4
	v_add_co_ci_u32_e32 v3, vcc_lo, s5, v3, vcc_lo
.LBB107_2:
	s_clause 0x1
	s_load_b32 s3, s[0:1], 0x154
	s_load_b32 s4, s[0:1], 0x148
	s_waitcnt lgkmcnt(0)
	s_and_b32 s5, s3, 0xffff
	s_add_u32 s6, s16, -1
	s_mul_i32 s24, s4, s5
	s_addc_u32 s3, s17, -1
	s_lshl_b32 s25, s24, 2
	s_cmp_lg_u64 s[2:3], 0
	s_cbranch_scc0 .LBB107_79
; %bb.3:
	v_cvt_f32_ubyte0_e32 v1, 0
	v_cvt_f32_u32_e32 v4, s25
	s_sub_u32 s8, 0, s25
	s_subb_u32 s9, 0, 0
	s_delay_alu instid0(VALU_DEP_1) | instskip(NEXT) | instid1(VALU_DEP_1)
	v_fmamk_f32 v1, v1, 0x4f800000, v4
	v_rcp_f32_e32 v1, v1
	s_waitcnt_depctr 0xfff
	v_mul_f32_e32 v1, 0x5f7ffffc, v1
	s_delay_alu instid0(VALU_DEP_1) | instskip(NEXT) | instid1(VALU_DEP_1)
	v_mul_f32_e32 v4, 0x2f800000, v1
	v_trunc_f32_e32 v4, v4
	s_delay_alu instid0(VALU_DEP_1) | instskip(SKIP_1) | instid1(VALU_DEP_2)
	v_fmamk_f32 v1, v4, 0xcf800000, v1
	v_cvt_u32_f32_e32 v4, v4
	v_cvt_u32_f32_e32 v1, v1
	s_delay_alu instid0(VALU_DEP_2) | instskip(NEXT) | instid1(VALU_DEP_2)
	v_readfirstlane_b32 s2, v4
	v_readfirstlane_b32 s7, v1
	s_delay_alu instid0(VALU_DEP_2) | instskip(NEXT) | instid1(VALU_DEP_1)
	s_mul_i32 s10, s8, s2
	s_mul_hi_u32 s12, s8, s7
	s_mul_i32 s11, s9, s7
	s_add_i32 s10, s12, s10
	s_mul_i32 s13, s8, s7
	s_add_i32 s10, s10, s11
	s_mul_hi_u32 s12, s7, s13
	s_mul_hi_u32 s14, s2, s13
	s_mul_i32 s11, s2, s13
	s_mul_hi_u32 s13, s7, s10
	s_mul_i32 s7, s7, s10
	s_mul_hi_u32 s18, s2, s10
	s_add_u32 s7, s12, s7
	s_addc_u32 s12, 0, s13
	s_add_u32 s7, s7, s11
	s_mul_i32 s10, s2, s10
	s_addc_u32 s7, s12, s14
	s_addc_u32 s11, s18, 0
	s_add_u32 s7, s7, s10
	s_addc_u32 s10, 0, s11
	v_add_co_u32 v1, s7, v1, s7
	s_delay_alu instid0(VALU_DEP_1) | instskip(SKIP_1) | instid1(VALU_DEP_1)
	s_cmp_lg_u32 s7, 0
	s_addc_u32 s2, s2, s10
	v_readfirstlane_b32 s7, v1
	s_mul_i32 s10, s8, s2
	s_delay_alu instid0(VALU_DEP_1)
	s_mul_hi_u32 s11, s8, s7
	s_mul_i32 s9, s9, s7
	s_add_i32 s10, s11, s10
	s_mul_i32 s8, s8, s7
	s_add_i32 s10, s10, s9
	s_mul_hi_u32 s11, s2, s8
	s_mul_i32 s12, s2, s8
	s_mul_hi_u32 s8, s7, s8
	s_mul_hi_u32 s13, s7, s10
	s_mul_i32 s7, s7, s10
	s_mul_hi_u32 s9, s2, s10
	s_add_u32 s7, s8, s7
	s_addc_u32 s8, 0, s13
	s_add_u32 s7, s7, s12
	s_mul_i32 s10, s2, s10
	s_addc_u32 s7, s8, s11
	s_addc_u32 s8, s9, 0
	s_add_u32 s7, s7, s10
	s_addc_u32 s8, 0, s8
	v_add_co_u32 v1, s7, v1, s7
	s_delay_alu instid0(VALU_DEP_1) | instskip(SKIP_2) | instid1(VALU_DEP_1)
	s_cmp_lg_u32 s7, 0
	s_addc_u32 s7, s2, s8
	s_ashr_i32 s8, s3, 31
	v_readfirstlane_b32 s10, v1
	s_add_u32 s2, s6, s8
	s_mov_b32 s9, s8
	s_addc_u32 s3, s3, s8
	s_delay_alu instid0(SALU_CYCLE_1) | instskip(NEXT) | instid1(SALU_CYCLE_1)
	s_xor_b64 s[2:3], s[2:3], s[8:9]
	s_mul_i32 s12, s2, s7
	s_mul_hi_u32 s13, s2, s10
	s_mul_hi_u32 s11, s2, s7
	;; [unrolled: 1-line block ×3, first 2 shown]
	s_mul_i32 s10, s3, s10
	s_add_u32 s12, s13, s12
	s_addc_u32 s11, 0, s11
	s_mul_hi_u32 s14, s3, s7
	s_add_u32 s10, s12, s10
	s_mul_i32 s7, s3, s7
	s_addc_u32 s10, s11, s18
	s_addc_u32 s11, s14, 0
	s_add_u32 s7, s10, s7
	s_addc_u32 s10, 0, s11
	s_mul_i32 s12, s25, s7
	s_add_u32 s11, s7, 1
	v_sub_co_u32 v1, s2, s2, s12
	s_mul_hi_u32 s12, s25, s7
	s_addc_u32 s13, s10, 0
	s_mul_i32 s14, s25, s10
	s_delay_alu instid0(VALU_DEP_1)
	v_sub_co_u32 v4, s18, v1, s25
	s_add_u32 s19, s7, 2
	s_addc_u32 s20, s10, 0
	s_add_i32 s12, s12, s14
	s_cmp_lg_u32 s2, 0
	v_readfirstlane_b32 s2, v4
	s_subb_u32 s3, s3, s12
	s_cmp_lg_u32 s18, 0
	s_subb_u32 s12, s3, 0
	s_delay_alu instid0(VALU_DEP_1) | instskip(SKIP_4) | instid1(SALU_CYCLE_1)
	s_cmp_ge_u32 s2, s25
	s_cselect_b32 s2, -1, 0
	s_cmp_eq_u32 s12, 0
	v_readfirstlane_b32 s12, v1
	s_cselect_b32 s2, s2, -1
	s_cmp_lg_u32 s2, 0
	s_cselect_b32 s2, s19, s11
	s_cselect_b32 s11, s20, s13
	s_cmp_ge_u32 s12, s25
	s_cselect_b32 s12, -1, 0
	s_cmp_eq_u32 s3, 0
	s_cselect_b32 s3, s12, -1
	s_delay_alu instid0(SALU_CYCLE_1) | instskip(SKIP_2) | instid1(SALU_CYCLE_1)
	s_cmp_lg_u32 s3, 0
	s_cselect_b32 s3, s11, s10
	s_cselect_b32 s2, s2, s7
	s_xor_b64 s[2:3], s[2:3], s[8:9]
	s_delay_alu instid0(SALU_CYCLE_1)
	s_sub_u32 s2, s2, s8
	s_subb_u32 s3, s3, s8
	s_cbranch_execnz .LBB107_5
.LBB107_4:
	v_cvt_f32_u32_e32 v1, s25
	s_sub_i32 s3, 0, s25
	s_delay_alu instid0(VALU_DEP_1) | instskip(SKIP_2) | instid1(VALU_DEP_1)
	v_rcp_iflag_f32_e32 v1, v1
	s_waitcnt_depctr 0xfff
	v_mul_f32_e32 v1, 0x4f7ffffe, v1
	v_cvt_u32_f32_e32 v1, v1
	s_delay_alu instid0(VALU_DEP_1) | instskip(NEXT) | instid1(VALU_DEP_1)
	v_readfirstlane_b32 s2, v1
	s_mul_i32 s3, s3, s2
	s_delay_alu instid0(SALU_CYCLE_1) | instskip(NEXT) | instid1(SALU_CYCLE_1)
	s_mul_hi_u32 s3, s2, s3
	s_add_i32 s2, s2, s3
	s_delay_alu instid0(SALU_CYCLE_1) | instskip(NEXT) | instid1(SALU_CYCLE_1)
	s_mul_hi_u32 s2, s6, s2
	s_mul_i32 s3, s2, s25
	s_delay_alu instid0(SALU_CYCLE_1)
	s_sub_i32 s3, s6, s3
	s_add_i32 s6, s2, 1
	s_sub_i32 s7, s3, s25
	s_cmp_ge_u32 s3, s25
	s_cselect_b32 s2, s6, s2
	s_cselect_b32 s3, s7, s3
	s_add_i32 s6, s2, 1
	s_cmp_ge_u32 s3, s25
	s_mov_b32 s3, 0
	s_cselect_b32 s2, s6, s2
.LBB107_5:
	v_mov_b32_e32 v1, 0
	s_add_u32 s2, s2, 1
	s_addc_u32 s3, s3, 0
	s_mul_hi_u32 s6, s24, s2
	s_mul_i32 s3, s24, s3
	v_mad_u64_u32 v[13:14], null, s5, s15, v[0:1]
	s_mul_hi_u32 s4, s4, s5
	s_add_i32 s3, s6, s3
	s_mul_i32 s4, s4, s2
	s_mul_i32 s2, s24, s2
	s_add_i32 s3, s3, s4
	s_mov_b32 s4, exec_lo
	s_lshl_b64 s[2:3], s[2:3], 2
	s_delay_alu instid0(SALU_CYCLE_1)
	v_cmpx_gt_i64_e64 s[2:3], v[13:14]
	s_cbranch_execz .LBB107_78
; %bb.6:
	v_alignbit_b32 v17, v3, v2, 2
	v_mad_u64_u32 v[4:5], null, 0xcd9e8d57, v13, 0
	v_lshrrev_b32_e32 v18, 2, v3
	s_waitcnt vmcnt(0)
	v_dual_mov_b32 v9, v12 :: v_dual_and_b32 v26, 3, v2
	v_mad_u64_u32 v[0:1], null, 0xd2511f53, v17, 0
	v_add_co_u32 v20, null, 0x9e3779b9, v11
	v_xor3_b32 v3, v11, v5, v18
	s_delay_alu instid0(VALU_DEP_4) | instskip(SKIP_2) | instid1(VALU_DEP_4)
	v_add_co_u32 v19, null, 0xbb67ae85, v9
	v_add_co_u32 v21, null, 0x3c6ef372, v11
	v_xor_b32_e32 v1, v1, v12
	v_mad_u64_u32 v[5:6], null, 0xd2511f53, v3, 0
	v_add_co_u32 v22, null, 0x76cf5d0a, v9
	s_delay_alu instid0(VALU_DEP_3) | instskip(SKIP_2) | instid1(VALU_DEP_3)
	v_xor_b32_e32 v1, v1, v14
	v_add_co_u32 v23, null, 0x32370b8f, v9
	v_add_co_u32 v24, null, 0xdaa66d2b, v11
	v_mad_u64_u32 v[7:8], null, 0xcd9e8d57, v1, 0
	v_xor3_b32 v3, v19, v6, v0
	v_add_co_u32 v25, null, 0x78dde6e4, v11
	v_add_co_u32 v27, null, 0xed9eba14, v9
	s_delay_alu instid0(VALU_DEP_3) | instskip(SKIP_3) | instid1(VALU_DEP_3)
	v_mad_u64_u32 v[0:1], null, 0xcd9e8d57, v3, 0
	v_xor3_b32 v6, v20, v8, v4
	v_add_co_u32 v30, null, 0xa9066899, v9
	v_add_co_u32 v31, null, 0x1715609d, v11
	v_mad_u64_u32 v[3:4], null, 0xd2511f53, v6, 0
	v_xor3_b32 v1, v21, v1, v7
	v_add_co_u32 v33, null, 0xb54cda56, v11
	v_add_co_u32 v35, null, 0x646e171e, v9
	s_load_b256 s[4:11], s[0:1], 0x30
	s_delay_alu instid0(VALU_DEP_4) | instskip(SKIP_2) | instid1(VALU_DEP_3)
	v_xor3_b32 v8, v22, v4, v5
	v_mad_u64_u32 v[4:5], null, 0xd2511f53, v1, 0
	v_add_co_u32 v32, null, 0x5384540f, v11
	v_mad_u64_u32 v[6:7], null, 0xcd9e8d57, v8, 0
	v_add_co_u32 v37, null, 0x1fd5c5a3, v9
	s_delay_alu instid0(VALU_DEP_4) | instskip(SKIP_3) | instid1(VALU_DEP_4)
	v_xor3_b32 v3, v23, v5, v3
	v_add_co_u32 v34, null, 0xf1bbcdc8, v11
	v_add_co_u32 v38, null, 0xdb3d7428, v9
	v_xor3_b32 v5, v24, v7, v0
	v_mad_u64_u32 v[0:1], null, 0xcd9e8d57, v3, 0
	s_add_u32 s12, s0, 48
	s_clause 0x1
	s_load_b64 s[14:15], s[0:1], 0xf4
	s_load_b64 s[18:19], s[0:1], 0x138
	v_mad_u64_u32 v[7:8], null, 0xd2511f53, v5, 0
	s_addc_u32 s13, s1, 0
	s_waitcnt lgkmcnt(0)
	s_add_i32 s20, s4, -1
	v_xor3_b32 v3, v25, v1, v6
	s_cmp_gt_u32 s20, 1
	v_dual_mov_b32 v36, v13 :: v_dual_add_nc_u32 v29, 0x96a522ad, v12
	s_delay_alu instid0(VALU_DEP_3) | instskip(NEXT) | instid1(VALU_DEP_3)
	v_xor3_b32 v5, v27, v8, v4
	v_mad_u64_u32 v[1:2], null, 0xd2511f53, v3, 0
	s_cselect_b32 s11, -1, 0
	s_cmp_lg_u32 s4, 0
	s_delay_alu instid0(VALU_DEP_2) | instskip(SKIP_2) | instid1(VALU_DEP_2)
	v_mad_u64_u32 v[3:4], null, 0xcd9e8d57, v5, 0
	s_cselect_b32 s27, -1, 0
	s_add_u32 s0, s0, 0xf4
	v_xor3_b32 v2, v30, v2, v7
	s_addc_u32 s1, s1, 0
	s_min_u32 s21, s20, 15
	s_cmp_gt_u32 s4, 1
	s_delay_alu instid0(VALU_DEP_2) | instskip(SKIP_3) | instid1(VALU_DEP_2)
	v_xor3_b32 v0, v31, v4, v0
	v_mad_u64_u32 v[4:5], null, 0xcd9e8d57, v2, 0
	s_cselect_b32 s4, -1, 0
	s_add_i32 s21, s21, 1
	v_mad_u64_u32 v[6:7], null, 0xd2511f53, v0, 0
	s_lshl_b32 s28, s24, 1
	s_and_b32 s29, s21, 3
	s_delay_alu instid0(VALU_DEP_2) | instskip(SKIP_3) | instid1(VALU_DEP_3)
	v_xor3_b32 v2, v33, v5, v3
	s_cmp_lg_u32 s20, 2
	v_mov_b32_e32 v39, v14
	s_cselect_b32 s30, -1, 0
	v_xor3_b32 v5, v35, v7, v1
	v_mad_u64_u32 v[0:1], null, 0xd2511f53, v2, 0
	s_and_b32 s31, s21, 28
	s_cmp_lg_u32 s29, 0
	s_delay_alu instid0(VALU_DEP_2) | instskip(SKIP_2) | instid1(VALU_DEP_2)
	v_mad_u64_u32 v[2:3], null, 0xcd9e8d57, v5, 0
	s_mov_b32 s26, 0
	s_mul_i32 s33, s24, 3
	v_xor3_b32 v1, v37, v1, v6
	s_cselect_b32 s34, -1, 0
	s_delay_alu instid0(VALU_DEP_2) | instskip(NEXT) | instid1(VALU_DEP_2)
	v_xor3_b32 v3, v32, v3, v4
	v_mad_u64_u32 v[4:5], null, 0xcd9e8d57, v1, 0
	s_delay_alu instid0(VALU_DEP_2) | instskip(NEXT) | instid1(VALU_DEP_2)
	v_mad_u64_u32 v[6:7], null, 0xd2511f53, v3, 0
	v_xor3_b32 v1, v34, v5, v2
	s_delay_alu instid0(VALU_DEP_2) | instskip(NEXT) | instid1(VALU_DEP_2)
	v_xor3_b32 v0, v38, v7, v0
	v_mad_u64_u32 v[7:8], null, 0xd2511f53, v1, 0
	v_add_nc_u32_e32 v28, 0x8ff34781, v11
	s_delay_alu instid0(VALU_DEP_3) | instskip(NEXT) | instid1(VALU_DEP_3)
	v_mad_u64_u32 v[1:2], null, 0xcd9e8d57, v0, 0
	v_mov_b32_e32 v3, v7
	s_delay_alu instid0(VALU_DEP_2)
	v_xor3_b32 v0, v2, v4, v28
	v_xor3_b32 v2, v8, v6, v29
	s_branch .LBB107_9
.LBB107_7:                              ;   in Loop: Header=BB107_9 Depth=1
	v_and_b32_e32 v0, 1, v3
	global_store_b8 v1, v0, s[18:19]
.LBB107_8:                              ;   in Loop: Header=BB107_9 Depth=1
	s_or_b32 exec_lo, exec_lo, s35
	v_add_co_u32 v13, vcc_lo, v13, s25
	v_add_co_ci_u32_e32 v14, vcc_lo, 0, v14, vcc_lo
	v_mov_b32_e32 v7, v15
	v_dual_mov_b32 v0, v4 :: v_dual_mov_b32 v1, v5
	s_delay_alu instid0(VALU_DEP_3) | instskip(NEXT) | instid1(VALU_DEP_3)
	v_cmp_le_i64_e32 vcc_lo, s[2:3], v[13:14]
	v_dual_mov_b32 v2, v6 :: v_dual_mov_b32 v3, v7
	s_waitcnt_vscnt null, 0x0
	s_barrier
	buffer_gl0_inv
	s_or_b32 s26, vcc_lo, s26
	s_delay_alu instid0(SALU_CYCLE_1)
	s_and_not1_b32 exec_lo, exec_lo, s26
	s_cbranch_execz .LBB107_78
.LBB107_9:                              ; =>This Loop Header: Depth=1
                                        ;     Child Loop BB107_24 Depth 2
                                        ;     Child Loop BB107_29 Depth 2
	;; [unrolled: 1-line block ×8, first 2 shown]
	v_add_co_u32 v17, vcc_lo, v17, 1
	s_delay_alu instid0(VALU_DEP_1) | instskip(SKIP_2) | instid1(VALU_DEP_1)
	v_cndmask_b32_e64 v4, 0, 1, vcc_lo
	v_add_co_ci_u32_e32 v18, vcc_lo, 0, v18, vcc_lo
	s_mov_b32 s20, exec_lo
	v_cmp_eq_u32_e32 vcc_lo, 0, v18
	s_delay_alu instid0(VALU_DEP_3) | instskip(NEXT) | instid1(VALU_DEP_1)
	v_cndmask_b32_e32 v4, 0, v4, vcc_lo
	v_add_nc_u32_e32 v36, v4, v36
	s_delay_alu instid0(VALU_DEP_1) | instskip(SKIP_2) | instid1(VALU_DEP_2)
	v_cmp_eq_u32_e32 vcc_lo, 0, v36
	v_mad_u64_u32 v[6:7], null, 0xcd9e8d57, v36, 0
	v_cndmask_b32_e32 v4, 0, v4, vcc_lo
	v_xor3_b32 v9, v7, v11, v18
	s_delay_alu instid0(VALU_DEP_2) | instskip(SKIP_1) | instid1(VALU_DEP_3)
	v_add_nc_u32_e32 v39, v4, v39
	v_mad_u64_u32 v[4:5], null, 0xd2511f53, v17, 0
	v_mad_u64_u32 v[7:8], null, 0xd2511f53, v9, 0
	s_delay_alu instid0(VALU_DEP_2) | instskip(NEXT) | instid1(VALU_DEP_2)
	v_xor_b32_e32 v5, v5, v12
	v_xor3_b32 v8, v19, v8, v4
	s_delay_alu instid0(VALU_DEP_2) | instskip(NEXT) | instid1(VALU_DEP_1)
	v_xor_b32_e32 v5, v39, v5
	v_mad_u64_u32 v[9:10], null, 0xcd9e8d57, v5, 0
	s_delay_alu instid0(VALU_DEP_3) | instskip(NEXT) | instid1(VALU_DEP_2)
	v_mad_u64_u32 v[4:5], null, 0xcd9e8d57, v8, 0
	v_xor3_b32 v6, v20, v10, v6
	s_delay_alu instid0(VALU_DEP_2) | instskip(NEXT) | instid1(VALU_DEP_2)
	v_xor3_b32 v8, v21, v5, v9
	v_mad_u64_u32 v[15:16], null, 0xd2511f53, v6, 0
	s_delay_alu instid0(VALU_DEP_2) | instskip(NEXT) | instid1(VALU_DEP_2)
	v_mad_u64_u32 v[5:6], null, 0xd2511f53, v8, 0
	v_xor3_b32 v9, v22, v16, v7
	s_delay_alu instid0(VALU_DEP_2) | instskip(NEXT) | instid1(VALU_DEP_2)
	v_xor3_b32 v6, v23, v6, v15
	v_mad_u64_u32 v[7:8], null, 0xcd9e8d57, v9, 0
	s_delay_alu instid0(VALU_DEP_1) | instskip(NEXT) | instid1(VALU_DEP_3)
	v_xor3_b32 v4, v24, v8, v4
	v_mad_u64_u32 v[8:9], null, 0xcd9e8d57, v6, 0
	s_delay_alu instid0(VALU_DEP_2) | instskip(NEXT) | instid1(VALU_DEP_2)
	v_mad_u64_u32 v[15:16], null, 0xd2511f53, v4, 0
	v_xor3_b32 v6, v25, v9, v7
	s_delay_alu instid0(VALU_DEP_2) | instskip(NEXT) | instid1(VALU_DEP_2)
	v_xor3_b32 v9, v27, v16, v5
	v_mad_u64_u32 v[4:5], null, 0xd2511f53, v6, 0
	s_delay_alu instid0(VALU_DEP_2) | instskip(NEXT) | instid1(VALU_DEP_2)
	v_mad_u64_u32 v[6:7], null, 0xcd9e8d57, v9, 0
	v_xor3_b32 v5, v30, v5, v15
	s_delay_alu instid0(VALU_DEP_2) | instskip(NEXT) | instid1(VALU_DEP_2)
	v_xor3_b32 v15, v31, v7, v8
	v_mad_u64_u32 v[7:8], null, 0xcd9e8d57, v5, 0
	s_delay_alu instid0(VALU_DEP_2) | instskip(NEXT) | instid1(VALU_DEP_2)
	v_mad_u64_u32 v[9:10], null, 0xd2511f53, v15, 0
	v_xor3_b32 v6, v33, v8, v6
	s_delay_alu instid0(VALU_DEP_2) | instskip(NEXT) | instid1(VALU_DEP_2)
	v_xor3_b32 v8, v35, v10, v4
	v_mad_u64_u32 v[4:5], null, 0xd2511f53, v6, 0
	s_delay_alu instid0(VALU_DEP_2) | instskip(NEXT) | instid1(VALU_DEP_2)
	v_mad_u64_u32 v[15:16], null, 0xcd9e8d57, v8, 0
	v_xor3_b32 v5, v37, v5, v9
	s_delay_alu instid0(VALU_DEP_2) | instskip(NEXT) | instid1(VALU_DEP_2)
	v_xor3_b32 v6, v32, v16, v7
	v_mad_u64_u32 v[7:8], null, 0xcd9e8d57, v5, 0
	s_delay_alu instid0(VALU_DEP_2) | instskip(NEXT) | instid1(VALU_DEP_2)
	v_mad_u64_u32 v[9:10], null, 0xd2511f53, v6, 0
	v_xor3_b32 v5, v34, v8, v15
	s_delay_alu instid0(VALU_DEP_2) | instskip(NEXT) | instid1(VALU_DEP_2)
	v_xor3_b32 v4, v38, v10, v4
	v_mad_u64_u32 v[15:16], null, 0xd2511f53, v5, 0
	s_delay_alu instid0(VALU_DEP_2) | instskip(NEXT) | instid1(VALU_DEP_2)
	v_mad_u64_u32 v[5:6], null, 0xcd9e8d57, v4, 0
	v_xor3_b32 v10, v16, v9, v29
	s_delay_alu instid0(VALU_DEP_2) | instskip(NEXT) | instid1(VALU_DEP_2)
	v_xor3_b32 v4, v6, v7, v28
	v_mov_b32_e32 v6, v10
	v_cmpx_lt_i32_e32 1, v26
	s_xor_b32 s20, exec_lo, s20
	s_cbranch_execnz .LBB107_12
; %bb.10:                               ;   in Loop: Header=BB107_9 Depth=1
	s_and_not1_saveexec_b32 s20, s20
	s_cbranch_execnz .LBB107_17
.LBB107_11:                             ;   in Loop: Header=BB107_9 Depth=1
	s_or_b32 exec_lo, exec_lo, s20
	s_delay_alu instid0(SALU_CYCLE_1)
	s_mov_b32 s35, exec_lo
	v_cmpx_gt_i64_e64 s[16:17], v[13:14]
	s_cbranch_execnz .LBB107_20
	s_branch .LBB107_34
.LBB107_12:                             ;   in Loop: Header=BB107_9 Depth=1
	s_mov_b32 s21, exec_lo
	v_cmpx_lt_i32_e32 2, v26
	s_xor_b32 s21, exec_lo, s21
; %bb.13:                               ;   in Loop: Header=BB107_9 Depth=1
	v_dual_mov_b32 v7, v3 :: v_dual_mov_b32 v8, v4
	v_mov_b32_e32 v9, v5
	s_delay_alu instid0(VALU_DEP_2) | instskip(NEXT) | instid1(VALU_DEP_2)
	v_dual_mov_b32 v0, v7 :: v_dual_mov_b32 v1, v8
	v_dual_mov_b32 v2, v9 :: v_dual_mov_b32 v3, v10
; %bb.14:                               ;   in Loop: Header=BB107_9 Depth=1
	s_and_not1_saveexec_b32 s21, s21
; %bb.15:                               ;   in Loop: Header=BB107_9 Depth=1
	s_delay_alu instid0(VALU_DEP_1)
	v_dual_mov_b32 v0, v2 :: v_dual_mov_b32 v1, v3
	v_dual_mov_b32 v2, v4 :: v_dual_mov_b32 v3, v5
; %bb.16:                               ;   in Loop: Header=BB107_9 Depth=1
	s_or_b32 exec_lo, exec_lo, s21
	s_and_not1_saveexec_b32 s20, s20
	s_cbranch_execz .LBB107_11
.LBB107_17:                             ;   in Loop: Header=BB107_9 Depth=1
	s_mov_b32 s21, exec_lo
	v_cmpx_eq_u32_e32 1, v26
; %bb.18:                               ;   in Loop: Header=BB107_9 Depth=1
	v_dual_mov_b32 v0, v1 :: v_dual_mov_b32 v1, v2
	v_dual_mov_b32 v2, v3 :: v_dual_mov_b32 v3, v4
; %bb.19:                               ;   in Loop: Header=BB107_9 Depth=1
	s_or_b32 exec_lo, exec_lo, s21
	s_delay_alu instid0(SALU_CYCLE_1) | instskip(NEXT) | instid1(SALU_CYCLE_1)
	s_or_b32 exec_lo, exec_lo, s20
	s_mov_b32 s35, exec_lo
	v_cmpx_gt_i64_e64 s[16:17], v[13:14]
	s_cbranch_execz .LBB107_34
.LBB107_20:                             ;   in Loop: Header=BB107_9 Depth=1
	s_and_not1_b32 vcc_lo, exec_lo, s11
	s_cbranch_vccnz .LBB107_26
; %bb.21:                               ;   in Loop: Header=BB107_9 Depth=1
	v_mov_b32_e32 v7, 0
	s_and_not1_b32 vcc_lo, exec_lo, s27
	s_cbranch_vccnz .LBB107_30
; %bb.22:                               ;   in Loop: Header=BB107_9 Depth=1
	s_and_not1_b32 vcc_lo, exec_lo, s30
	s_mov_b32 s20, 0
	s_cbranch_vccnz .LBB107_27
; %bb.23:                               ;   in Loop: Header=BB107_9 Depth=1
	v_dual_mov_b32 v7, 0 :: v_dual_mov_b32 v8, v13
	s_mov_b32 s36, 0
	s_mov_b64 s[20:21], s[12:13]
	s_mov_b64 s[22:23], s[0:1]
.LBB107_24:                             ;   Parent Loop BB107_9 Depth=1
                                        ; =>  This Inner Loop Header: Depth=2
	s_clause 0x1
	s_load_b256 s[40:47], s[20:21], 0x4
	s_load_b128 s[48:51], s[20:21], 0x24
	s_load_b128 s[52:55], s[22:23], 0x0
	s_add_u32 s20, s20, 48
	s_addc_u32 s21, s21, 0
	s_add_i32 s36, s36, 4
	s_add_u32 s22, s22, 16
	s_addc_u32 s23, s23, 0
	s_cmp_lg_u32 s31, s36
	s_waitcnt lgkmcnt(0)
	v_mul_hi_u32 v9, s41, v8
	s_delay_alu instid0(VALU_DEP_1) | instskip(NEXT) | instid1(VALU_DEP_1)
	v_add_nc_u32_e32 v9, v8, v9
	v_lshrrev_b32_e32 v9, s42, v9
	s_delay_alu instid0(VALU_DEP_1) | instskip(SKIP_1) | instid1(VALU_DEP_2)
	v_mul_hi_u32 v10, s44, v9
	v_mul_lo_u32 v41, v9, s40
	v_add_nc_u32_e32 v10, v9, v10
	s_delay_alu instid0(VALU_DEP_2) | instskip(NEXT) | instid1(VALU_DEP_2)
	v_sub_nc_u32_e32 v41, v8, v41
	v_lshrrev_b32_e32 v10, s45, v10
	s_delay_alu instid0(VALU_DEP_2) | instskip(NEXT) | instid1(VALU_DEP_2)
	v_mul_lo_u32 v41, v41, s52
	v_mul_hi_u32 v16, s47, v10
	v_mul_lo_u32 v42, v10, s43
	s_delay_alu instid0(VALU_DEP_2) | instskip(NEXT) | instid1(VALU_DEP_2)
	v_add_nc_u32_e32 v16, v10, v16
	v_sub_nc_u32_e32 v9, v9, v42
	s_delay_alu instid0(VALU_DEP_2) | instskip(NEXT) | instid1(VALU_DEP_2)
	v_lshrrev_b32_e32 v16, s48, v16
	v_mul_lo_u32 v9, v9, s53
	s_delay_alu instid0(VALU_DEP_2) | instskip(NEXT) | instid1(VALU_DEP_2)
	v_mul_hi_u32 v40, s50, v16
	v_add3_u32 v7, v41, v7, v9
	s_delay_alu instid0(VALU_DEP_2) | instskip(NEXT) | instid1(VALU_DEP_1)
	v_add_nc_u32_e32 v40, v16, v40
	v_lshrrev_b32_e32 v8, s51, v40
	v_mul_lo_u32 v40, v16, s46
	s_delay_alu instid0(VALU_DEP_2) | instskip(NEXT) | instid1(VALU_DEP_2)
	v_mul_lo_u32 v43, v8, s49
	v_sub_nc_u32_e32 v10, v10, v40
	s_delay_alu instid0(VALU_DEP_2) | instskip(NEXT) | instid1(VALU_DEP_2)
	v_sub_nc_u32_e32 v16, v16, v43
	v_mul_lo_u32 v10, v10, s54
	s_delay_alu instid0(VALU_DEP_2) | instskip(NEXT) | instid1(VALU_DEP_1)
	v_mul_lo_u32 v16, v16, s55
	v_add3_u32 v7, v10, v7, v16
	s_cbranch_scc1 .LBB107_24
; %bb.25:                               ;   in Loop: Header=BB107_9 Depth=1
	s_mov_b32 s20, s31
	s_and_not1_b32 vcc_lo, exec_lo, s34
	s_cbranch_vccz .LBB107_28
	s_branch .LBB107_30
.LBB107_26:                             ;   in Loop: Header=BB107_9 Depth=1
                                        ; implicit-def: $vgpr7
	s_branch .LBB107_31
.LBB107_27:                             ;   in Loop: Header=BB107_9 Depth=1
	v_mov_b32_e32 v8, v13
	s_and_not1_b32 vcc_lo, exec_lo, s34
	s_cbranch_vccnz .LBB107_30
.LBB107_28:                             ;   in Loop: Header=BB107_9 Depth=1
	s_lshl_b32 s21, s20, 2
	s_mul_i32 s22, s20, 12
	s_add_u32 s20, s0, s21
	s_addc_u32 s21, s1, 0
	s_add_u32 s22, s12, s22
	s_addc_u32 s23, s13, 0
	s_mov_b32 s36, s29
	.p2align	6
.LBB107_29:                             ;   Parent Loop BB107_9 Depth=1
                                        ; =>  This Inner Loop Header: Depth=2
	s_clause 0x1
	s_load_b64 s[38:39], s[22:23], 0x4
	s_load_b32 s37, s[22:23], 0xc
	s_add_u32 s22, s22, 12
	s_addc_u32 s23, s23, 0
	s_waitcnt lgkmcnt(0)
	v_mul_hi_u32 v9, s39, v8
	s_load_b32 s39, s[20:21], 0x0
	s_add_u32 s20, s20, 4
	s_addc_u32 s21, s21, 0
	s_add_i32 s36, s36, -1
	s_delay_alu instid0(SALU_CYCLE_1) | instskip(NEXT) | instid1(VALU_DEP_1)
	s_cmp_lg_u32 s36, 0
	v_add_nc_u32_e32 v9, v8, v9
	s_delay_alu instid0(VALU_DEP_1) | instskip(NEXT) | instid1(VALU_DEP_1)
	v_lshrrev_b32_e32 v16, s37, v9
	v_mul_lo_u32 v9, v16, s38
	s_delay_alu instid0(VALU_DEP_1) | instskip(SKIP_1) | instid1(VALU_DEP_1)
	v_sub_nc_u32_e32 v8, v8, v9
	s_waitcnt lgkmcnt(0)
	v_mad_u64_u32 v[9:10], null, v8, s39, v[7:8]
	s_delay_alu instid0(VALU_DEP_1)
	v_dual_mov_b32 v8, v16 :: v_dual_mov_b32 v7, v9
	s_cbranch_scc1 .LBB107_29
.LBB107_30:                             ;   in Loop: Header=BB107_9 Depth=1
	s_cbranch_execnz .LBB107_33
.LBB107_31:                             ;   in Loop: Header=BB107_9 Depth=1
	v_mul_hi_u32 v7, v13, s6
	s_and_not1_b32 vcc_lo, exec_lo, s4
	s_delay_alu instid0(VALU_DEP_1) | instskip(NEXT) | instid1(VALU_DEP_1)
	v_add_nc_u32_e32 v7, v7, v13
	v_lshrrev_b32_e32 v8, s7, v7
	s_delay_alu instid0(VALU_DEP_1) | instskip(NEXT) | instid1(VALU_DEP_1)
	v_mul_lo_u32 v7, v8, s5
	v_sub_nc_u32_e32 v7, v13, v7
	s_delay_alu instid0(VALU_DEP_1)
	v_mul_lo_u32 v7, v7, s14
	s_cbranch_vccnz .LBB107_33
; %bb.32:                               ;   in Loop: Header=BB107_9 Depth=1
	v_mul_hi_u32 v9, s9, v8
	s_delay_alu instid0(VALU_DEP_1) | instskip(NEXT) | instid1(VALU_DEP_1)
	v_add_nc_u32_e32 v9, v8, v9
	v_lshrrev_b32_e32 v9, s10, v9
	s_delay_alu instid0(VALU_DEP_1) | instskip(NEXT) | instid1(VALU_DEP_1)
	v_mul_lo_u32 v9, v9, s8
	v_sub_nc_u32_e32 v10, v8, v9
	s_delay_alu instid0(VALU_DEP_1) | instskip(NEXT) | instid1(VALU_DEP_1)
	v_mad_u64_u32 v[8:9], null, v10, s15, v[7:8]
	v_mov_b32_e32 v7, v8
.LBB107_33:                             ;   in Loop: Header=BB107_9 Depth=1
	v_and_b32_e32 v0, 1, v0
	global_store_b8 v7, v0, s[18:19]
.LBB107_34:                             ;   in Loop: Header=BB107_9 Depth=1
	s_or_b32 exec_lo, exec_lo, s35
	v_add_co_u32 v7, vcc_lo, v13, s24
	v_add_co_ci_u32_e32 v8, vcc_lo, 0, v14, vcc_lo
	s_mov_b32 s35, exec_lo
	s_delay_alu instid0(VALU_DEP_1)
	v_cmpx_gt_i64_e64 s[16:17], v[7:8]
	s_cbranch_execz .LBB107_49
; %bb.35:                               ;   in Loop: Header=BB107_9 Depth=1
	s_and_not1_b32 vcc_lo, exec_lo, s11
	s_cbranch_vccnz .LBB107_41
; %bb.36:                               ;   in Loop: Header=BB107_9 Depth=1
	v_mov_b32_e32 v0, 0
	s_and_not1_b32 vcc_lo, exec_lo, s27
	s_cbranch_vccnz .LBB107_45
; %bb.37:                               ;   in Loop: Header=BB107_9 Depth=1
	s_and_not1_b32 vcc_lo, exec_lo, s30
	s_mov_b32 s20, 0
	s_cbranch_vccnz .LBB107_42
; %bb.38:                               ;   in Loop: Header=BB107_9 Depth=1
	v_mov_b32_e32 v0, 0
	v_mov_b32_e32 v8, v7
	s_mov_b32 s36, 0
	s_mov_b64 s[20:21], s[12:13]
	s_mov_b64 s[22:23], s[0:1]
.LBB107_39:                             ;   Parent Loop BB107_9 Depth=1
                                        ; =>  This Inner Loop Header: Depth=2
	s_clause 0x1
	s_load_b256 s[40:47], s[20:21], 0x4
	s_load_b128 s[48:51], s[20:21], 0x24
	s_load_b128 s[52:55], s[22:23], 0x0
	s_add_u32 s20, s20, 48
	s_addc_u32 s21, s21, 0
	s_add_i32 s36, s36, 4
	s_add_u32 s22, s22, 16
	s_addc_u32 s23, s23, 0
	s_cmp_eq_u32 s31, s36
	s_waitcnt lgkmcnt(0)
	v_mul_hi_u32 v9, s41, v8
	s_delay_alu instid0(VALU_DEP_1) | instskip(NEXT) | instid1(VALU_DEP_1)
	v_add_nc_u32_e32 v9, v8, v9
	v_lshrrev_b32_e32 v9, s42, v9
	s_delay_alu instid0(VALU_DEP_1) | instskip(SKIP_1) | instid1(VALU_DEP_2)
	v_mul_hi_u32 v10, s44, v9
	v_mul_lo_u32 v41, v9, s40
	v_add_nc_u32_e32 v10, v9, v10
	s_delay_alu instid0(VALU_DEP_2) | instskip(NEXT) | instid1(VALU_DEP_2)
	v_sub_nc_u32_e32 v41, v8, v41
	v_lshrrev_b32_e32 v10, s45, v10
	s_delay_alu instid0(VALU_DEP_2) | instskip(NEXT) | instid1(VALU_DEP_2)
	v_mul_lo_u32 v41, v41, s52
	v_mul_hi_u32 v16, s47, v10
	v_mul_lo_u32 v42, v10, s43
	s_delay_alu instid0(VALU_DEP_2) | instskip(NEXT) | instid1(VALU_DEP_2)
	v_add_nc_u32_e32 v16, v10, v16
	v_sub_nc_u32_e32 v9, v9, v42
	s_delay_alu instid0(VALU_DEP_2) | instskip(NEXT) | instid1(VALU_DEP_2)
	v_lshrrev_b32_e32 v16, s48, v16
	v_mul_lo_u32 v9, v9, s53
	s_delay_alu instid0(VALU_DEP_2) | instskip(NEXT) | instid1(VALU_DEP_2)
	v_mul_hi_u32 v40, s50, v16
	v_add3_u32 v0, v41, v0, v9
	s_delay_alu instid0(VALU_DEP_2) | instskip(NEXT) | instid1(VALU_DEP_1)
	v_add_nc_u32_e32 v40, v16, v40
	v_lshrrev_b32_e32 v8, s51, v40
	v_mul_lo_u32 v40, v16, s46
	s_delay_alu instid0(VALU_DEP_2) | instskip(NEXT) | instid1(VALU_DEP_2)
	v_mul_lo_u32 v43, v8, s49
	v_sub_nc_u32_e32 v10, v10, v40
	s_delay_alu instid0(VALU_DEP_2) | instskip(NEXT) | instid1(VALU_DEP_2)
	v_sub_nc_u32_e32 v16, v16, v43
	v_mul_lo_u32 v10, v10, s54
	s_delay_alu instid0(VALU_DEP_2) | instskip(NEXT) | instid1(VALU_DEP_1)
	v_mul_lo_u32 v16, v16, s55
	v_add3_u32 v0, v10, v0, v16
	s_cbranch_scc0 .LBB107_39
; %bb.40:                               ;   in Loop: Header=BB107_9 Depth=1
	s_mov_b32 s20, s31
	s_and_not1_b32 vcc_lo, exec_lo, s34
	s_cbranch_vccz .LBB107_43
	s_branch .LBB107_45
.LBB107_41:                             ;   in Loop: Header=BB107_9 Depth=1
                                        ; implicit-def: $vgpr0
	s_branch .LBB107_46
.LBB107_42:                             ;   in Loop: Header=BB107_9 Depth=1
	v_mov_b32_e32 v8, v7
	s_and_not1_b32 vcc_lo, exec_lo, s34
	s_cbranch_vccnz .LBB107_45
.LBB107_43:                             ;   in Loop: Header=BB107_9 Depth=1
	s_lshl_b32 s21, s20, 2
	s_mul_i32 s22, s20, 12
	s_add_u32 s20, s0, s21
	s_addc_u32 s21, s1, 0
	s_add_u32 s22, s12, s22
	s_addc_u32 s23, s13, 0
	s_mov_b32 s36, s29
	.p2align	6
.LBB107_44:                             ;   Parent Loop BB107_9 Depth=1
                                        ; =>  This Inner Loop Header: Depth=2
	s_clause 0x1
	s_load_b64 s[38:39], s[22:23], 0x4
	s_load_b32 s37, s[22:23], 0xc
	s_add_u32 s22, s22, 12
	s_addc_u32 s23, s23, 0
	s_waitcnt lgkmcnt(0)
	v_mul_hi_u32 v9, s39, v8
	s_load_b32 s39, s[20:21], 0x0
	s_add_u32 s20, s20, 4
	s_addc_u32 s21, s21, 0
	s_add_i32 s36, s36, -1
	s_delay_alu instid0(SALU_CYCLE_1) | instskip(NEXT) | instid1(VALU_DEP_1)
	s_cmp_lg_u32 s36, 0
	v_add_nc_u32_e32 v9, v8, v9
	s_delay_alu instid0(VALU_DEP_1) | instskip(NEXT) | instid1(VALU_DEP_1)
	v_lshrrev_b32_e32 v16, s37, v9
	v_mul_lo_u32 v9, v16, s38
	s_delay_alu instid0(VALU_DEP_1) | instskip(SKIP_1) | instid1(VALU_DEP_1)
	v_sub_nc_u32_e32 v8, v8, v9
	s_waitcnt lgkmcnt(0)
	v_mad_u64_u32 v[9:10], null, v8, s39, v[0:1]
	v_mov_b32_e32 v8, v16
	s_delay_alu instid0(VALU_DEP_2)
	v_mov_b32_e32 v0, v9
	s_cbranch_scc1 .LBB107_44
.LBB107_45:                             ;   in Loop: Header=BB107_9 Depth=1
	s_cbranch_execnz .LBB107_48
.LBB107_46:                             ;   in Loop: Header=BB107_9 Depth=1
	v_mul_hi_u32 v0, v7, s6
	s_and_not1_b32 vcc_lo, exec_lo, s4
	s_delay_alu instid0(VALU_DEP_1) | instskip(NEXT) | instid1(VALU_DEP_1)
	v_add_nc_u32_e32 v0, v0, v7
	v_lshrrev_b32_e32 v8, s7, v0
	s_delay_alu instid0(VALU_DEP_1) | instskip(NEXT) | instid1(VALU_DEP_1)
	v_mul_lo_u32 v0, v8, s5
	v_sub_nc_u32_e32 v0, v7, v0
	s_delay_alu instid0(VALU_DEP_1)
	v_mul_lo_u32 v0, v0, s14
	s_cbranch_vccnz .LBB107_48
; %bb.47:                               ;   in Loop: Header=BB107_9 Depth=1
	v_mul_hi_u32 v7, s9, v8
	s_delay_alu instid0(VALU_DEP_1) | instskip(NEXT) | instid1(VALU_DEP_1)
	v_add_nc_u32_e32 v7, v8, v7
	v_lshrrev_b32_e32 v7, s10, v7
	s_delay_alu instid0(VALU_DEP_1) | instskip(NEXT) | instid1(VALU_DEP_1)
	v_mul_lo_u32 v7, v7, s8
	v_sub_nc_u32_e32 v9, v8, v7
	s_delay_alu instid0(VALU_DEP_1) | instskip(NEXT) | instid1(VALU_DEP_1)
	v_mad_u64_u32 v[7:8], null, v9, s15, v[0:1]
	v_mov_b32_e32 v0, v7
.LBB107_48:                             ;   in Loop: Header=BB107_9 Depth=1
	v_and_b32_e32 v1, 1, v1
	global_store_b8 v0, v1, s[18:19]
.LBB107_49:                             ;   in Loop: Header=BB107_9 Depth=1
	s_or_b32 exec_lo, exec_lo, s35
	v_add_co_u32 v0, vcc_lo, v13, s28
	v_add_co_ci_u32_e32 v1, vcc_lo, 0, v14, vcc_lo
	s_mov_b32 s35, exec_lo
	s_delay_alu instid0(VALU_DEP_1)
	v_cmpx_gt_i64_e64 s[16:17], v[0:1]
	s_cbranch_execz .LBB107_64
; %bb.50:                               ;   in Loop: Header=BB107_9 Depth=1
	s_and_not1_b32 vcc_lo, exec_lo, s11
	s_cbranch_vccnz .LBB107_56
; %bb.51:                               ;   in Loop: Header=BB107_9 Depth=1
	v_mov_b32_e32 v1, 0
	s_and_not1_b32 vcc_lo, exec_lo, s27
	s_cbranch_vccnz .LBB107_60
; %bb.52:                               ;   in Loop: Header=BB107_9 Depth=1
	s_and_not1_b32 vcc_lo, exec_lo, s30
	s_mov_b32 s20, 0
	s_cbranch_vccnz .LBB107_57
; %bb.53:                               ;   in Loop: Header=BB107_9 Depth=1
	v_mov_b32_e32 v1, 0
	v_mov_b32_e32 v7, v0
	s_mov_b32 s36, 0
	s_mov_b64 s[20:21], s[12:13]
	s_mov_b64 s[22:23], s[0:1]
.LBB107_54:                             ;   Parent Loop BB107_9 Depth=1
                                        ; =>  This Inner Loop Header: Depth=2
	s_clause 0x1
	s_load_b256 s[40:47], s[20:21], 0x4
	s_load_b128 s[48:51], s[20:21], 0x24
	s_load_b128 s[52:55], s[22:23], 0x0
	s_add_u32 s20, s20, 48
	s_addc_u32 s21, s21, 0
	s_add_i32 s36, s36, 4
	s_add_u32 s22, s22, 16
	s_addc_u32 s23, s23, 0
	s_cmp_eq_u32 s31, s36
	s_waitcnt lgkmcnt(0)
	v_mul_hi_u32 v8, s41, v7
	s_delay_alu instid0(VALU_DEP_1) | instskip(NEXT) | instid1(VALU_DEP_1)
	v_add_nc_u32_e32 v8, v7, v8
	v_lshrrev_b32_e32 v8, s42, v8
	s_delay_alu instid0(VALU_DEP_1) | instskip(SKIP_1) | instid1(VALU_DEP_2)
	v_mul_hi_u32 v9, s44, v8
	v_mul_lo_u32 v40, v8, s40
	v_add_nc_u32_e32 v9, v8, v9
	s_delay_alu instid0(VALU_DEP_2) | instskip(NEXT) | instid1(VALU_DEP_2)
	v_sub_nc_u32_e32 v40, v7, v40
	v_lshrrev_b32_e32 v9, s45, v9
	s_delay_alu instid0(VALU_DEP_2) | instskip(NEXT) | instid1(VALU_DEP_2)
	v_mul_lo_u32 v40, v40, s52
	v_mul_hi_u32 v10, s47, v9
	v_mul_lo_u32 v41, v9, s43
	s_delay_alu instid0(VALU_DEP_2) | instskip(NEXT) | instid1(VALU_DEP_2)
	v_add_nc_u32_e32 v10, v9, v10
	v_sub_nc_u32_e32 v8, v8, v41
	s_delay_alu instid0(VALU_DEP_2) | instskip(NEXT) | instid1(VALU_DEP_2)
	v_lshrrev_b32_e32 v10, s48, v10
	v_mul_lo_u32 v8, v8, s53
	s_delay_alu instid0(VALU_DEP_2) | instskip(NEXT) | instid1(VALU_DEP_2)
	v_mul_hi_u32 v16, s50, v10
	v_add3_u32 v1, v40, v1, v8
	s_delay_alu instid0(VALU_DEP_2) | instskip(NEXT) | instid1(VALU_DEP_1)
	v_add_nc_u32_e32 v16, v10, v16
	v_lshrrev_b32_e32 v7, s51, v16
	v_mul_lo_u32 v16, v10, s46
	s_delay_alu instid0(VALU_DEP_2) | instskip(NEXT) | instid1(VALU_DEP_2)
	v_mul_lo_u32 v42, v7, s49
	v_sub_nc_u32_e32 v9, v9, v16
	s_delay_alu instid0(VALU_DEP_2) | instskip(NEXT) | instid1(VALU_DEP_2)
	v_sub_nc_u32_e32 v10, v10, v42
	v_mul_lo_u32 v9, v9, s54
	s_delay_alu instid0(VALU_DEP_2) | instskip(NEXT) | instid1(VALU_DEP_1)
	v_mul_lo_u32 v10, v10, s55
	v_add3_u32 v1, v9, v1, v10
	s_cbranch_scc0 .LBB107_54
; %bb.55:                               ;   in Loop: Header=BB107_9 Depth=1
	s_mov_b32 s20, s31
	s_and_not1_b32 vcc_lo, exec_lo, s34
	s_cbranch_vccz .LBB107_58
	s_branch .LBB107_60
.LBB107_56:                             ;   in Loop: Header=BB107_9 Depth=1
                                        ; implicit-def: $vgpr1
	s_branch .LBB107_61
.LBB107_57:                             ;   in Loop: Header=BB107_9 Depth=1
	v_mov_b32_e32 v7, v0
	s_and_not1_b32 vcc_lo, exec_lo, s34
	s_cbranch_vccnz .LBB107_60
.LBB107_58:                             ;   in Loop: Header=BB107_9 Depth=1
	s_lshl_b32 s21, s20, 2
	s_mul_i32 s22, s20, 12
	s_add_u32 s20, s0, s21
	s_addc_u32 s21, s1, 0
	s_add_u32 s22, s12, s22
	s_addc_u32 s23, s13, 0
	s_mov_b32 s36, s29
	.p2align	6
.LBB107_59:                             ;   Parent Loop BB107_9 Depth=1
                                        ; =>  This Inner Loop Header: Depth=2
	s_clause 0x1
	s_load_b64 s[38:39], s[22:23], 0x4
	s_load_b32 s37, s[22:23], 0xc
	s_add_u32 s22, s22, 12
	s_addc_u32 s23, s23, 0
	s_waitcnt lgkmcnt(0)
	v_mul_hi_u32 v8, s39, v7
	s_load_b32 s39, s[20:21], 0x0
	s_add_u32 s20, s20, 4
	s_addc_u32 s21, s21, 0
	s_add_i32 s36, s36, -1
	s_delay_alu instid0(SALU_CYCLE_1) | instskip(NEXT) | instid1(VALU_DEP_1)
	s_cmp_lg_u32 s36, 0
	v_add_nc_u32_e32 v8, v7, v8
	s_delay_alu instid0(VALU_DEP_1) | instskip(NEXT) | instid1(VALU_DEP_1)
	v_lshrrev_b32_e32 v10, s37, v8
	v_mul_lo_u32 v8, v10, s38
	s_delay_alu instid0(VALU_DEP_1) | instskip(SKIP_1) | instid1(VALU_DEP_1)
	v_sub_nc_u32_e32 v7, v7, v8
	s_waitcnt lgkmcnt(0)
	v_mad_u64_u32 v[8:9], null, v7, s39, v[1:2]
	v_mov_b32_e32 v7, v10
	s_delay_alu instid0(VALU_DEP_2)
	v_mov_b32_e32 v1, v8
	s_cbranch_scc1 .LBB107_59
.LBB107_60:                             ;   in Loop: Header=BB107_9 Depth=1
	s_cbranch_execnz .LBB107_63
.LBB107_61:                             ;   in Loop: Header=BB107_9 Depth=1
	v_mul_hi_u32 v1, v0, s6
	s_and_not1_b32 vcc_lo, exec_lo, s4
	s_delay_alu instid0(VALU_DEP_1) | instskip(NEXT) | instid1(VALU_DEP_1)
	v_add_nc_u32_e32 v1, v1, v0
	v_lshrrev_b32_e32 v7, s7, v1
	s_delay_alu instid0(VALU_DEP_1) | instskip(NEXT) | instid1(VALU_DEP_1)
	v_mul_lo_u32 v1, v7, s5
	v_sub_nc_u32_e32 v0, v0, v1
	s_delay_alu instid0(VALU_DEP_1)
	v_mul_lo_u32 v1, v0, s14
	s_cbranch_vccnz .LBB107_63
; %bb.62:                               ;   in Loop: Header=BB107_9 Depth=1
	v_mul_hi_u32 v0, s9, v7
	s_delay_alu instid0(VALU_DEP_1) | instskip(NEXT) | instid1(VALU_DEP_1)
	v_add_nc_u32_e32 v0, v7, v0
	v_lshrrev_b32_e32 v0, s10, v0
	s_delay_alu instid0(VALU_DEP_1) | instskip(NEXT) | instid1(VALU_DEP_1)
	v_mul_lo_u32 v0, v0, s8
	v_sub_nc_u32_e32 v0, v7, v0
	s_delay_alu instid0(VALU_DEP_1) | instskip(NEXT) | instid1(VALU_DEP_1)
	v_mad_u64_u32 v[7:8], null, v0, s15, v[1:2]
	v_mov_b32_e32 v1, v7
.LBB107_63:                             ;   in Loop: Header=BB107_9 Depth=1
	v_and_b32_e32 v0, 1, v2
	global_store_b8 v1, v0, s[18:19]
.LBB107_64:                             ;   in Loop: Header=BB107_9 Depth=1
	s_or_b32 exec_lo, exec_lo, s35
	v_add_co_u32 v0, vcc_lo, v13, s33
	v_add_co_ci_u32_e32 v1, vcc_lo, 0, v14, vcc_lo
	s_mov_b32 s35, exec_lo
	s_delay_alu instid0(VALU_DEP_1)
	v_cmpx_gt_i64_e64 s[16:17], v[0:1]
	s_cbranch_execz .LBB107_8
; %bb.65:                               ;   in Loop: Header=BB107_9 Depth=1
	s_and_not1_b32 vcc_lo, exec_lo, s11
	s_cbranch_vccnz .LBB107_71
; %bb.66:                               ;   in Loop: Header=BB107_9 Depth=1
	v_mov_b32_e32 v1, 0
	s_and_not1_b32 vcc_lo, exec_lo, s27
	s_cbranch_vccnz .LBB107_75
; %bb.67:                               ;   in Loop: Header=BB107_9 Depth=1
	s_and_not1_b32 vcc_lo, exec_lo, s30
	s_mov_b32 s20, 0
	s_cbranch_vccnz .LBB107_72
; %bb.68:                               ;   in Loop: Header=BB107_9 Depth=1
	v_dual_mov_b32 v1, 0 :: v_dual_mov_b32 v2, v0
	s_mov_b32 s36, 0
	s_mov_b64 s[20:21], s[12:13]
	s_mov_b64 s[22:23], s[0:1]
.LBB107_69:                             ;   Parent Loop BB107_9 Depth=1
                                        ; =>  This Inner Loop Header: Depth=2
	s_clause 0x1
	s_load_b256 s[40:47], s[20:21], 0x4
	s_load_b128 s[48:51], s[20:21], 0x24
	s_load_b128 s[52:55], s[22:23], 0x0
	s_add_u32 s20, s20, 48
	s_addc_u32 s21, s21, 0
	s_add_i32 s36, s36, 4
	s_add_u32 s22, s22, 16
	s_addc_u32 s23, s23, 0
	s_cmp_eq_u32 s31, s36
	s_waitcnt lgkmcnt(0)
	v_mul_hi_u32 v7, s41, v2
	s_delay_alu instid0(VALU_DEP_1) | instskip(NEXT) | instid1(VALU_DEP_1)
	v_add_nc_u32_e32 v7, v2, v7
	v_lshrrev_b32_e32 v7, s42, v7
	s_delay_alu instid0(VALU_DEP_1) | instskip(SKIP_1) | instid1(VALU_DEP_2)
	v_mul_hi_u32 v8, s44, v7
	v_mul_lo_u32 v16, v7, s40
	v_add_nc_u32_e32 v8, v7, v8
	s_delay_alu instid0(VALU_DEP_2) | instskip(NEXT) | instid1(VALU_DEP_2)
	v_sub_nc_u32_e32 v16, v2, v16
	v_lshrrev_b32_e32 v8, s45, v8
	s_delay_alu instid0(VALU_DEP_2) | instskip(NEXT) | instid1(VALU_DEP_2)
	v_mul_lo_u32 v16, v16, s52
	v_mul_hi_u32 v9, s47, v8
	v_mul_lo_u32 v40, v8, s43
	s_delay_alu instid0(VALU_DEP_2) | instskip(NEXT) | instid1(VALU_DEP_2)
	v_add_nc_u32_e32 v9, v8, v9
	v_sub_nc_u32_e32 v7, v7, v40
	s_delay_alu instid0(VALU_DEP_2) | instskip(NEXT) | instid1(VALU_DEP_2)
	v_lshrrev_b32_e32 v9, s48, v9
	v_mul_lo_u32 v7, v7, s53
	s_delay_alu instid0(VALU_DEP_2) | instskip(NEXT) | instid1(VALU_DEP_2)
	v_mul_hi_u32 v10, s50, v9
	v_add3_u32 v1, v16, v1, v7
	s_delay_alu instid0(VALU_DEP_2) | instskip(NEXT) | instid1(VALU_DEP_1)
	v_add_nc_u32_e32 v10, v9, v10
	v_lshrrev_b32_e32 v2, s51, v10
	v_mul_lo_u32 v10, v9, s46
	s_delay_alu instid0(VALU_DEP_2) | instskip(NEXT) | instid1(VALU_DEP_2)
	v_mul_lo_u32 v41, v2, s49
	v_sub_nc_u32_e32 v8, v8, v10
	s_delay_alu instid0(VALU_DEP_2) | instskip(NEXT) | instid1(VALU_DEP_2)
	v_sub_nc_u32_e32 v9, v9, v41
	v_mul_lo_u32 v8, v8, s54
	s_delay_alu instid0(VALU_DEP_2) | instskip(NEXT) | instid1(VALU_DEP_1)
	v_mul_lo_u32 v9, v9, s55
	v_add3_u32 v1, v8, v1, v9
	s_cbranch_scc0 .LBB107_69
; %bb.70:                               ;   in Loop: Header=BB107_9 Depth=1
	s_mov_b32 s20, s31
	s_and_not1_b32 vcc_lo, exec_lo, s34
	s_cbranch_vccz .LBB107_73
	s_branch .LBB107_75
.LBB107_71:                             ;   in Loop: Header=BB107_9 Depth=1
                                        ; implicit-def: $vgpr1
	s_branch .LBB107_76
.LBB107_72:                             ;   in Loop: Header=BB107_9 Depth=1
	v_mov_b32_e32 v2, v0
	s_and_not1_b32 vcc_lo, exec_lo, s34
	s_cbranch_vccnz .LBB107_75
.LBB107_73:                             ;   in Loop: Header=BB107_9 Depth=1
	s_lshl_b32 s21, s20, 2
	s_mul_i32 s22, s20, 12
	s_add_u32 s20, s0, s21
	s_addc_u32 s21, s1, 0
	s_add_u32 s22, s12, s22
	s_addc_u32 s23, s13, 0
	s_mov_b32 s36, s29
	.p2align	6
.LBB107_74:                             ;   Parent Loop BB107_9 Depth=1
                                        ; =>  This Inner Loop Header: Depth=2
	s_clause 0x1
	s_load_b64 s[38:39], s[22:23], 0x4
	s_load_b32 s37, s[22:23], 0xc
	s_add_u32 s22, s22, 12
	s_addc_u32 s23, s23, 0
	s_waitcnt lgkmcnt(0)
	v_mul_hi_u32 v7, s39, v2
	s_load_b32 s39, s[20:21], 0x0
	s_add_u32 s20, s20, 4
	s_addc_u32 s21, s21, 0
	s_add_i32 s36, s36, -1
	s_delay_alu instid0(SALU_CYCLE_1) | instskip(NEXT) | instid1(VALU_DEP_1)
	s_cmp_lg_u32 s36, 0
	v_add_nc_u32_e32 v7, v2, v7
	s_delay_alu instid0(VALU_DEP_1) | instskip(NEXT) | instid1(VALU_DEP_1)
	v_lshrrev_b32_e32 v9, s37, v7
	v_mul_lo_u32 v7, v9, s38
	s_delay_alu instid0(VALU_DEP_1) | instskip(SKIP_1) | instid1(VALU_DEP_1)
	v_sub_nc_u32_e32 v2, v2, v7
	s_waitcnt lgkmcnt(0)
	v_mad_u64_u32 v[7:8], null, v2, s39, v[1:2]
	s_delay_alu instid0(VALU_DEP_1)
	v_dual_mov_b32 v2, v9 :: v_dual_mov_b32 v1, v7
	s_cbranch_scc1 .LBB107_74
.LBB107_75:                             ;   in Loop: Header=BB107_9 Depth=1
	s_cbranch_execnz .LBB107_7
.LBB107_76:                             ;   in Loop: Header=BB107_9 Depth=1
	v_mul_hi_u32 v1, v0, s6
	s_and_not1_b32 vcc_lo, exec_lo, s4
	s_delay_alu instid0(VALU_DEP_1) | instskip(NEXT) | instid1(VALU_DEP_1)
	v_add_nc_u32_e32 v1, v1, v0
	v_lshrrev_b32_e32 v2, s7, v1
	s_delay_alu instid0(VALU_DEP_1) | instskip(NEXT) | instid1(VALU_DEP_1)
	v_mul_lo_u32 v1, v2, s5
	v_sub_nc_u32_e32 v0, v0, v1
	s_delay_alu instid0(VALU_DEP_1)
	v_mul_lo_u32 v1, v0, s14
	s_cbranch_vccnz .LBB107_7
; %bb.77:                               ;   in Loop: Header=BB107_9 Depth=1
	v_mul_hi_u32 v0, s9, v2
	s_delay_alu instid0(VALU_DEP_1) | instskip(NEXT) | instid1(VALU_DEP_1)
	v_add_nc_u32_e32 v0, v2, v0
	v_lshrrev_b32_e32 v0, s10, v0
	s_delay_alu instid0(VALU_DEP_1) | instskip(NEXT) | instid1(VALU_DEP_1)
	v_mul_lo_u32 v0, v0, s8
	v_sub_nc_u32_e32 v0, v2, v0
	s_delay_alu instid0(VALU_DEP_1) | instskip(NEXT) | instid1(VALU_DEP_1)
	v_mad_u64_u32 v[7:8], null, v0, s15, v[1:2]
	v_mov_b32_e32 v1, v7
	s_branch .LBB107_7
.LBB107_78:
	s_endpgm
.LBB107_79:
                                        ; implicit-def: $sgpr2_sgpr3
	s_branch .LBB107_4
	.section	.rodata,"a",@progbits
	.p2align	6, 0x0
	.amdhsa_kernel _ZN2at6native12_GLOBAL__N_143distribution_elementwise_grid_stride_kernelIjLi4EZZZNS0_9templates4cuda13random_kernelIPNS_17CUDAGeneratorImplEEEvRNS_18TensorIteratorBaseET_ENKUlvE_clEvENKUlvE8_clEvEUlP25hiprandStatePhilox4_32_10E0_ZNS1_27distribution_nullary_kernelIbj15HIP_vector_typeIjLj4EES7_SF_ZZZNS5_IS7_EEvS9_SA_ENKSB_clEvENKSC_clEvEUljE_EEvS9_T2_RKT3_T4_EUlijE0_EEvlNS_15PhiloxCudaStateET1_SK_
		.amdhsa_group_segment_fixed_size 0
		.amdhsa_private_segment_fixed_size 0
		.amdhsa_kernarg_size 584
		.amdhsa_user_sgpr_count 15
		.amdhsa_user_sgpr_dispatch_ptr 0
		.amdhsa_user_sgpr_queue_ptr 0
		.amdhsa_user_sgpr_kernarg_segment_ptr 1
		.amdhsa_user_sgpr_dispatch_id 0
		.amdhsa_user_sgpr_private_segment_size 0
		.amdhsa_wavefront_size32 1
		.amdhsa_uses_dynamic_stack 0
		.amdhsa_enable_private_segment 0
		.amdhsa_system_sgpr_workgroup_id_x 1
		.amdhsa_system_sgpr_workgroup_id_y 0
		.amdhsa_system_sgpr_workgroup_id_z 0
		.amdhsa_system_sgpr_workgroup_info 0
		.amdhsa_system_vgpr_workitem_id 0
		.amdhsa_next_free_vgpr 44
		.amdhsa_next_free_sgpr 56
		.amdhsa_reserve_vcc 1
		.amdhsa_float_round_mode_32 0
		.amdhsa_float_round_mode_16_64 0
		.amdhsa_float_denorm_mode_32 3
		.amdhsa_float_denorm_mode_16_64 3
		.amdhsa_dx10_clamp 1
		.amdhsa_ieee_mode 1
		.amdhsa_fp16_overflow 0
		.amdhsa_workgroup_processor_mode 1
		.amdhsa_memory_ordered 1
		.amdhsa_forward_progress 0
		.amdhsa_shared_vgpr_count 0
		.amdhsa_exception_fp_ieee_invalid_op 0
		.amdhsa_exception_fp_denorm_src 0
		.amdhsa_exception_fp_ieee_div_zero 0
		.amdhsa_exception_fp_ieee_overflow 0
		.amdhsa_exception_fp_ieee_underflow 0
		.amdhsa_exception_fp_ieee_inexact 0
		.amdhsa_exception_int_div_zero 0
	.end_amdhsa_kernel
	.section	.text._ZN2at6native12_GLOBAL__N_143distribution_elementwise_grid_stride_kernelIjLi4EZZZNS0_9templates4cuda13random_kernelIPNS_17CUDAGeneratorImplEEEvRNS_18TensorIteratorBaseET_ENKUlvE_clEvENKUlvE8_clEvEUlP25hiprandStatePhilox4_32_10E0_ZNS1_27distribution_nullary_kernelIbj15HIP_vector_typeIjLj4EES7_SF_ZZZNS5_IS7_EEvS9_SA_ENKSB_clEvENKSC_clEvEUljE_EEvS9_T2_RKT3_T4_EUlijE0_EEvlNS_15PhiloxCudaStateET1_SK_,"axG",@progbits,_ZN2at6native12_GLOBAL__N_143distribution_elementwise_grid_stride_kernelIjLi4EZZZNS0_9templates4cuda13random_kernelIPNS_17CUDAGeneratorImplEEEvRNS_18TensorIteratorBaseET_ENKUlvE_clEvENKUlvE8_clEvEUlP25hiprandStatePhilox4_32_10E0_ZNS1_27distribution_nullary_kernelIbj15HIP_vector_typeIjLj4EES7_SF_ZZZNS5_IS7_EEvS9_SA_ENKSB_clEvENKSC_clEvEUljE_EEvS9_T2_RKT3_T4_EUlijE0_EEvlNS_15PhiloxCudaStateET1_SK_,comdat
.Lfunc_end107:
	.size	_ZN2at6native12_GLOBAL__N_143distribution_elementwise_grid_stride_kernelIjLi4EZZZNS0_9templates4cuda13random_kernelIPNS_17CUDAGeneratorImplEEEvRNS_18TensorIteratorBaseET_ENKUlvE_clEvENKUlvE8_clEvEUlP25hiprandStatePhilox4_32_10E0_ZNS1_27distribution_nullary_kernelIbj15HIP_vector_typeIjLj4EES7_SF_ZZZNS5_IS7_EEvS9_SA_ENKSB_clEvENKSC_clEvEUljE_EEvS9_T2_RKT3_T4_EUlijE0_EEvlNS_15PhiloxCudaStateET1_SK_, .Lfunc_end107-_ZN2at6native12_GLOBAL__N_143distribution_elementwise_grid_stride_kernelIjLi4EZZZNS0_9templates4cuda13random_kernelIPNS_17CUDAGeneratorImplEEEvRNS_18TensorIteratorBaseET_ENKUlvE_clEvENKUlvE8_clEvEUlP25hiprandStatePhilox4_32_10E0_ZNS1_27distribution_nullary_kernelIbj15HIP_vector_typeIjLj4EES7_SF_ZZZNS5_IS7_EEvS9_SA_ENKSB_clEvENKSC_clEvEUljE_EEvS9_T2_RKT3_T4_EUlijE0_EEvlNS_15PhiloxCudaStateET1_SK_
                                        ; -- End function
	.section	.AMDGPU.csdata,"",@progbits
; Kernel info:
; codeLenInByte = 5152
; NumSgprs: 58
; NumVgprs: 44
; ScratchSize: 0
; MemoryBound: 0
; FloatMode: 240
; IeeeMode: 1
; LDSByteSize: 0 bytes/workgroup (compile time only)
; SGPRBlocks: 7
; VGPRBlocks: 5
; NumSGPRsForWavesPerEU: 58
; NumVGPRsForWavesPerEU: 44
; Occupancy: 16
; WaveLimiterHint : 1
; COMPUTE_PGM_RSRC2:SCRATCH_EN: 0
; COMPUTE_PGM_RSRC2:USER_SGPR: 15
; COMPUTE_PGM_RSRC2:TRAP_HANDLER: 0
; COMPUTE_PGM_RSRC2:TGID_X_EN: 1
; COMPUTE_PGM_RSRC2:TGID_Y_EN: 0
; COMPUTE_PGM_RSRC2:TGID_Z_EN: 0
; COMPUTE_PGM_RSRC2:TIDIG_COMP_CNT: 0
	.text
	.p2alignl 7, 3214868480
	.fill 96, 4, 3214868480
	.type	__hip_cuid_8eda8e5465dd673a,@object ; @__hip_cuid_8eda8e5465dd673a
	.section	.bss,"aw",@nobits
	.globl	__hip_cuid_8eda8e5465dd673a
__hip_cuid_8eda8e5465dd673a:
	.byte	0                               ; 0x0
	.size	__hip_cuid_8eda8e5465dd673a, 1

	.ident	"AMD clang version 19.0.0git (https://github.com/RadeonOpenCompute/llvm-project roc-6.4.0 25133 c7fe45cf4b819c5991fe208aaa96edf142730f1d)"
	.section	".note.GNU-stack","",@progbits
	.addrsig
	.addrsig_sym __hip_cuid_8eda8e5465dd673a
	.amdgpu_metadata
---
amdhsa.kernels:
  - .args:
      - .offset:         0
        .size:           8
        .value_kind:     by_value
      - .offset:         8
        .size:           32
        .value_kind:     by_value
      - .offset:         40
        .size:           1
        .value_kind:     by_value
      - .offset:         48
        .size:           32
        .value_kind:     by_value
      - .offset:         80
        .size:           4
        .value_kind:     hidden_block_count_x
      - .offset:         84
        .size:           4
        .value_kind:     hidden_block_count_y
      - .offset:         88
        .size:           4
        .value_kind:     hidden_block_count_z
      - .offset:         92
        .size:           2
        .value_kind:     hidden_group_size_x
      - .offset:         94
        .size:           2
        .value_kind:     hidden_group_size_y
      - .offset:         96
        .size:           2
        .value_kind:     hidden_group_size_z
      - .offset:         98
        .size:           2
        .value_kind:     hidden_remainder_x
      - .offset:         100
        .size:           2
        .value_kind:     hidden_remainder_y
      - .offset:         102
        .size:           2
        .value_kind:     hidden_remainder_z
      - .offset:         120
        .size:           8
        .value_kind:     hidden_global_offset_x
      - .offset:         128
        .size:           8
        .value_kind:     hidden_global_offset_y
      - .offset:         136
        .size:           8
        .value_kind:     hidden_global_offset_z
      - .offset:         144
        .size:           2
        .value_kind:     hidden_grid_dims
    .group_segment_fixed_size: 0
    .kernarg_segment_align: 8
    .kernarg_segment_size: 336
    .language:       OpenCL C
    .language_version:
      - 2
      - 0
    .max_flat_workgroup_size: 256
    .name:           _ZN2at6native12_GLOBAL__N_143distribution_elementwise_grid_stride_kernelImLi2EZZZNS0_9templates4cuda21random_from_to_kernelIPNS_17CUDAGeneratorImplEEEvRNS_18TensorIteratorBaseEmlT_ENKUlvE_clEvENKUlvE_clEvEUlP25hiprandStatePhilox4_32_10E_ZNS1_27distribution_nullary_kernelIhm15HIP_vector_typeIyLj2EES7_SF_ZZZNS5_IS7_EEvS9_mlSA_ENKSB_clEvENKSC_clEvEUlmE_EEvS9_T2_RKT3_T4_EUlimE_EEvlNS_15PhiloxCudaStateET1_SK_
    .private_segment_fixed_size: 0
    .sgpr_count:     25
    .sgpr_spill_count: 0
    .symbol:         _ZN2at6native12_GLOBAL__N_143distribution_elementwise_grid_stride_kernelImLi2EZZZNS0_9templates4cuda21random_from_to_kernelIPNS_17CUDAGeneratorImplEEEvRNS_18TensorIteratorBaseEmlT_ENKUlvE_clEvENKUlvE_clEvEUlP25hiprandStatePhilox4_32_10E_ZNS1_27distribution_nullary_kernelIhm15HIP_vector_typeIyLj2EES7_SF_ZZZNS5_IS7_EEvS9_mlSA_ENKSB_clEvENKSC_clEvEUlmE_EEvS9_T2_RKT3_T4_EUlimE_EEvlNS_15PhiloxCudaStateET1_SK_.kd
    .uniform_work_group_size: 1
    .uses_dynamic_stack: false
    .vgpr_count:     47
    .vgpr_spill_count: 0
    .wavefront_size: 32
    .workgroup_processor_mode: 1
  - .args:
      - .offset:         0
        .size:           8
        .value_kind:     by_value
      - .offset:         8
        .size:           32
        .value_kind:     by_value
      - .offset:         40
        .size:           1
        .value_kind:     by_value
      - .offset:         48
        .size:           288
        .value_kind:     by_value
      - .offset:         336
        .size:           4
        .value_kind:     hidden_block_count_x
      - .offset:         340
        .size:           4
        .value_kind:     hidden_block_count_y
      - .offset:         344
        .size:           4
        .value_kind:     hidden_block_count_z
      - .offset:         348
        .size:           2
        .value_kind:     hidden_group_size_x
      - .offset:         350
        .size:           2
        .value_kind:     hidden_group_size_y
      - .offset:         352
        .size:           2
        .value_kind:     hidden_group_size_z
      - .offset:         354
        .size:           2
        .value_kind:     hidden_remainder_x
      - .offset:         356
        .size:           2
        .value_kind:     hidden_remainder_y
      - .offset:         358
        .size:           2
        .value_kind:     hidden_remainder_z
      - .offset:         376
        .size:           8
        .value_kind:     hidden_global_offset_x
      - .offset:         384
        .size:           8
        .value_kind:     hidden_global_offset_y
      - .offset:         392
        .size:           8
        .value_kind:     hidden_global_offset_z
      - .offset:         400
        .size:           2
        .value_kind:     hidden_grid_dims
    .group_segment_fixed_size: 0
    .kernarg_segment_align: 8
    .kernarg_segment_size: 592
    .language:       OpenCL C
    .language_version:
      - 2
      - 0
    .max_flat_workgroup_size: 256
    .name:           _ZN2at6native12_GLOBAL__N_143distribution_elementwise_grid_stride_kernelImLi2EZZZNS0_9templates4cuda21random_from_to_kernelIPNS_17CUDAGeneratorImplEEEvRNS_18TensorIteratorBaseEmlT_ENKUlvE_clEvENKUlvE_clEvEUlP25hiprandStatePhilox4_32_10E_ZNS1_27distribution_nullary_kernelIhm15HIP_vector_typeIyLj2EES7_SF_ZZZNS5_IS7_EEvS9_mlSA_ENKSB_clEvENKSC_clEvEUlmE_EEvS9_T2_RKT3_T4_EUlimE0_EEvlNS_15PhiloxCudaStateET1_SK_
    .private_segment_fixed_size: 0
    .sgpr_count:     58
    .sgpr_spill_count: 0
    .symbol:         _ZN2at6native12_GLOBAL__N_143distribution_elementwise_grid_stride_kernelImLi2EZZZNS0_9templates4cuda21random_from_to_kernelIPNS_17CUDAGeneratorImplEEEvRNS_18TensorIteratorBaseEmlT_ENKUlvE_clEvENKUlvE_clEvEUlP25hiprandStatePhilox4_32_10E_ZNS1_27distribution_nullary_kernelIhm15HIP_vector_typeIyLj2EES7_SF_ZZZNS5_IS7_EEvS9_mlSA_ENKSB_clEvENKSC_clEvEUlmE_EEvS9_T2_RKT3_T4_EUlimE0_EEvlNS_15PhiloxCudaStateET1_SK_.kd
    .uniform_work_group_size: 1
    .uses_dynamic_stack: false
    .vgpr_count:     46
    .vgpr_spill_count: 0
    .wavefront_size: 32
    .workgroup_processor_mode: 1
  - .args:
      - .offset:         0
        .size:           8
        .value_kind:     by_value
      - .offset:         8
        .size:           32
        .value_kind:     by_value
      - .offset:         40
        .size:           1
        .value_kind:     by_value
      - .offset:         48
        .size:           32
        .value_kind:     by_value
      - .offset:         80
        .size:           4
        .value_kind:     hidden_block_count_x
      - .offset:         84
        .size:           4
        .value_kind:     hidden_block_count_y
      - .offset:         88
        .size:           4
        .value_kind:     hidden_block_count_z
      - .offset:         92
        .size:           2
        .value_kind:     hidden_group_size_x
      - .offset:         94
        .size:           2
        .value_kind:     hidden_group_size_y
      - .offset:         96
        .size:           2
        .value_kind:     hidden_group_size_z
      - .offset:         98
        .size:           2
        .value_kind:     hidden_remainder_x
      - .offset:         100
        .size:           2
        .value_kind:     hidden_remainder_y
      - .offset:         102
        .size:           2
        .value_kind:     hidden_remainder_z
      - .offset:         120
        .size:           8
        .value_kind:     hidden_global_offset_x
      - .offset:         128
        .size:           8
        .value_kind:     hidden_global_offset_y
      - .offset:         136
        .size:           8
        .value_kind:     hidden_global_offset_z
      - .offset:         144
        .size:           2
        .value_kind:     hidden_grid_dims
    .group_segment_fixed_size: 0
    .kernarg_segment_align: 8
    .kernarg_segment_size: 336
    .language:       OpenCL C
    .language_version:
      - 2
      - 0
    .max_flat_workgroup_size: 256
    .name:           _ZN2at6native12_GLOBAL__N_143distribution_elementwise_grid_stride_kernelIjLi4EZZZNS0_9templates4cuda21random_from_to_kernelIPNS_17CUDAGeneratorImplEEEvRNS_18TensorIteratorBaseEmlT_ENKUlvE_clEvENKUlvE_clEvEUlP25hiprandStatePhilox4_32_10E0_ZNS1_27distribution_nullary_kernelIhj15HIP_vector_typeIjLj4EES7_SF_ZZZNS5_IS7_EEvS9_mlSA_ENKSB_clEvENKSC_clEvEUljE_EEvS9_T2_RKT3_T4_EUlijE_EEvlNS_15PhiloxCudaStateET1_SK_
    .private_segment_fixed_size: 0
    .sgpr_count:     25
    .sgpr_spill_count: 0
    .symbol:         _ZN2at6native12_GLOBAL__N_143distribution_elementwise_grid_stride_kernelIjLi4EZZZNS0_9templates4cuda21random_from_to_kernelIPNS_17CUDAGeneratorImplEEEvRNS_18TensorIteratorBaseEmlT_ENKUlvE_clEvENKUlvE_clEvEUlP25hiprandStatePhilox4_32_10E0_ZNS1_27distribution_nullary_kernelIhj15HIP_vector_typeIjLj4EES7_SF_ZZZNS5_IS7_EEvS9_mlSA_ENKSB_clEvENKSC_clEvEUljE_EEvS9_T2_RKT3_T4_EUlijE_EEvlNS_15PhiloxCudaStateET1_SK_.kd
    .uniform_work_group_size: 1
    .uses_dynamic_stack: false
    .vgpr_count:     46
    .vgpr_spill_count: 0
    .wavefront_size: 32
    .workgroup_processor_mode: 1
  - .args:
      - .offset:         0
        .size:           8
        .value_kind:     by_value
      - .offset:         8
        .size:           32
        .value_kind:     by_value
      - .offset:         40
        .size:           1
        .value_kind:     by_value
      - .offset:         48
        .size:           288
        .value_kind:     by_value
      - .offset:         336
        .size:           4
        .value_kind:     hidden_block_count_x
      - .offset:         340
        .size:           4
        .value_kind:     hidden_block_count_y
      - .offset:         344
        .size:           4
        .value_kind:     hidden_block_count_z
      - .offset:         348
        .size:           2
        .value_kind:     hidden_group_size_x
      - .offset:         350
        .size:           2
        .value_kind:     hidden_group_size_y
      - .offset:         352
        .size:           2
        .value_kind:     hidden_group_size_z
      - .offset:         354
        .size:           2
        .value_kind:     hidden_remainder_x
      - .offset:         356
        .size:           2
        .value_kind:     hidden_remainder_y
      - .offset:         358
        .size:           2
        .value_kind:     hidden_remainder_z
      - .offset:         376
        .size:           8
        .value_kind:     hidden_global_offset_x
      - .offset:         384
        .size:           8
        .value_kind:     hidden_global_offset_y
      - .offset:         392
        .size:           8
        .value_kind:     hidden_global_offset_z
      - .offset:         400
        .size:           2
        .value_kind:     hidden_grid_dims
    .group_segment_fixed_size: 0
    .kernarg_segment_align: 8
    .kernarg_segment_size: 592
    .language:       OpenCL C
    .language_version:
      - 2
      - 0
    .max_flat_workgroup_size: 256
    .name:           _ZN2at6native12_GLOBAL__N_143distribution_elementwise_grid_stride_kernelIjLi4EZZZNS0_9templates4cuda21random_from_to_kernelIPNS_17CUDAGeneratorImplEEEvRNS_18TensorIteratorBaseEmlT_ENKUlvE_clEvENKUlvE_clEvEUlP25hiprandStatePhilox4_32_10E0_ZNS1_27distribution_nullary_kernelIhj15HIP_vector_typeIjLj4EES7_SF_ZZZNS5_IS7_EEvS9_mlSA_ENKSB_clEvENKSC_clEvEUljE_EEvS9_T2_RKT3_T4_EUlijE0_EEvlNS_15PhiloxCudaStateET1_SK_
    .private_segment_fixed_size: 0
    .sgpr_count:     58
    .sgpr_spill_count: 0
    .symbol:         _ZN2at6native12_GLOBAL__N_143distribution_elementwise_grid_stride_kernelIjLi4EZZZNS0_9templates4cuda21random_from_to_kernelIPNS_17CUDAGeneratorImplEEEvRNS_18TensorIteratorBaseEmlT_ENKUlvE_clEvENKUlvE_clEvEUlP25hiprandStatePhilox4_32_10E0_ZNS1_27distribution_nullary_kernelIhj15HIP_vector_typeIjLj4EES7_SF_ZZZNS5_IS7_EEvS9_mlSA_ENKSB_clEvENKSC_clEvEUljE_EEvS9_T2_RKT3_T4_EUlijE0_EEvlNS_15PhiloxCudaStateET1_SK_.kd
    .uniform_work_group_size: 1
    .uses_dynamic_stack: false
    .vgpr_count:     45
    .vgpr_spill_count: 0
    .wavefront_size: 32
    .workgroup_processor_mode: 1
  - .args:
      - .offset:         0
        .size:           8
        .value_kind:     by_value
      - .offset:         8
        .size:           32
        .value_kind:     by_value
      - .offset:         40
        .size:           1
        .value_kind:     by_value
      - .offset:         48
        .size:           32
        .value_kind:     by_value
      - .offset:         80
        .size:           4
        .value_kind:     hidden_block_count_x
      - .offset:         84
        .size:           4
        .value_kind:     hidden_block_count_y
      - .offset:         88
        .size:           4
        .value_kind:     hidden_block_count_z
      - .offset:         92
        .size:           2
        .value_kind:     hidden_group_size_x
      - .offset:         94
        .size:           2
        .value_kind:     hidden_group_size_y
      - .offset:         96
        .size:           2
        .value_kind:     hidden_group_size_z
      - .offset:         98
        .size:           2
        .value_kind:     hidden_remainder_x
      - .offset:         100
        .size:           2
        .value_kind:     hidden_remainder_y
      - .offset:         102
        .size:           2
        .value_kind:     hidden_remainder_z
      - .offset:         120
        .size:           8
        .value_kind:     hidden_global_offset_x
      - .offset:         128
        .size:           8
        .value_kind:     hidden_global_offset_y
      - .offset:         136
        .size:           8
        .value_kind:     hidden_global_offset_z
      - .offset:         144
        .size:           2
        .value_kind:     hidden_grid_dims
    .group_segment_fixed_size: 0
    .kernarg_segment_align: 8
    .kernarg_segment_size: 336
    .language:       OpenCL C
    .language_version:
      - 2
      - 0
    .max_flat_workgroup_size: 256
    .name:           _ZN2at6native12_GLOBAL__N_143distribution_elementwise_grid_stride_kernelImLi2EZZZNS0_9templates4cuda21random_from_to_kernelIPNS_17CUDAGeneratorImplEEEvRNS_18TensorIteratorBaseEmlT_ENKUlvE_clEvENKUlvE0_clEvEUlP25hiprandStatePhilox4_32_10E_ZNS1_27distribution_nullary_kernelIam15HIP_vector_typeIyLj2EES7_SF_ZZZNS5_IS7_EEvS9_mlSA_ENKSB_clEvENKSC_clEvEUlmE_EEvS9_T2_RKT3_T4_EUlimE_EEvlNS_15PhiloxCudaStateET1_SK_
    .private_segment_fixed_size: 0
    .sgpr_count:     25
    .sgpr_spill_count: 0
    .symbol:         _ZN2at6native12_GLOBAL__N_143distribution_elementwise_grid_stride_kernelImLi2EZZZNS0_9templates4cuda21random_from_to_kernelIPNS_17CUDAGeneratorImplEEEvRNS_18TensorIteratorBaseEmlT_ENKUlvE_clEvENKUlvE0_clEvEUlP25hiprandStatePhilox4_32_10E_ZNS1_27distribution_nullary_kernelIam15HIP_vector_typeIyLj2EES7_SF_ZZZNS5_IS7_EEvS9_mlSA_ENKSB_clEvENKSC_clEvEUlmE_EEvS9_T2_RKT3_T4_EUlimE_EEvlNS_15PhiloxCudaStateET1_SK_.kd
    .uniform_work_group_size: 1
    .uses_dynamic_stack: false
    .vgpr_count:     47
    .vgpr_spill_count: 0
    .wavefront_size: 32
    .workgroup_processor_mode: 1
  - .args:
      - .offset:         0
        .size:           8
        .value_kind:     by_value
      - .offset:         8
        .size:           32
        .value_kind:     by_value
      - .offset:         40
        .size:           1
        .value_kind:     by_value
      - .offset:         48
        .size:           288
        .value_kind:     by_value
      - .offset:         336
        .size:           4
        .value_kind:     hidden_block_count_x
      - .offset:         340
        .size:           4
        .value_kind:     hidden_block_count_y
      - .offset:         344
        .size:           4
        .value_kind:     hidden_block_count_z
      - .offset:         348
        .size:           2
        .value_kind:     hidden_group_size_x
      - .offset:         350
        .size:           2
        .value_kind:     hidden_group_size_y
      - .offset:         352
        .size:           2
        .value_kind:     hidden_group_size_z
      - .offset:         354
        .size:           2
        .value_kind:     hidden_remainder_x
      - .offset:         356
        .size:           2
        .value_kind:     hidden_remainder_y
      - .offset:         358
        .size:           2
        .value_kind:     hidden_remainder_z
      - .offset:         376
        .size:           8
        .value_kind:     hidden_global_offset_x
      - .offset:         384
        .size:           8
        .value_kind:     hidden_global_offset_y
      - .offset:         392
        .size:           8
        .value_kind:     hidden_global_offset_z
      - .offset:         400
        .size:           2
        .value_kind:     hidden_grid_dims
    .group_segment_fixed_size: 0
    .kernarg_segment_align: 8
    .kernarg_segment_size: 592
    .language:       OpenCL C
    .language_version:
      - 2
      - 0
    .max_flat_workgroup_size: 256
    .name:           _ZN2at6native12_GLOBAL__N_143distribution_elementwise_grid_stride_kernelImLi2EZZZNS0_9templates4cuda21random_from_to_kernelIPNS_17CUDAGeneratorImplEEEvRNS_18TensorIteratorBaseEmlT_ENKUlvE_clEvENKUlvE0_clEvEUlP25hiprandStatePhilox4_32_10E_ZNS1_27distribution_nullary_kernelIam15HIP_vector_typeIyLj2EES7_SF_ZZZNS5_IS7_EEvS9_mlSA_ENKSB_clEvENKSC_clEvEUlmE_EEvS9_T2_RKT3_T4_EUlimE0_EEvlNS_15PhiloxCudaStateET1_SK_
    .private_segment_fixed_size: 0
    .sgpr_count:     58
    .sgpr_spill_count: 0
    .symbol:         _ZN2at6native12_GLOBAL__N_143distribution_elementwise_grid_stride_kernelImLi2EZZZNS0_9templates4cuda21random_from_to_kernelIPNS_17CUDAGeneratorImplEEEvRNS_18TensorIteratorBaseEmlT_ENKUlvE_clEvENKUlvE0_clEvEUlP25hiprandStatePhilox4_32_10E_ZNS1_27distribution_nullary_kernelIam15HIP_vector_typeIyLj2EES7_SF_ZZZNS5_IS7_EEvS9_mlSA_ENKSB_clEvENKSC_clEvEUlmE_EEvS9_T2_RKT3_T4_EUlimE0_EEvlNS_15PhiloxCudaStateET1_SK_.kd
    .uniform_work_group_size: 1
    .uses_dynamic_stack: false
    .vgpr_count:     46
    .vgpr_spill_count: 0
    .wavefront_size: 32
    .workgroup_processor_mode: 1
  - .args:
      - .offset:         0
        .size:           8
        .value_kind:     by_value
      - .offset:         8
        .size:           32
        .value_kind:     by_value
      - .offset:         40
        .size:           1
        .value_kind:     by_value
      - .offset:         48
        .size:           32
        .value_kind:     by_value
      - .offset:         80
        .size:           4
        .value_kind:     hidden_block_count_x
      - .offset:         84
        .size:           4
        .value_kind:     hidden_block_count_y
      - .offset:         88
        .size:           4
        .value_kind:     hidden_block_count_z
      - .offset:         92
        .size:           2
        .value_kind:     hidden_group_size_x
      - .offset:         94
        .size:           2
        .value_kind:     hidden_group_size_y
      - .offset:         96
        .size:           2
        .value_kind:     hidden_group_size_z
      - .offset:         98
        .size:           2
        .value_kind:     hidden_remainder_x
      - .offset:         100
        .size:           2
        .value_kind:     hidden_remainder_y
      - .offset:         102
        .size:           2
        .value_kind:     hidden_remainder_z
      - .offset:         120
        .size:           8
        .value_kind:     hidden_global_offset_x
      - .offset:         128
        .size:           8
        .value_kind:     hidden_global_offset_y
      - .offset:         136
        .size:           8
        .value_kind:     hidden_global_offset_z
      - .offset:         144
        .size:           2
        .value_kind:     hidden_grid_dims
    .group_segment_fixed_size: 0
    .kernarg_segment_align: 8
    .kernarg_segment_size: 336
    .language:       OpenCL C
    .language_version:
      - 2
      - 0
    .max_flat_workgroup_size: 256
    .name:           _ZN2at6native12_GLOBAL__N_143distribution_elementwise_grid_stride_kernelIjLi4EZZZNS0_9templates4cuda21random_from_to_kernelIPNS_17CUDAGeneratorImplEEEvRNS_18TensorIteratorBaseEmlT_ENKUlvE_clEvENKUlvE0_clEvEUlP25hiprandStatePhilox4_32_10E0_ZNS1_27distribution_nullary_kernelIaj15HIP_vector_typeIjLj4EES7_SF_ZZZNS5_IS7_EEvS9_mlSA_ENKSB_clEvENKSC_clEvEUljE_EEvS9_T2_RKT3_T4_EUlijE_EEvlNS_15PhiloxCudaStateET1_SK_
    .private_segment_fixed_size: 0
    .sgpr_count:     25
    .sgpr_spill_count: 0
    .symbol:         _ZN2at6native12_GLOBAL__N_143distribution_elementwise_grid_stride_kernelIjLi4EZZZNS0_9templates4cuda21random_from_to_kernelIPNS_17CUDAGeneratorImplEEEvRNS_18TensorIteratorBaseEmlT_ENKUlvE_clEvENKUlvE0_clEvEUlP25hiprandStatePhilox4_32_10E0_ZNS1_27distribution_nullary_kernelIaj15HIP_vector_typeIjLj4EES7_SF_ZZZNS5_IS7_EEvS9_mlSA_ENKSB_clEvENKSC_clEvEUljE_EEvS9_T2_RKT3_T4_EUlijE_EEvlNS_15PhiloxCudaStateET1_SK_.kd
    .uniform_work_group_size: 1
    .uses_dynamic_stack: false
    .vgpr_count:     46
    .vgpr_spill_count: 0
    .wavefront_size: 32
    .workgroup_processor_mode: 1
  - .args:
      - .offset:         0
        .size:           8
        .value_kind:     by_value
      - .offset:         8
        .size:           32
        .value_kind:     by_value
      - .offset:         40
        .size:           1
        .value_kind:     by_value
      - .offset:         48
        .size:           288
        .value_kind:     by_value
      - .offset:         336
        .size:           4
        .value_kind:     hidden_block_count_x
      - .offset:         340
        .size:           4
        .value_kind:     hidden_block_count_y
      - .offset:         344
        .size:           4
        .value_kind:     hidden_block_count_z
      - .offset:         348
        .size:           2
        .value_kind:     hidden_group_size_x
      - .offset:         350
        .size:           2
        .value_kind:     hidden_group_size_y
      - .offset:         352
        .size:           2
        .value_kind:     hidden_group_size_z
      - .offset:         354
        .size:           2
        .value_kind:     hidden_remainder_x
      - .offset:         356
        .size:           2
        .value_kind:     hidden_remainder_y
      - .offset:         358
        .size:           2
        .value_kind:     hidden_remainder_z
      - .offset:         376
        .size:           8
        .value_kind:     hidden_global_offset_x
      - .offset:         384
        .size:           8
        .value_kind:     hidden_global_offset_y
      - .offset:         392
        .size:           8
        .value_kind:     hidden_global_offset_z
      - .offset:         400
        .size:           2
        .value_kind:     hidden_grid_dims
    .group_segment_fixed_size: 0
    .kernarg_segment_align: 8
    .kernarg_segment_size: 592
    .language:       OpenCL C
    .language_version:
      - 2
      - 0
    .max_flat_workgroup_size: 256
    .name:           _ZN2at6native12_GLOBAL__N_143distribution_elementwise_grid_stride_kernelIjLi4EZZZNS0_9templates4cuda21random_from_to_kernelIPNS_17CUDAGeneratorImplEEEvRNS_18TensorIteratorBaseEmlT_ENKUlvE_clEvENKUlvE0_clEvEUlP25hiprandStatePhilox4_32_10E0_ZNS1_27distribution_nullary_kernelIaj15HIP_vector_typeIjLj4EES7_SF_ZZZNS5_IS7_EEvS9_mlSA_ENKSB_clEvENKSC_clEvEUljE_EEvS9_T2_RKT3_T4_EUlijE0_EEvlNS_15PhiloxCudaStateET1_SK_
    .private_segment_fixed_size: 0
    .sgpr_count:     58
    .sgpr_spill_count: 0
    .symbol:         _ZN2at6native12_GLOBAL__N_143distribution_elementwise_grid_stride_kernelIjLi4EZZZNS0_9templates4cuda21random_from_to_kernelIPNS_17CUDAGeneratorImplEEEvRNS_18TensorIteratorBaseEmlT_ENKUlvE_clEvENKUlvE0_clEvEUlP25hiprandStatePhilox4_32_10E0_ZNS1_27distribution_nullary_kernelIaj15HIP_vector_typeIjLj4EES7_SF_ZZZNS5_IS7_EEvS9_mlSA_ENKSB_clEvENKSC_clEvEUljE_EEvS9_T2_RKT3_T4_EUlijE0_EEvlNS_15PhiloxCudaStateET1_SK_.kd
    .uniform_work_group_size: 1
    .uses_dynamic_stack: false
    .vgpr_count:     45
    .vgpr_spill_count: 0
    .wavefront_size: 32
    .workgroup_processor_mode: 1
  - .args:
      - .offset:         0
        .size:           8
        .value_kind:     by_value
      - .offset:         8
        .size:           32
        .value_kind:     by_value
      - .offset:         40
        .size:           1
        .value_kind:     by_value
      - .offset:         48
        .size:           32
        .value_kind:     by_value
      - .offset:         80
        .size:           4
        .value_kind:     hidden_block_count_x
      - .offset:         84
        .size:           4
        .value_kind:     hidden_block_count_y
      - .offset:         88
        .size:           4
        .value_kind:     hidden_block_count_z
      - .offset:         92
        .size:           2
        .value_kind:     hidden_group_size_x
      - .offset:         94
        .size:           2
        .value_kind:     hidden_group_size_y
      - .offset:         96
        .size:           2
        .value_kind:     hidden_group_size_z
      - .offset:         98
        .size:           2
        .value_kind:     hidden_remainder_x
      - .offset:         100
        .size:           2
        .value_kind:     hidden_remainder_y
      - .offset:         102
        .size:           2
        .value_kind:     hidden_remainder_z
      - .offset:         120
        .size:           8
        .value_kind:     hidden_global_offset_x
      - .offset:         128
        .size:           8
        .value_kind:     hidden_global_offset_y
      - .offset:         136
        .size:           8
        .value_kind:     hidden_global_offset_z
      - .offset:         144
        .size:           2
        .value_kind:     hidden_grid_dims
    .group_segment_fixed_size: 0
    .kernarg_segment_align: 8
    .kernarg_segment_size: 336
    .language:       OpenCL C
    .language_version:
      - 2
      - 0
    .max_flat_workgroup_size: 256
    .name:           _ZN2at6native12_GLOBAL__N_143distribution_elementwise_grid_stride_kernelImLi2EZZZNS0_9templates4cuda21random_from_to_kernelIPNS_17CUDAGeneratorImplEEEvRNS_18TensorIteratorBaseEmlT_ENKUlvE_clEvENKUlvE1_clEvEUlP25hiprandStatePhilox4_32_10E_ZNS1_27distribution_nullary_kernelIim15HIP_vector_typeIyLj2EES7_SF_ZZZNS5_IS7_EEvS9_mlSA_ENKSB_clEvENKSC_clEvEUlmE_EEvS9_T2_RKT3_T4_EUlimE_EEvlNS_15PhiloxCudaStateET1_SK_
    .private_segment_fixed_size: 0
    .sgpr_count:     25
    .sgpr_spill_count: 0
    .symbol:         _ZN2at6native12_GLOBAL__N_143distribution_elementwise_grid_stride_kernelImLi2EZZZNS0_9templates4cuda21random_from_to_kernelIPNS_17CUDAGeneratorImplEEEvRNS_18TensorIteratorBaseEmlT_ENKUlvE_clEvENKUlvE1_clEvEUlP25hiprandStatePhilox4_32_10E_ZNS1_27distribution_nullary_kernelIim15HIP_vector_typeIyLj2EES7_SF_ZZZNS5_IS7_EEvS9_mlSA_ENKSB_clEvENKSC_clEvEUlmE_EEvS9_T2_RKT3_T4_EUlimE_EEvlNS_15PhiloxCudaStateET1_SK_.kd
    .uniform_work_group_size: 1
    .uses_dynamic_stack: false
    .vgpr_count:     47
    .vgpr_spill_count: 0
    .wavefront_size: 32
    .workgroup_processor_mode: 1
  - .args:
      - .offset:         0
        .size:           8
        .value_kind:     by_value
      - .offset:         8
        .size:           32
        .value_kind:     by_value
      - .offset:         40
        .size:           1
        .value_kind:     by_value
      - .offset:         48
        .size:           288
        .value_kind:     by_value
      - .offset:         336
        .size:           4
        .value_kind:     hidden_block_count_x
      - .offset:         340
        .size:           4
        .value_kind:     hidden_block_count_y
      - .offset:         344
        .size:           4
        .value_kind:     hidden_block_count_z
      - .offset:         348
        .size:           2
        .value_kind:     hidden_group_size_x
      - .offset:         350
        .size:           2
        .value_kind:     hidden_group_size_y
      - .offset:         352
        .size:           2
        .value_kind:     hidden_group_size_z
      - .offset:         354
        .size:           2
        .value_kind:     hidden_remainder_x
      - .offset:         356
        .size:           2
        .value_kind:     hidden_remainder_y
      - .offset:         358
        .size:           2
        .value_kind:     hidden_remainder_z
      - .offset:         376
        .size:           8
        .value_kind:     hidden_global_offset_x
      - .offset:         384
        .size:           8
        .value_kind:     hidden_global_offset_y
      - .offset:         392
        .size:           8
        .value_kind:     hidden_global_offset_z
      - .offset:         400
        .size:           2
        .value_kind:     hidden_grid_dims
    .group_segment_fixed_size: 0
    .kernarg_segment_align: 8
    .kernarg_segment_size: 592
    .language:       OpenCL C
    .language_version:
      - 2
      - 0
    .max_flat_workgroup_size: 256
    .name:           _ZN2at6native12_GLOBAL__N_143distribution_elementwise_grid_stride_kernelImLi2EZZZNS0_9templates4cuda21random_from_to_kernelIPNS_17CUDAGeneratorImplEEEvRNS_18TensorIteratorBaseEmlT_ENKUlvE_clEvENKUlvE1_clEvEUlP25hiprandStatePhilox4_32_10E_ZNS1_27distribution_nullary_kernelIim15HIP_vector_typeIyLj2EES7_SF_ZZZNS5_IS7_EEvS9_mlSA_ENKSB_clEvENKSC_clEvEUlmE_EEvS9_T2_RKT3_T4_EUlimE0_EEvlNS_15PhiloxCudaStateET1_SK_
    .private_segment_fixed_size: 0
    .sgpr_count:     58
    .sgpr_spill_count: 0
    .symbol:         _ZN2at6native12_GLOBAL__N_143distribution_elementwise_grid_stride_kernelImLi2EZZZNS0_9templates4cuda21random_from_to_kernelIPNS_17CUDAGeneratorImplEEEvRNS_18TensorIteratorBaseEmlT_ENKUlvE_clEvENKUlvE1_clEvEUlP25hiprandStatePhilox4_32_10E_ZNS1_27distribution_nullary_kernelIim15HIP_vector_typeIyLj2EES7_SF_ZZZNS5_IS7_EEvS9_mlSA_ENKSB_clEvENKSC_clEvEUlmE_EEvS9_T2_RKT3_T4_EUlimE0_EEvlNS_15PhiloxCudaStateET1_SK_.kd
    .uniform_work_group_size: 1
    .uses_dynamic_stack: false
    .vgpr_count:     46
    .vgpr_spill_count: 0
    .wavefront_size: 32
    .workgroup_processor_mode: 1
  - .args:
      - .offset:         0
        .size:           8
        .value_kind:     by_value
      - .offset:         8
        .size:           32
        .value_kind:     by_value
      - .offset:         40
        .size:           1
        .value_kind:     by_value
      - .offset:         48
        .size:           32
        .value_kind:     by_value
      - .offset:         80
        .size:           4
        .value_kind:     hidden_block_count_x
      - .offset:         84
        .size:           4
        .value_kind:     hidden_block_count_y
      - .offset:         88
        .size:           4
        .value_kind:     hidden_block_count_z
      - .offset:         92
        .size:           2
        .value_kind:     hidden_group_size_x
      - .offset:         94
        .size:           2
        .value_kind:     hidden_group_size_y
      - .offset:         96
        .size:           2
        .value_kind:     hidden_group_size_z
      - .offset:         98
        .size:           2
        .value_kind:     hidden_remainder_x
      - .offset:         100
        .size:           2
        .value_kind:     hidden_remainder_y
      - .offset:         102
        .size:           2
        .value_kind:     hidden_remainder_z
      - .offset:         120
        .size:           8
        .value_kind:     hidden_global_offset_x
      - .offset:         128
        .size:           8
        .value_kind:     hidden_global_offset_y
      - .offset:         136
        .size:           8
        .value_kind:     hidden_global_offset_z
      - .offset:         144
        .size:           2
        .value_kind:     hidden_grid_dims
    .group_segment_fixed_size: 0
    .kernarg_segment_align: 8
    .kernarg_segment_size: 336
    .language:       OpenCL C
    .language_version:
      - 2
      - 0
    .max_flat_workgroup_size: 256
    .name:           _ZN2at6native12_GLOBAL__N_143distribution_elementwise_grid_stride_kernelIjLi4EZZZNS0_9templates4cuda21random_from_to_kernelIPNS_17CUDAGeneratorImplEEEvRNS_18TensorIteratorBaseEmlT_ENKUlvE_clEvENKUlvE1_clEvEUlP25hiprandStatePhilox4_32_10E0_ZNS1_27distribution_nullary_kernelIij15HIP_vector_typeIjLj4EES7_SF_ZZZNS5_IS7_EEvS9_mlSA_ENKSB_clEvENKSC_clEvEUljE_EEvS9_T2_RKT3_T4_EUlijE_EEvlNS_15PhiloxCudaStateET1_SK_
    .private_segment_fixed_size: 0
    .sgpr_count:     25
    .sgpr_spill_count: 0
    .symbol:         _ZN2at6native12_GLOBAL__N_143distribution_elementwise_grid_stride_kernelIjLi4EZZZNS0_9templates4cuda21random_from_to_kernelIPNS_17CUDAGeneratorImplEEEvRNS_18TensorIteratorBaseEmlT_ENKUlvE_clEvENKUlvE1_clEvEUlP25hiprandStatePhilox4_32_10E0_ZNS1_27distribution_nullary_kernelIij15HIP_vector_typeIjLj4EES7_SF_ZZZNS5_IS7_EEvS9_mlSA_ENKSB_clEvENKSC_clEvEUljE_EEvS9_T2_RKT3_T4_EUlijE_EEvlNS_15PhiloxCudaStateET1_SK_.kd
    .uniform_work_group_size: 1
    .uses_dynamic_stack: false
    .vgpr_count:     46
    .vgpr_spill_count: 0
    .wavefront_size: 32
    .workgroup_processor_mode: 1
  - .args:
      - .offset:         0
        .size:           8
        .value_kind:     by_value
      - .offset:         8
        .size:           32
        .value_kind:     by_value
      - .offset:         40
        .size:           1
        .value_kind:     by_value
      - .offset:         48
        .size:           288
        .value_kind:     by_value
      - .offset:         336
        .size:           4
        .value_kind:     hidden_block_count_x
      - .offset:         340
        .size:           4
        .value_kind:     hidden_block_count_y
      - .offset:         344
        .size:           4
        .value_kind:     hidden_block_count_z
      - .offset:         348
        .size:           2
        .value_kind:     hidden_group_size_x
      - .offset:         350
        .size:           2
        .value_kind:     hidden_group_size_y
      - .offset:         352
        .size:           2
        .value_kind:     hidden_group_size_z
      - .offset:         354
        .size:           2
        .value_kind:     hidden_remainder_x
      - .offset:         356
        .size:           2
        .value_kind:     hidden_remainder_y
      - .offset:         358
        .size:           2
        .value_kind:     hidden_remainder_z
      - .offset:         376
        .size:           8
        .value_kind:     hidden_global_offset_x
      - .offset:         384
        .size:           8
        .value_kind:     hidden_global_offset_y
      - .offset:         392
        .size:           8
        .value_kind:     hidden_global_offset_z
      - .offset:         400
        .size:           2
        .value_kind:     hidden_grid_dims
    .group_segment_fixed_size: 0
    .kernarg_segment_align: 8
    .kernarg_segment_size: 592
    .language:       OpenCL C
    .language_version:
      - 2
      - 0
    .max_flat_workgroup_size: 256
    .name:           _ZN2at6native12_GLOBAL__N_143distribution_elementwise_grid_stride_kernelIjLi4EZZZNS0_9templates4cuda21random_from_to_kernelIPNS_17CUDAGeneratorImplEEEvRNS_18TensorIteratorBaseEmlT_ENKUlvE_clEvENKUlvE1_clEvEUlP25hiprandStatePhilox4_32_10E0_ZNS1_27distribution_nullary_kernelIij15HIP_vector_typeIjLj4EES7_SF_ZZZNS5_IS7_EEvS9_mlSA_ENKSB_clEvENKSC_clEvEUljE_EEvS9_T2_RKT3_T4_EUlijE0_EEvlNS_15PhiloxCudaStateET1_SK_
    .private_segment_fixed_size: 0
    .sgpr_count:     58
    .sgpr_spill_count: 0
    .symbol:         _ZN2at6native12_GLOBAL__N_143distribution_elementwise_grid_stride_kernelIjLi4EZZZNS0_9templates4cuda21random_from_to_kernelIPNS_17CUDAGeneratorImplEEEvRNS_18TensorIteratorBaseEmlT_ENKUlvE_clEvENKUlvE1_clEvEUlP25hiprandStatePhilox4_32_10E0_ZNS1_27distribution_nullary_kernelIij15HIP_vector_typeIjLj4EES7_SF_ZZZNS5_IS7_EEvS9_mlSA_ENKSB_clEvENKSC_clEvEUljE_EEvS9_T2_RKT3_T4_EUlijE0_EEvlNS_15PhiloxCudaStateET1_SK_.kd
    .uniform_work_group_size: 1
    .uses_dynamic_stack: false
    .vgpr_count:     45
    .vgpr_spill_count: 0
    .wavefront_size: 32
    .workgroup_processor_mode: 1
  - .args:
      - .offset:         0
        .size:           8
        .value_kind:     by_value
      - .offset:         8
        .size:           32
        .value_kind:     by_value
      - .offset:         40
        .size:           1
        .value_kind:     by_value
      - .offset:         48
        .size:           32
        .value_kind:     by_value
      - .offset:         80
        .size:           4
        .value_kind:     hidden_block_count_x
      - .offset:         84
        .size:           4
        .value_kind:     hidden_block_count_y
      - .offset:         88
        .size:           4
        .value_kind:     hidden_block_count_z
      - .offset:         92
        .size:           2
        .value_kind:     hidden_group_size_x
      - .offset:         94
        .size:           2
        .value_kind:     hidden_group_size_y
      - .offset:         96
        .size:           2
        .value_kind:     hidden_group_size_z
      - .offset:         98
        .size:           2
        .value_kind:     hidden_remainder_x
      - .offset:         100
        .size:           2
        .value_kind:     hidden_remainder_y
      - .offset:         102
        .size:           2
        .value_kind:     hidden_remainder_z
      - .offset:         120
        .size:           8
        .value_kind:     hidden_global_offset_x
      - .offset:         128
        .size:           8
        .value_kind:     hidden_global_offset_y
      - .offset:         136
        .size:           8
        .value_kind:     hidden_global_offset_z
      - .offset:         144
        .size:           2
        .value_kind:     hidden_grid_dims
    .group_segment_fixed_size: 0
    .kernarg_segment_align: 8
    .kernarg_segment_size: 336
    .language:       OpenCL C
    .language_version:
      - 2
      - 0
    .max_flat_workgroup_size: 256
    .name:           _ZN2at6native12_GLOBAL__N_143distribution_elementwise_grid_stride_kernelImLi2EZZZNS0_9templates4cuda21random_from_to_kernelIPNS_17CUDAGeneratorImplEEEvRNS_18TensorIteratorBaseEmlT_ENKUlvE_clEvENKUlvE2_clEvEUlP25hiprandStatePhilox4_32_10E_ZNS1_27distribution_nullary_kernelIlm15HIP_vector_typeIyLj2EES7_SF_ZZZNS5_IS7_EEvS9_mlSA_ENKSB_clEvENKSC_clEvEUlmE_EEvS9_T2_RKT3_T4_EUlimE_EEvlNS_15PhiloxCudaStateET1_SK_
    .private_segment_fixed_size: 0
    .sgpr_count:     25
    .sgpr_spill_count: 0
    .symbol:         _ZN2at6native12_GLOBAL__N_143distribution_elementwise_grid_stride_kernelImLi2EZZZNS0_9templates4cuda21random_from_to_kernelIPNS_17CUDAGeneratorImplEEEvRNS_18TensorIteratorBaseEmlT_ENKUlvE_clEvENKUlvE2_clEvEUlP25hiprandStatePhilox4_32_10E_ZNS1_27distribution_nullary_kernelIlm15HIP_vector_typeIyLj2EES7_SF_ZZZNS5_IS7_EEvS9_mlSA_ENKSB_clEvENKSC_clEvEUlmE_EEvS9_T2_RKT3_T4_EUlimE_EEvlNS_15PhiloxCudaStateET1_SK_.kd
    .uniform_work_group_size: 1
    .uses_dynamic_stack: false
    .vgpr_count:     47
    .vgpr_spill_count: 0
    .wavefront_size: 32
    .workgroup_processor_mode: 1
  - .args:
      - .offset:         0
        .size:           8
        .value_kind:     by_value
      - .offset:         8
        .size:           32
        .value_kind:     by_value
      - .offset:         40
        .size:           1
        .value_kind:     by_value
      - .offset:         48
        .size:           288
        .value_kind:     by_value
      - .offset:         336
        .size:           4
        .value_kind:     hidden_block_count_x
      - .offset:         340
        .size:           4
        .value_kind:     hidden_block_count_y
      - .offset:         344
        .size:           4
        .value_kind:     hidden_block_count_z
      - .offset:         348
        .size:           2
        .value_kind:     hidden_group_size_x
      - .offset:         350
        .size:           2
        .value_kind:     hidden_group_size_y
      - .offset:         352
        .size:           2
        .value_kind:     hidden_group_size_z
      - .offset:         354
        .size:           2
        .value_kind:     hidden_remainder_x
      - .offset:         356
        .size:           2
        .value_kind:     hidden_remainder_y
      - .offset:         358
        .size:           2
        .value_kind:     hidden_remainder_z
      - .offset:         376
        .size:           8
        .value_kind:     hidden_global_offset_x
      - .offset:         384
        .size:           8
        .value_kind:     hidden_global_offset_y
      - .offset:         392
        .size:           8
        .value_kind:     hidden_global_offset_z
      - .offset:         400
        .size:           2
        .value_kind:     hidden_grid_dims
    .group_segment_fixed_size: 0
    .kernarg_segment_align: 8
    .kernarg_segment_size: 592
    .language:       OpenCL C
    .language_version:
      - 2
      - 0
    .max_flat_workgroup_size: 256
    .name:           _ZN2at6native12_GLOBAL__N_143distribution_elementwise_grid_stride_kernelImLi2EZZZNS0_9templates4cuda21random_from_to_kernelIPNS_17CUDAGeneratorImplEEEvRNS_18TensorIteratorBaseEmlT_ENKUlvE_clEvENKUlvE2_clEvEUlP25hiprandStatePhilox4_32_10E_ZNS1_27distribution_nullary_kernelIlm15HIP_vector_typeIyLj2EES7_SF_ZZZNS5_IS7_EEvS9_mlSA_ENKSB_clEvENKSC_clEvEUlmE_EEvS9_T2_RKT3_T4_EUlimE0_EEvlNS_15PhiloxCudaStateET1_SK_
    .private_segment_fixed_size: 0
    .sgpr_count:     58
    .sgpr_spill_count: 0
    .symbol:         _ZN2at6native12_GLOBAL__N_143distribution_elementwise_grid_stride_kernelImLi2EZZZNS0_9templates4cuda21random_from_to_kernelIPNS_17CUDAGeneratorImplEEEvRNS_18TensorIteratorBaseEmlT_ENKUlvE_clEvENKUlvE2_clEvEUlP25hiprandStatePhilox4_32_10E_ZNS1_27distribution_nullary_kernelIlm15HIP_vector_typeIyLj2EES7_SF_ZZZNS5_IS7_EEvS9_mlSA_ENKSB_clEvENKSC_clEvEUlmE_EEvS9_T2_RKT3_T4_EUlimE0_EEvlNS_15PhiloxCudaStateET1_SK_.kd
    .uniform_work_group_size: 1
    .uses_dynamic_stack: false
    .vgpr_count:     46
    .vgpr_spill_count: 0
    .wavefront_size: 32
    .workgroup_processor_mode: 1
  - .args:
      - .offset:         0
        .size:           8
        .value_kind:     by_value
      - .offset:         8
        .size:           32
        .value_kind:     by_value
      - .offset:         40
        .size:           1
        .value_kind:     by_value
      - .offset:         48
        .size:           32
        .value_kind:     by_value
      - .offset:         80
        .size:           4
        .value_kind:     hidden_block_count_x
      - .offset:         84
        .size:           4
        .value_kind:     hidden_block_count_y
      - .offset:         88
        .size:           4
        .value_kind:     hidden_block_count_z
      - .offset:         92
        .size:           2
        .value_kind:     hidden_group_size_x
      - .offset:         94
        .size:           2
        .value_kind:     hidden_group_size_y
      - .offset:         96
        .size:           2
        .value_kind:     hidden_group_size_z
      - .offset:         98
        .size:           2
        .value_kind:     hidden_remainder_x
      - .offset:         100
        .size:           2
        .value_kind:     hidden_remainder_y
      - .offset:         102
        .size:           2
        .value_kind:     hidden_remainder_z
      - .offset:         120
        .size:           8
        .value_kind:     hidden_global_offset_x
      - .offset:         128
        .size:           8
        .value_kind:     hidden_global_offset_y
      - .offset:         136
        .size:           8
        .value_kind:     hidden_global_offset_z
      - .offset:         144
        .size:           2
        .value_kind:     hidden_grid_dims
    .group_segment_fixed_size: 0
    .kernarg_segment_align: 8
    .kernarg_segment_size: 336
    .language:       OpenCL C
    .language_version:
      - 2
      - 0
    .max_flat_workgroup_size: 256
    .name:           _ZN2at6native12_GLOBAL__N_143distribution_elementwise_grid_stride_kernelIjLi4EZZZNS0_9templates4cuda21random_from_to_kernelIPNS_17CUDAGeneratorImplEEEvRNS_18TensorIteratorBaseEmlT_ENKUlvE_clEvENKUlvE2_clEvEUlP25hiprandStatePhilox4_32_10E0_ZNS1_27distribution_nullary_kernelIlj15HIP_vector_typeIjLj4EES7_SF_ZZZNS5_IS7_EEvS9_mlSA_ENKSB_clEvENKSC_clEvEUljE_EEvS9_T2_RKT3_T4_EUlijE_EEvlNS_15PhiloxCudaStateET1_SK_
    .private_segment_fixed_size: 0
    .sgpr_count:     25
    .sgpr_spill_count: 0
    .symbol:         _ZN2at6native12_GLOBAL__N_143distribution_elementwise_grid_stride_kernelIjLi4EZZZNS0_9templates4cuda21random_from_to_kernelIPNS_17CUDAGeneratorImplEEEvRNS_18TensorIteratorBaseEmlT_ENKUlvE_clEvENKUlvE2_clEvEUlP25hiprandStatePhilox4_32_10E0_ZNS1_27distribution_nullary_kernelIlj15HIP_vector_typeIjLj4EES7_SF_ZZZNS5_IS7_EEvS9_mlSA_ENKSB_clEvENKSC_clEvEUljE_EEvS9_T2_RKT3_T4_EUlijE_EEvlNS_15PhiloxCudaStateET1_SK_.kd
    .uniform_work_group_size: 1
    .uses_dynamic_stack: false
    .vgpr_count:     46
    .vgpr_spill_count: 0
    .wavefront_size: 32
    .workgroup_processor_mode: 1
  - .args:
      - .offset:         0
        .size:           8
        .value_kind:     by_value
      - .offset:         8
        .size:           32
        .value_kind:     by_value
      - .offset:         40
        .size:           1
        .value_kind:     by_value
      - .offset:         48
        .size:           288
        .value_kind:     by_value
      - .offset:         336
        .size:           4
        .value_kind:     hidden_block_count_x
      - .offset:         340
        .size:           4
        .value_kind:     hidden_block_count_y
      - .offset:         344
        .size:           4
        .value_kind:     hidden_block_count_z
      - .offset:         348
        .size:           2
        .value_kind:     hidden_group_size_x
      - .offset:         350
        .size:           2
        .value_kind:     hidden_group_size_y
      - .offset:         352
        .size:           2
        .value_kind:     hidden_group_size_z
      - .offset:         354
        .size:           2
        .value_kind:     hidden_remainder_x
      - .offset:         356
        .size:           2
        .value_kind:     hidden_remainder_y
      - .offset:         358
        .size:           2
        .value_kind:     hidden_remainder_z
      - .offset:         376
        .size:           8
        .value_kind:     hidden_global_offset_x
      - .offset:         384
        .size:           8
        .value_kind:     hidden_global_offset_y
      - .offset:         392
        .size:           8
        .value_kind:     hidden_global_offset_z
      - .offset:         400
        .size:           2
        .value_kind:     hidden_grid_dims
    .group_segment_fixed_size: 0
    .kernarg_segment_align: 8
    .kernarg_segment_size: 592
    .language:       OpenCL C
    .language_version:
      - 2
      - 0
    .max_flat_workgroup_size: 256
    .name:           _ZN2at6native12_GLOBAL__N_143distribution_elementwise_grid_stride_kernelIjLi4EZZZNS0_9templates4cuda21random_from_to_kernelIPNS_17CUDAGeneratorImplEEEvRNS_18TensorIteratorBaseEmlT_ENKUlvE_clEvENKUlvE2_clEvEUlP25hiprandStatePhilox4_32_10E0_ZNS1_27distribution_nullary_kernelIlj15HIP_vector_typeIjLj4EES7_SF_ZZZNS5_IS7_EEvS9_mlSA_ENKSB_clEvENKSC_clEvEUljE_EEvS9_T2_RKT3_T4_EUlijE0_EEvlNS_15PhiloxCudaStateET1_SK_
    .private_segment_fixed_size: 0
    .sgpr_count:     62
    .sgpr_spill_count: 0
    .symbol:         _ZN2at6native12_GLOBAL__N_143distribution_elementwise_grid_stride_kernelIjLi4EZZZNS0_9templates4cuda21random_from_to_kernelIPNS_17CUDAGeneratorImplEEEvRNS_18TensorIteratorBaseEmlT_ENKUlvE_clEvENKUlvE2_clEvEUlP25hiprandStatePhilox4_32_10E0_ZNS1_27distribution_nullary_kernelIlj15HIP_vector_typeIjLj4EES7_SF_ZZZNS5_IS7_EEvS9_mlSA_ENKSB_clEvENKSC_clEvEUljE_EEvS9_T2_RKT3_T4_EUlijE0_EEvlNS_15PhiloxCudaStateET1_SK_.kd
    .uniform_work_group_size: 1
    .uses_dynamic_stack: false
    .vgpr_count:     45
    .vgpr_spill_count: 0
    .wavefront_size: 32
    .workgroup_processor_mode: 1
  - .args:
      - .offset:         0
        .size:           8
        .value_kind:     by_value
      - .offset:         8
        .size:           32
        .value_kind:     by_value
      - .offset:         40
        .size:           1
        .value_kind:     by_value
      - .offset:         48
        .size:           32
        .value_kind:     by_value
      - .offset:         80
        .size:           4
        .value_kind:     hidden_block_count_x
      - .offset:         84
        .size:           4
        .value_kind:     hidden_block_count_y
      - .offset:         88
        .size:           4
        .value_kind:     hidden_block_count_z
      - .offset:         92
        .size:           2
        .value_kind:     hidden_group_size_x
      - .offset:         94
        .size:           2
        .value_kind:     hidden_group_size_y
      - .offset:         96
        .size:           2
        .value_kind:     hidden_group_size_z
      - .offset:         98
        .size:           2
        .value_kind:     hidden_remainder_x
      - .offset:         100
        .size:           2
        .value_kind:     hidden_remainder_y
      - .offset:         102
        .size:           2
        .value_kind:     hidden_remainder_z
      - .offset:         120
        .size:           8
        .value_kind:     hidden_global_offset_x
      - .offset:         128
        .size:           8
        .value_kind:     hidden_global_offset_y
      - .offset:         136
        .size:           8
        .value_kind:     hidden_global_offset_z
      - .offset:         144
        .size:           2
        .value_kind:     hidden_grid_dims
    .group_segment_fixed_size: 0
    .kernarg_segment_align: 8
    .kernarg_segment_size: 336
    .language:       OpenCL C
    .language_version:
      - 2
      - 0
    .max_flat_workgroup_size: 256
    .name:           _ZN2at6native12_GLOBAL__N_143distribution_elementwise_grid_stride_kernelImLi2EZZZNS0_9templates4cuda21random_from_to_kernelIPNS_17CUDAGeneratorImplEEEvRNS_18TensorIteratorBaseEmlT_ENKUlvE_clEvENKUlvE3_clEvEUlP25hiprandStatePhilox4_32_10E_ZNS1_27distribution_nullary_kernelIsm15HIP_vector_typeIyLj2EES7_SF_ZZZNS5_IS7_EEvS9_mlSA_ENKSB_clEvENKSC_clEvEUlmE_EEvS9_T2_RKT3_T4_EUlimE_EEvlNS_15PhiloxCudaStateET1_SK_
    .private_segment_fixed_size: 0
    .sgpr_count:     25
    .sgpr_spill_count: 0
    .symbol:         _ZN2at6native12_GLOBAL__N_143distribution_elementwise_grid_stride_kernelImLi2EZZZNS0_9templates4cuda21random_from_to_kernelIPNS_17CUDAGeneratorImplEEEvRNS_18TensorIteratorBaseEmlT_ENKUlvE_clEvENKUlvE3_clEvEUlP25hiprandStatePhilox4_32_10E_ZNS1_27distribution_nullary_kernelIsm15HIP_vector_typeIyLj2EES7_SF_ZZZNS5_IS7_EEvS9_mlSA_ENKSB_clEvENKSC_clEvEUlmE_EEvS9_T2_RKT3_T4_EUlimE_EEvlNS_15PhiloxCudaStateET1_SK_.kd
    .uniform_work_group_size: 1
    .uses_dynamic_stack: false
    .vgpr_count:     47
    .vgpr_spill_count: 0
    .wavefront_size: 32
    .workgroup_processor_mode: 1
  - .args:
      - .offset:         0
        .size:           8
        .value_kind:     by_value
      - .offset:         8
        .size:           32
        .value_kind:     by_value
      - .offset:         40
        .size:           1
        .value_kind:     by_value
      - .offset:         48
        .size:           288
        .value_kind:     by_value
      - .offset:         336
        .size:           4
        .value_kind:     hidden_block_count_x
      - .offset:         340
        .size:           4
        .value_kind:     hidden_block_count_y
      - .offset:         344
        .size:           4
        .value_kind:     hidden_block_count_z
      - .offset:         348
        .size:           2
        .value_kind:     hidden_group_size_x
      - .offset:         350
        .size:           2
        .value_kind:     hidden_group_size_y
      - .offset:         352
        .size:           2
        .value_kind:     hidden_group_size_z
      - .offset:         354
        .size:           2
        .value_kind:     hidden_remainder_x
      - .offset:         356
        .size:           2
        .value_kind:     hidden_remainder_y
      - .offset:         358
        .size:           2
        .value_kind:     hidden_remainder_z
      - .offset:         376
        .size:           8
        .value_kind:     hidden_global_offset_x
      - .offset:         384
        .size:           8
        .value_kind:     hidden_global_offset_y
      - .offset:         392
        .size:           8
        .value_kind:     hidden_global_offset_z
      - .offset:         400
        .size:           2
        .value_kind:     hidden_grid_dims
    .group_segment_fixed_size: 0
    .kernarg_segment_align: 8
    .kernarg_segment_size: 592
    .language:       OpenCL C
    .language_version:
      - 2
      - 0
    .max_flat_workgroup_size: 256
    .name:           _ZN2at6native12_GLOBAL__N_143distribution_elementwise_grid_stride_kernelImLi2EZZZNS0_9templates4cuda21random_from_to_kernelIPNS_17CUDAGeneratorImplEEEvRNS_18TensorIteratorBaseEmlT_ENKUlvE_clEvENKUlvE3_clEvEUlP25hiprandStatePhilox4_32_10E_ZNS1_27distribution_nullary_kernelIsm15HIP_vector_typeIyLj2EES7_SF_ZZZNS5_IS7_EEvS9_mlSA_ENKSB_clEvENKSC_clEvEUlmE_EEvS9_T2_RKT3_T4_EUlimE0_EEvlNS_15PhiloxCudaStateET1_SK_
    .private_segment_fixed_size: 0
    .sgpr_count:     58
    .sgpr_spill_count: 0
    .symbol:         _ZN2at6native12_GLOBAL__N_143distribution_elementwise_grid_stride_kernelImLi2EZZZNS0_9templates4cuda21random_from_to_kernelIPNS_17CUDAGeneratorImplEEEvRNS_18TensorIteratorBaseEmlT_ENKUlvE_clEvENKUlvE3_clEvEUlP25hiprandStatePhilox4_32_10E_ZNS1_27distribution_nullary_kernelIsm15HIP_vector_typeIyLj2EES7_SF_ZZZNS5_IS7_EEvS9_mlSA_ENKSB_clEvENKSC_clEvEUlmE_EEvS9_T2_RKT3_T4_EUlimE0_EEvlNS_15PhiloxCudaStateET1_SK_.kd
    .uniform_work_group_size: 1
    .uses_dynamic_stack: false
    .vgpr_count:     46
    .vgpr_spill_count: 0
    .wavefront_size: 32
    .workgroup_processor_mode: 1
  - .args:
      - .offset:         0
        .size:           8
        .value_kind:     by_value
      - .offset:         8
        .size:           32
        .value_kind:     by_value
      - .offset:         40
        .size:           1
        .value_kind:     by_value
      - .offset:         48
        .size:           32
        .value_kind:     by_value
      - .offset:         80
        .size:           4
        .value_kind:     hidden_block_count_x
      - .offset:         84
        .size:           4
        .value_kind:     hidden_block_count_y
      - .offset:         88
        .size:           4
        .value_kind:     hidden_block_count_z
      - .offset:         92
        .size:           2
        .value_kind:     hidden_group_size_x
      - .offset:         94
        .size:           2
        .value_kind:     hidden_group_size_y
      - .offset:         96
        .size:           2
        .value_kind:     hidden_group_size_z
      - .offset:         98
        .size:           2
        .value_kind:     hidden_remainder_x
      - .offset:         100
        .size:           2
        .value_kind:     hidden_remainder_y
      - .offset:         102
        .size:           2
        .value_kind:     hidden_remainder_z
      - .offset:         120
        .size:           8
        .value_kind:     hidden_global_offset_x
      - .offset:         128
        .size:           8
        .value_kind:     hidden_global_offset_y
      - .offset:         136
        .size:           8
        .value_kind:     hidden_global_offset_z
      - .offset:         144
        .size:           2
        .value_kind:     hidden_grid_dims
    .group_segment_fixed_size: 0
    .kernarg_segment_align: 8
    .kernarg_segment_size: 336
    .language:       OpenCL C
    .language_version:
      - 2
      - 0
    .max_flat_workgroup_size: 256
    .name:           _ZN2at6native12_GLOBAL__N_143distribution_elementwise_grid_stride_kernelIjLi4EZZZNS0_9templates4cuda21random_from_to_kernelIPNS_17CUDAGeneratorImplEEEvRNS_18TensorIteratorBaseEmlT_ENKUlvE_clEvENKUlvE3_clEvEUlP25hiprandStatePhilox4_32_10E0_ZNS1_27distribution_nullary_kernelIsj15HIP_vector_typeIjLj4EES7_SF_ZZZNS5_IS7_EEvS9_mlSA_ENKSB_clEvENKSC_clEvEUljE_EEvS9_T2_RKT3_T4_EUlijE_EEvlNS_15PhiloxCudaStateET1_SK_
    .private_segment_fixed_size: 0
    .sgpr_count:     25
    .sgpr_spill_count: 0
    .symbol:         _ZN2at6native12_GLOBAL__N_143distribution_elementwise_grid_stride_kernelIjLi4EZZZNS0_9templates4cuda21random_from_to_kernelIPNS_17CUDAGeneratorImplEEEvRNS_18TensorIteratorBaseEmlT_ENKUlvE_clEvENKUlvE3_clEvEUlP25hiprandStatePhilox4_32_10E0_ZNS1_27distribution_nullary_kernelIsj15HIP_vector_typeIjLj4EES7_SF_ZZZNS5_IS7_EEvS9_mlSA_ENKSB_clEvENKSC_clEvEUljE_EEvS9_T2_RKT3_T4_EUlijE_EEvlNS_15PhiloxCudaStateET1_SK_.kd
    .uniform_work_group_size: 1
    .uses_dynamic_stack: false
    .vgpr_count:     46
    .vgpr_spill_count: 0
    .wavefront_size: 32
    .workgroup_processor_mode: 1
  - .args:
      - .offset:         0
        .size:           8
        .value_kind:     by_value
      - .offset:         8
        .size:           32
        .value_kind:     by_value
      - .offset:         40
        .size:           1
        .value_kind:     by_value
      - .offset:         48
        .size:           288
        .value_kind:     by_value
      - .offset:         336
        .size:           4
        .value_kind:     hidden_block_count_x
      - .offset:         340
        .size:           4
        .value_kind:     hidden_block_count_y
      - .offset:         344
        .size:           4
        .value_kind:     hidden_block_count_z
      - .offset:         348
        .size:           2
        .value_kind:     hidden_group_size_x
      - .offset:         350
        .size:           2
        .value_kind:     hidden_group_size_y
      - .offset:         352
        .size:           2
        .value_kind:     hidden_group_size_z
      - .offset:         354
        .size:           2
        .value_kind:     hidden_remainder_x
      - .offset:         356
        .size:           2
        .value_kind:     hidden_remainder_y
      - .offset:         358
        .size:           2
        .value_kind:     hidden_remainder_z
      - .offset:         376
        .size:           8
        .value_kind:     hidden_global_offset_x
      - .offset:         384
        .size:           8
        .value_kind:     hidden_global_offset_y
      - .offset:         392
        .size:           8
        .value_kind:     hidden_global_offset_z
      - .offset:         400
        .size:           2
        .value_kind:     hidden_grid_dims
    .group_segment_fixed_size: 0
    .kernarg_segment_align: 8
    .kernarg_segment_size: 592
    .language:       OpenCL C
    .language_version:
      - 2
      - 0
    .max_flat_workgroup_size: 256
    .name:           _ZN2at6native12_GLOBAL__N_143distribution_elementwise_grid_stride_kernelIjLi4EZZZNS0_9templates4cuda21random_from_to_kernelIPNS_17CUDAGeneratorImplEEEvRNS_18TensorIteratorBaseEmlT_ENKUlvE_clEvENKUlvE3_clEvEUlP25hiprandStatePhilox4_32_10E0_ZNS1_27distribution_nullary_kernelIsj15HIP_vector_typeIjLj4EES7_SF_ZZZNS5_IS7_EEvS9_mlSA_ENKSB_clEvENKSC_clEvEUljE_EEvS9_T2_RKT3_T4_EUlijE0_EEvlNS_15PhiloxCudaStateET1_SK_
    .private_segment_fixed_size: 0
    .sgpr_count:     58
    .sgpr_spill_count: 0
    .symbol:         _ZN2at6native12_GLOBAL__N_143distribution_elementwise_grid_stride_kernelIjLi4EZZZNS0_9templates4cuda21random_from_to_kernelIPNS_17CUDAGeneratorImplEEEvRNS_18TensorIteratorBaseEmlT_ENKUlvE_clEvENKUlvE3_clEvEUlP25hiprandStatePhilox4_32_10E0_ZNS1_27distribution_nullary_kernelIsj15HIP_vector_typeIjLj4EES7_SF_ZZZNS5_IS7_EEvS9_mlSA_ENKSB_clEvENKSC_clEvEUljE_EEvS9_T2_RKT3_T4_EUlijE0_EEvlNS_15PhiloxCudaStateET1_SK_.kd
    .uniform_work_group_size: 1
    .uses_dynamic_stack: false
    .vgpr_count:     45
    .vgpr_spill_count: 0
    .wavefront_size: 32
    .workgroup_processor_mode: 1
  - .args:
      - .offset:         0
        .size:           8
        .value_kind:     by_value
      - .offset:         8
        .size:           32
        .value_kind:     by_value
      - .offset:         40
        .size:           1
        .value_kind:     by_value
      - .offset:         48
        .size:           32
        .value_kind:     by_value
      - .offset:         80
        .size:           4
        .value_kind:     hidden_block_count_x
      - .offset:         84
        .size:           4
        .value_kind:     hidden_block_count_y
      - .offset:         88
        .size:           4
        .value_kind:     hidden_block_count_z
      - .offset:         92
        .size:           2
        .value_kind:     hidden_group_size_x
      - .offset:         94
        .size:           2
        .value_kind:     hidden_group_size_y
      - .offset:         96
        .size:           2
        .value_kind:     hidden_group_size_z
      - .offset:         98
        .size:           2
        .value_kind:     hidden_remainder_x
      - .offset:         100
        .size:           2
        .value_kind:     hidden_remainder_y
      - .offset:         102
        .size:           2
        .value_kind:     hidden_remainder_z
      - .offset:         120
        .size:           8
        .value_kind:     hidden_global_offset_x
      - .offset:         128
        .size:           8
        .value_kind:     hidden_global_offset_y
      - .offset:         136
        .size:           8
        .value_kind:     hidden_global_offset_z
      - .offset:         144
        .size:           2
        .value_kind:     hidden_grid_dims
    .group_segment_fixed_size: 0
    .kernarg_segment_align: 8
    .kernarg_segment_size: 336
    .language:       OpenCL C
    .language_version:
      - 2
      - 0
    .max_flat_workgroup_size: 256
    .name:           _ZN2at6native12_GLOBAL__N_143distribution_elementwise_grid_stride_kernelImLi2EZZZNS0_9templates4cuda21random_from_to_kernelIPNS_17CUDAGeneratorImplEEEvRNS_18TensorIteratorBaseEmlT_ENKUlvE_clEvENKUlvE4_clEvEUlP25hiprandStatePhilox4_32_10E_ZNS1_27distribution_nullary_kernelIdm15HIP_vector_typeIyLj2EES7_SF_ZZZNS5_IS7_EEvS9_mlSA_ENKSB_clEvENKSC_clEvEUlmE_EEvS9_T2_RKT3_T4_EUlimE_EEvlNS_15PhiloxCudaStateET1_SK_
    .private_segment_fixed_size: 0
    .sgpr_count:     25
    .sgpr_spill_count: 0
    .symbol:         _ZN2at6native12_GLOBAL__N_143distribution_elementwise_grid_stride_kernelImLi2EZZZNS0_9templates4cuda21random_from_to_kernelIPNS_17CUDAGeneratorImplEEEvRNS_18TensorIteratorBaseEmlT_ENKUlvE_clEvENKUlvE4_clEvEUlP25hiprandStatePhilox4_32_10E_ZNS1_27distribution_nullary_kernelIdm15HIP_vector_typeIyLj2EES7_SF_ZZZNS5_IS7_EEvS9_mlSA_ENKSB_clEvENKSC_clEvEUlmE_EEvS9_T2_RKT3_T4_EUlimE_EEvlNS_15PhiloxCudaStateET1_SK_.kd
    .uniform_work_group_size: 1
    .uses_dynamic_stack: false
    .vgpr_count:     47
    .vgpr_spill_count: 0
    .wavefront_size: 32
    .workgroup_processor_mode: 1
  - .args:
      - .offset:         0
        .size:           8
        .value_kind:     by_value
      - .offset:         8
        .size:           32
        .value_kind:     by_value
      - .offset:         40
        .size:           1
        .value_kind:     by_value
      - .offset:         48
        .size:           288
        .value_kind:     by_value
      - .offset:         336
        .size:           4
        .value_kind:     hidden_block_count_x
      - .offset:         340
        .size:           4
        .value_kind:     hidden_block_count_y
      - .offset:         344
        .size:           4
        .value_kind:     hidden_block_count_z
      - .offset:         348
        .size:           2
        .value_kind:     hidden_group_size_x
      - .offset:         350
        .size:           2
        .value_kind:     hidden_group_size_y
      - .offset:         352
        .size:           2
        .value_kind:     hidden_group_size_z
      - .offset:         354
        .size:           2
        .value_kind:     hidden_remainder_x
      - .offset:         356
        .size:           2
        .value_kind:     hidden_remainder_y
      - .offset:         358
        .size:           2
        .value_kind:     hidden_remainder_z
      - .offset:         376
        .size:           8
        .value_kind:     hidden_global_offset_x
      - .offset:         384
        .size:           8
        .value_kind:     hidden_global_offset_y
      - .offset:         392
        .size:           8
        .value_kind:     hidden_global_offset_z
      - .offset:         400
        .size:           2
        .value_kind:     hidden_grid_dims
    .group_segment_fixed_size: 0
    .kernarg_segment_align: 8
    .kernarg_segment_size: 592
    .language:       OpenCL C
    .language_version:
      - 2
      - 0
    .max_flat_workgroup_size: 256
    .name:           _ZN2at6native12_GLOBAL__N_143distribution_elementwise_grid_stride_kernelImLi2EZZZNS0_9templates4cuda21random_from_to_kernelIPNS_17CUDAGeneratorImplEEEvRNS_18TensorIteratorBaseEmlT_ENKUlvE_clEvENKUlvE4_clEvEUlP25hiprandStatePhilox4_32_10E_ZNS1_27distribution_nullary_kernelIdm15HIP_vector_typeIyLj2EES7_SF_ZZZNS5_IS7_EEvS9_mlSA_ENKSB_clEvENKSC_clEvEUlmE_EEvS9_T2_RKT3_T4_EUlimE0_EEvlNS_15PhiloxCudaStateET1_SK_
    .private_segment_fixed_size: 0
    .sgpr_count:     58
    .sgpr_spill_count: 0
    .symbol:         _ZN2at6native12_GLOBAL__N_143distribution_elementwise_grid_stride_kernelImLi2EZZZNS0_9templates4cuda21random_from_to_kernelIPNS_17CUDAGeneratorImplEEEvRNS_18TensorIteratorBaseEmlT_ENKUlvE_clEvENKUlvE4_clEvEUlP25hiprandStatePhilox4_32_10E_ZNS1_27distribution_nullary_kernelIdm15HIP_vector_typeIyLj2EES7_SF_ZZZNS5_IS7_EEvS9_mlSA_ENKSB_clEvENKSC_clEvEUlmE_EEvS9_T2_RKT3_T4_EUlimE0_EEvlNS_15PhiloxCudaStateET1_SK_.kd
    .uniform_work_group_size: 1
    .uses_dynamic_stack: false
    .vgpr_count:     46
    .vgpr_spill_count: 0
    .wavefront_size: 32
    .workgroup_processor_mode: 1
  - .args:
      - .offset:         0
        .size:           8
        .value_kind:     by_value
      - .offset:         8
        .size:           32
        .value_kind:     by_value
      - .offset:         40
        .size:           1
        .value_kind:     by_value
      - .offset:         48
        .size:           32
        .value_kind:     by_value
      - .offset:         80
        .size:           4
        .value_kind:     hidden_block_count_x
      - .offset:         84
        .size:           4
        .value_kind:     hidden_block_count_y
      - .offset:         88
        .size:           4
        .value_kind:     hidden_block_count_z
      - .offset:         92
        .size:           2
        .value_kind:     hidden_group_size_x
      - .offset:         94
        .size:           2
        .value_kind:     hidden_group_size_y
      - .offset:         96
        .size:           2
        .value_kind:     hidden_group_size_z
      - .offset:         98
        .size:           2
        .value_kind:     hidden_remainder_x
      - .offset:         100
        .size:           2
        .value_kind:     hidden_remainder_y
      - .offset:         102
        .size:           2
        .value_kind:     hidden_remainder_z
      - .offset:         120
        .size:           8
        .value_kind:     hidden_global_offset_x
      - .offset:         128
        .size:           8
        .value_kind:     hidden_global_offset_y
      - .offset:         136
        .size:           8
        .value_kind:     hidden_global_offset_z
      - .offset:         144
        .size:           2
        .value_kind:     hidden_grid_dims
    .group_segment_fixed_size: 0
    .kernarg_segment_align: 8
    .kernarg_segment_size: 336
    .language:       OpenCL C
    .language_version:
      - 2
      - 0
    .max_flat_workgroup_size: 256
    .name:           _ZN2at6native12_GLOBAL__N_143distribution_elementwise_grid_stride_kernelIjLi4EZZZNS0_9templates4cuda21random_from_to_kernelIPNS_17CUDAGeneratorImplEEEvRNS_18TensorIteratorBaseEmlT_ENKUlvE_clEvENKUlvE4_clEvEUlP25hiprandStatePhilox4_32_10E0_ZNS1_27distribution_nullary_kernelIdj15HIP_vector_typeIjLj4EES7_SF_ZZZNS5_IS7_EEvS9_mlSA_ENKSB_clEvENKSC_clEvEUljE_EEvS9_T2_RKT3_T4_EUlijE_EEvlNS_15PhiloxCudaStateET1_SK_
    .private_segment_fixed_size: 0
    .sgpr_count:     25
    .sgpr_spill_count: 0
    .symbol:         _ZN2at6native12_GLOBAL__N_143distribution_elementwise_grid_stride_kernelIjLi4EZZZNS0_9templates4cuda21random_from_to_kernelIPNS_17CUDAGeneratorImplEEEvRNS_18TensorIteratorBaseEmlT_ENKUlvE_clEvENKUlvE4_clEvEUlP25hiprandStatePhilox4_32_10E0_ZNS1_27distribution_nullary_kernelIdj15HIP_vector_typeIjLj4EES7_SF_ZZZNS5_IS7_EEvS9_mlSA_ENKSB_clEvENKSC_clEvEUljE_EEvS9_T2_RKT3_T4_EUlijE_EEvlNS_15PhiloxCudaStateET1_SK_.kd
    .uniform_work_group_size: 1
    .uses_dynamic_stack: false
    .vgpr_count:     46
    .vgpr_spill_count: 0
    .wavefront_size: 32
    .workgroup_processor_mode: 1
  - .args:
      - .offset:         0
        .size:           8
        .value_kind:     by_value
      - .offset:         8
        .size:           32
        .value_kind:     by_value
      - .offset:         40
        .size:           1
        .value_kind:     by_value
      - .offset:         48
        .size:           288
        .value_kind:     by_value
      - .offset:         336
        .size:           4
        .value_kind:     hidden_block_count_x
      - .offset:         340
        .size:           4
        .value_kind:     hidden_block_count_y
      - .offset:         344
        .size:           4
        .value_kind:     hidden_block_count_z
      - .offset:         348
        .size:           2
        .value_kind:     hidden_group_size_x
      - .offset:         350
        .size:           2
        .value_kind:     hidden_group_size_y
      - .offset:         352
        .size:           2
        .value_kind:     hidden_group_size_z
      - .offset:         354
        .size:           2
        .value_kind:     hidden_remainder_x
      - .offset:         356
        .size:           2
        .value_kind:     hidden_remainder_y
      - .offset:         358
        .size:           2
        .value_kind:     hidden_remainder_z
      - .offset:         376
        .size:           8
        .value_kind:     hidden_global_offset_x
      - .offset:         384
        .size:           8
        .value_kind:     hidden_global_offset_y
      - .offset:         392
        .size:           8
        .value_kind:     hidden_global_offset_z
      - .offset:         400
        .size:           2
        .value_kind:     hidden_grid_dims
    .group_segment_fixed_size: 0
    .kernarg_segment_align: 8
    .kernarg_segment_size: 592
    .language:       OpenCL C
    .language_version:
      - 2
      - 0
    .max_flat_workgroup_size: 256
    .name:           _ZN2at6native12_GLOBAL__N_143distribution_elementwise_grid_stride_kernelIjLi4EZZZNS0_9templates4cuda21random_from_to_kernelIPNS_17CUDAGeneratorImplEEEvRNS_18TensorIteratorBaseEmlT_ENKUlvE_clEvENKUlvE4_clEvEUlP25hiprandStatePhilox4_32_10E0_ZNS1_27distribution_nullary_kernelIdj15HIP_vector_typeIjLj4EES7_SF_ZZZNS5_IS7_EEvS9_mlSA_ENKSB_clEvENKSC_clEvEUljE_EEvS9_T2_RKT3_T4_EUlijE0_EEvlNS_15PhiloxCudaStateET1_SK_
    .private_segment_fixed_size: 0
    .sgpr_count:     62
    .sgpr_spill_count: 0
    .symbol:         _ZN2at6native12_GLOBAL__N_143distribution_elementwise_grid_stride_kernelIjLi4EZZZNS0_9templates4cuda21random_from_to_kernelIPNS_17CUDAGeneratorImplEEEvRNS_18TensorIteratorBaseEmlT_ENKUlvE_clEvENKUlvE4_clEvEUlP25hiprandStatePhilox4_32_10E0_ZNS1_27distribution_nullary_kernelIdj15HIP_vector_typeIjLj4EES7_SF_ZZZNS5_IS7_EEvS9_mlSA_ENKSB_clEvENKSC_clEvEUljE_EEvS9_T2_RKT3_T4_EUlijE0_EEvlNS_15PhiloxCudaStateET1_SK_.kd
    .uniform_work_group_size: 1
    .uses_dynamic_stack: false
    .vgpr_count:     45
    .vgpr_spill_count: 0
    .wavefront_size: 32
    .workgroup_processor_mode: 1
  - .args:
      - .offset:         0
        .size:           8
        .value_kind:     by_value
      - .offset:         8
        .size:           32
        .value_kind:     by_value
      - .offset:         40
        .size:           1
        .value_kind:     by_value
      - .offset:         48
        .size:           32
        .value_kind:     by_value
      - .offset:         80
        .size:           4
        .value_kind:     hidden_block_count_x
      - .offset:         84
        .size:           4
        .value_kind:     hidden_block_count_y
      - .offset:         88
        .size:           4
        .value_kind:     hidden_block_count_z
      - .offset:         92
        .size:           2
        .value_kind:     hidden_group_size_x
      - .offset:         94
        .size:           2
        .value_kind:     hidden_group_size_y
      - .offset:         96
        .size:           2
        .value_kind:     hidden_group_size_z
      - .offset:         98
        .size:           2
        .value_kind:     hidden_remainder_x
      - .offset:         100
        .size:           2
        .value_kind:     hidden_remainder_y
      - .offset:         102
        .size:           2
        .value_kind:     hidden_remainder_z
      - .offset:         120
        .size:           8
        .value_kind:     hidden_global_offset_x
      - .offset:         128
        .size:           8
        .value_kind:     hidden_global_offset_y
      - .offset:         136
        .size:           8
        .value_kind:     hidden_global_offset_z
      - .offset:         144
        .size:           2
        .value_kind:     hidden_grid_dims
    .group_segment_fixed_size: 0
    .kernarg_segment_align: 8
    .kernarg_segment_size: 336
    .language:       OpenCL C
    .language_version:
      - 2
      - 0
    .max_flat_workgroup_size: 256
    .name:           _ZN2at6native12_GLOBAL__N_143distribution_elementwise_grid_stride_kernelImLi2EZZZNS0_9templates4cuda21random_from_to_kernelIPNS_17CUDAGeneratorImplEEEvRNS_18TensorIteratorBaseEmlT_ENKUlvE_clEvENKUlvE5_clEvEUlP25hiprandStatePhilox4_32_10E_ZNS1_27distribution_nullary_kernelIfm15HIP_vector_typeIyLj2EES7_SF_ZZZNS5_IS7_EEvS9_mlSA_ENKSB_clEvENKSC_clEvEUlmE_EEvS9_T2_RKT3_T4_EUlimE_EEvlNS_15PhiloxCudaStateET1_SK_
    .private_segment_fixed_size: 0
    .sgpr_count:     25
    .sgpr_spill_count: 0
    .symbol:         _ZN2at6native12_GLOBAL__N_143distribution_elementwise_grid_stride_kernelImLi2EZZZNS0_9templates4cuda21random_from_to_kernelIPNS_17CUDAGeneratorImplEEEvRNS_18TensorIteratorBaseEmlT_ENKUlvE_clEvENKUlvE5_clEvEUlP25hiprandStatePhilox4_32_10E_ZNS1_27distribution_nullary_kernelIfm15HIP_vector_typeIyLj2EES7_SF_ZZZNS5_IS7_EEvS9_mlSA_ENKSB_clEvENKSC_clEvEUlmE_EEvS9_T2_RKT3_T4_EUlimE_EEvlNS_15PhiloxCudaStateET1_SK_.kd
    .uniform_work_group_size: 1
    .uses_dynamic_stack: false
    .vgpr_count:     47
    .vgpr_spill_count: 0
    .wavefront_size: 32
    .workgroup_processor_mode: 1
  - .args:
      - .offset:         0
        .size:           8
        .value_kind:     by_value
      - .offset:         8
        .size:           32
        .value_kind:     by_value
      - .offset:         40
        .size:           1
        .value_kind:     by_value
      - .offset:         48
        .size:           288
        .value_kind:     by_value
      - .offset:         336
        .size:           4
        .value_kind:     hidden_block_count_x
      - .offset:         340
        .size:           4
        .value_kind:     hidden_block_count_y
      - .offset:         344
        .size:           4
        .value_kind:     hidden_block_count_z
      - .offset:         348
        .size:           2
        .value_kind:     hidden_group_size_x
      - .offset:         350
        .size:           2
        .value_kind:     hidden_group_size_y
      - .offset:         352
        .size:           2
        .value_kind:     hidden_group_size_z
      - .offset:         354
        .size:           2
        .value_kind:     hidden_remainder_x
      - .offset:         356
        .size:           2
        .value_kind:     hidden_remainder_y
      - .offset:         358
        .size:           2
        .value_kind:     hidden_remainder_z
      - .offset:         376
        .size:           8
        .value_kind:     hidden_global_offset_x
      - .offset:         384
        .size:           8
        .value_kind:     hidden_global_offset_y
      - .offset:         392
        .size:           8
        .value_kind:     hidden_global_offset_z
      - .offset:         400
        .size:           2
        .value_kind:     hidden_grid_dims
    .group_segment_fixed_size: 0
    .kernarg_segment_align: 8
    .kernarg_segment_size: 592
    .language:       OpenCL C
    .language_version:
      - 2
      - 0
    .max_flat_workgroup_size: 256
    .name:           _ZN2at6native12_GLOBAL__N_143distribution_elementwise_grid_stride_kernelImLi2EZZZNS0_9templates4cuda21random_from_to_kernelIPNS_17CUDAGeneratorImplEEEvRNS_18TensorIteratorBaseEmlT_ENKUlvE_clEvENKUlvE5_clEvEUlP25hiprandStatePhilox4_32_10E_ZNS1_27distribution_nullary_kernelIfm15HIP_vector_typeIyLj2EES7_SF_ZZZNS5_IS7_EEvS9_mlSA_ENKSB_clEvENKSC_clEvEUlmE_EEvS9_T2_RKT3_T4_EUlimE0_EEvlNS_15PhiloxCudaStateET1_SK_
    .private_segment_fixed_size: 0
    .sgpr_count:     58
    .sgpr_spill_count: 0
    .symbol:         _ZN2at6native12_GLOBAL__N_143distribution_elementwise_grid_stride_kernelImLi2EZZZNS0_9templates4cuda21random_from_to_kernelIPNS_17CUDAGeneratorImplEEEvRNS_18TensorIteratorBaseEmlT_ENKUlvE_clEvENKUlvE5_clEvEUlP25hiprandStatePhilox4_32_10E_ZNS1_27distribution_nullary_kernelIfm15HIP_vector_typeIyLj2EES7_SF_ZZZNS5_IS7_EEvS9_mlSA_ENKSB_clEvENKSC_clEvEUlmE_EEvS9_T2_RKT3_T4_EUlimE0_EEvlNS_15PhiloxCudaStateET1_SK_.kd
    .uniform_work_group_size: 1
    .uses_dynamic_stack: false
    .vgpr_count:     46
    .vgpr_spill_count: 0
    .wavefront_size: 32
    .workgroup_processor_mode: 1
  - .args:
      - .offset:         0
        .size:           8
        .value_kind:     by_value
      - .offset:         8
        .size:           32
        .value_kind:     by_value
      - .offset:         40
        .size:           1
        .value_kind:     by_value
      - .offset:         48
        .size:           32
        .value_kind:     by_value
      - .offset:         80
        .size:           4
        .value_kind:     hidden_block_count_x
      - .offset:         84
        .size:           4
        .value_kind:     hidden_block_count_y
      - .offset:         88
        .size:           4
        .value_kind:     hidden_block_count_z
      - .offset:         92
        .size:           2
        .value_kind:     hidden_group_size_x
      - .offset:         94
        .size:           2
        .value_kind:     hidden_group_size_y
      - .offset:         96
        .size:           2
        .value_kind:     hidden_group_size_z
      - .offset:         98
        .size:           2
        .value_kind:     hidden_remainder_x
      - .offset:         100
        .size:           2
        .value_kind:     hidden_remainder_y
      - .offset:         102
        .size:           2
        .value_kind:     hidden_remainder_z
      - .offset:         120
        .size:           8
        .value_kind:     hidden_global_offset_x
      - .offset:         128
        .size:           8
        .value_kind:     hidden_global_offset_y
      - .offset:         136
        .size:           8
        .value_kind:     hidden_global_offset_z
      - .offset:         144
        .size:           2
        .value_kind:     hidden_grid_dims
    .group_segment_fixed_size: 0
    .kernarg_segment_align: 8
    .kernarg_segment_size: 336
    .language:       OpenCL C
    .language_version:
      - 2
      - 0
    .max_flat_workgroup_size: 256
    .name:           _ZN2at6native12_GLOBAL__N_143distribution_elementwise_grid_stride_kernelIjLi4EZZZNS0_9templates4cuda21random_from_to_kernelIPNS_17CUDAGeneratorImplEEEvRNS_18TensorIteratorBaseEmlT_ENKUlvE_clEvENKUlvE5_clEvEUlP25hiprandStatePhilox4_32_10E0_ZNS1_27distribution_nullary_kernelIfj15HIP_vector_typeIjLj4EES7_SF_ZZZNS5_IS7_EEvS9_mlSA_ENKSB_clEvENKSC_clEvEUljE_EEvS9_T2_RKT3_T4_EUlijE_EEvlNS_15PhiloxCudaStateET1_SK_
    .private_segment_fixed_size: 0
    .sgpr_count:     25
    .sgpr_spill_count: 0
    .symbol:         _ZN2at6native12_GLOBAL__N_143distribution_elementwise_grid_stride_kernelIjLi4EZZZNS0_9templates4cuda21random_from_to_kernelIPNS_17CUDAGeneratorImplEEEvRNS_18TensorIteratorBaseEmlT_ENKUlvE_clEvENKUlvE5_clEvEUlP25hiprandStatePhilox4_32_10E0_ZNS1_27distribution_nullary_kernelIfj15HIP_vector_typeIjLj4EES7_SF_ZZZNS5_IS7_EEvS9_mlSA_ENKSB_clEvENKSC_clEvEUljE_EEvS9_T2_RKT3_T4_EUlijE_EEvlNS_15PhiloxCudaStateET1_SK_.kd
    .uniform_work_group_size: 1
    .uses_dynamic_stack: false
    .vgpr_count:     48
    .vgpr_spill_count: 0
    .wavefront_size: 32
    .workgroup_processor_mode: 1
  - .args:
      - .offset:         0
        .size:           8
        .value_kind:     by_value
      - .offset:         8
        .size:           32
        .value_kind:     by_value
      - .offset:         40
        .size:           1
        .value_kind:     by_value
      - .offset:         48
        .size:           288
        .value_kind:     by_value
      - .offset:         336
        .size:           4
        .value_kind:     hidden_block_count_x
      - .offset:         340
        .size:           4
        .value_kind:     hidden_block_count_y
      - .offset:         344
        .size:           4
        .value_kind:     hidden_block_count_z
      - .offset:         348
        .size:           2
        .value_kind:     hidden_group_size_x
      - .offset:         350
        .size:           2
        .value_kind:     hidden_group_size_y
      - .offset:         352
        .size:           2
        .value_kind:     hidden_group_size_z
      - .offset:         354
        .size:           2
        .value_kind:     hidden_remainder_x
      - .offset:         356
        .size:           2
        .value_kind:     hidden_remainder_y
      - .offset:         358
        .size:           2
        .value_kind:     hidden_remainder_z
      - .offset:         376
        .size:           8
        .value_kind:     hidden_global_offset_x
      - .offset:         384
        .size:           8
        .value_kind:     hidden_global_offset_y
      - .offset:         392
        .size:           8
        .value_kind:     hidden_global_offset_z
      - .offset:         400
        .size:           2
        .value_kind:     hidden_grid_dims
    .group_segment_fixed_size: 0
    .kernarg_segment_align: 8
    .kernarg_segment_size: 592
    .language:       OpenCL C
    .language_version:
      - 2
      - 0
    .max_flat_workgroup_size: 256
    .name:           _ZN2at6native12_GLOBAL__N_143distribution_elementwise_grid_stride_kernelIjLi4EZZZNS0_9templates4cuda21random_from_to_kernelIPNS_17CUDAGeneratorImplEEEvRNS_18TensorIteratorBaseEmlT_ENKUlvE_clEvENKUlvE5_clEvEUlP25hiprandStatePhilox4_32_10E0_ZNS1_27distribution_nullary_kernelIfj15HIP_vector_typeIjLj4EES7_SF_ZZZNS5_IS7_EEvS9_mlSA_ENKSB_clEvENKSC_clEvEUljE_EEvS9_T2_RKT3_T4_EUlijE0_EEvlNS_15PhiloxCudaStateET1_SK_
    .private_segment_fixed_size: 0
    .sgpr_count:     62
    .sgpr_spill_count: 0
    .symbol:         _ZN2at6native12_GLOBAL__N_143distribution_elementwise_grid_stride_kernelIjLi4EZZZNS0_9templates4cuda21random_from_to_kernelIPNS_17CUDAGeneratorImplEEEvRNS_18TensorIteratorBaseEmlT_ENKUlvE_clEvENKUlvE5_clEvEUlP25hiprandStatePhilox4_32_10E0_ZNS1_27distribution_nullary_kernelIfj15HIP_vector_typeIjLj4EES7_SF_ZZZNS5_IS7_EEvS9_mlSA_ENKSB_clEvENKSC_clEvEUljE_EEvS9_T2_RKT3_T4_EUlijE0_EEvlNS_15PhiloxCudaStateET1_SK_.kd
    .uniform_work_group_size: 1
    .uses_dynamic_stack: false
    .vgpr_count:     45
    .vgpr_spill_count: 0
    .wavefront_size: 32
    .workgroup_processor_mode: 1
  - .args:
      - .offset:         0
        .size:           8
        .value_kind:     by_value
      - .offset:         8
        .size:           32
        .value_kind:     by_value
      - .offset:         40
        .size:           1
        .value_kind:     by_value
      - .offset:         48
        .size:           32
        .value_kind:     by_value
      - .offset:         80
        .size:           4
        .value_kind:     hidden_block_count_x
      - .offset:         84
        .size:           4
        .value_kind:     hidden_block_count_y
      - .offset:         88
        .size:           4
        .value_kind:     hidden_block_count_z
      - .offset:         92
        .size:           2
        .value_kind:     hidden_group_size_x
      - .offset:         94
        .size:           2
        .value_kind:     hidden_group_size_y
      - .offset:         96
        .size:           2
        .value_kind:     hidden_group_size_z
      - .offset:         98
        .size:           2
        .value_kind:     hidden_remainder_x
      - .offset:         100
        .size:           2
        .value_kind:     hidden_remainder_y
      - .offset:         102
        .size:           2
        .value_kind:     hidden_remainder_z
      - .offset:         120
        .size:           8
        .value_kind:     hidden_global_offset_x
      - .offset:         128
        .size:           8
        .value_kind:     hidden_global_offset_y
      - .offset:         136
        .size:           8
        .value_kind:     hidden_global_offset_z
      - .offset:         144
        .size:           2
        .value_kind:     hidden_grid_dims
    .group_segment_fixed_size: 0
    .kernarg_segment_align: 8
    .kernarg_segment_size: 336
    .language:       OpenCL C
    .language_version:
      - 2
      - 0
    .max_flat_workgroup_size: 256
    .name:           _ZN2at6native12_GLOBAL__N_143distribution_elementwise_grid_stride_kernelImLi2EZZZNS0_9templates4cuda21random_from_to_kernelIPNS_17CUDAGeneratorImplEEEvRNS_18TensorIteratorBaseEmlT_ENKUlvE_clEvENKUlvE6_clEvEUlP25hiprandStatePhilox4_32_10E_ZNS1_27distribution_nullary_kernelIbm15HIP_vector_typeIyLj2EES7_SF_ZZZNS5_IS7_EEvS9_mlSA_ENKSB_clEvENKSC_clEvEUlmE_EEvS9_T2_RKT3_T4_EUlimE_EEvlNS_15PhiloxCudaStateET1_SK_
    .private_segment_fixed_size: 0
    .sgpr_count:     25
    .sgpr_spill_count: 0
    .symbol:         _ZN2at6native12_GLOBAL__N_143distribution_elementwise_grid_stride_kernelImLi2EZZZNS0_9templates4cuda21random_from_to_kernelIPNS_17CUDAGeneratorImplEEEvRNS_18TensorIteratorBaseEmlT_ENKUlvE_clEvENKUlvE6_clEvEUlP25hiprandStatePhilox4_32_10E_ZNS1_27distribution_nullary_kernelIbm15HIP_vector_typeIyLj2EES7_SF_ZZZNS5_IS7_EEvS9_mlSA_ENKSB_clEvENKSC_clEvEUlmE_EEvS9_T2_RKT3_T4_EUlimE_EEvlNS_15PhiloxCudaStateET1_SK_.kd
    .uniform_work_group_size: 1
    .uses_dynamic_stack: false
    .vgpr_count:     47
    .vgpr_spill_count: 0
    .wavefront_size: 32
    .workgroup_processor_mode: 1
  - .args:
      - .offset:         0
        .size:           8
        .value_kind:     by_value
      - .offset:         8
        .size:           32
        .value_kind:     by_value
      - .offset:         40
        .size:           1
        .value_kind:     by_value
      - .offset:         48
        .size:           288
        .value_kind:     by_value
      - .offset:         336
        .size:           4
        .value_kind:     hidden_block_count_x
      - .offset:         340
        .size:           4
        .value_kind:     hidden_block_count_y
      - .offset:         344
        .size:           4
        .value_kind:     hidden_block_count_z
      - .offset:         348
        .size:           2
        .value_kind:     hidden_group_size_x
      - .offset:         350
        .size:           2
        .value_kind:     hidden_group_size_y
      - .offset:         352
        .size:           2
        .value_kind:     hidden_group_size_z
      - .offset:         354
        .size:           2
        .value_kind:     hidden_remainder_x
      - .offset:         356
        .size:           2
        .value_kind:     hidden_remainder_y
      - .offset:         358
        .size:           2
        .value_kind:     hidden_remainder_z
      - .offset:         376
        .size:           8
        .value_kind:     hidden_global_offset_x
      - .offset:         384
        .size:           8
        .value_kind:     hidden_global_offset_y
      - .offset:         392
        .size:           8
        .value_kind:     hidden_global_offset_z
      - .offset:         400
        .size:           2
        .value_kind:     hidden_grid_dims
    .group_segment_fixed_size: 0
    .kernarg_segment_align: 8
    .kernarg_segment_size: 592
    .language:       OpenCL C
    .language_version:
      - 2
      - 0
    .max_flat_workgroup_size: 256
    .name:           _ZN2at6native12_GLOBAL__N_143distribution_elementwise_grid_stride_kernelImLi2EZZZNS0_9templates4cuda21random_from_to_kernelIPNS_17CUDAGeneratorImplEEEvRNS_18TensorIteratorBaseEmlT_ENKUlvE_clEvENKUlvE6_clEvEUlP25hiprandStatePhilox4_32_10E_ZNS1_27distribution_nullary_kernelIbm15HIP_vector_typeIyLj2EES7_SF_ZZZNS5_IS7_EEvS9_mlSA_ENKSB_clEvENKSC_clEvEUlmE_EEvS9_T2_RKT3_T4_EUlimE0_EEvlNS_15PhiloxCudaStateET1_SK_
    .private_segment_fixed_size: 0
    .sgpr_count:     58
    .sgpr_spill_count: 0
    .symbol:         _ZN2at6native12_GLOBAL__N_143distribution_elementwise_grid_stride_kernelImLi2EZZZNS0_9templates4cuda21random_from_to_kernelIPNS_17CUDAGeneratorImplEEEvRNS_18TensorIteratorBaseEmlT_ENKUlvE_clEvENKUlvE6_clEvEUlP25hiprandStatePhilox4_32_10E_ZNS1_27distribution_nullary_kernelIbm15HIP_vector_typeIyLj2EES7_SF_ZZZNS5_IS7_EEvS9_mlSA_ENKSB_clEvENKSC_clEvEUlmE_EEvS9_T2_RKT3_T4_EUlimE0_EEvlNS_15PhiloxCudaStateET1_SK_.kd
    .uniform_work_group_size: 1
    .uses_dynamic_stack: false
    .vgpr_count:     46
    .vgpr_spill_count: 0
    .wavefront_size: 32
    .workgroup_processor_mode: 1
  - .args:
      - .offset:         0
        .size:           8
        .value_kind:     by_value
      - .offset:         8
        .size:           32
        .value_kind:     by_value
      - .offset:         40
        .size:           1
        .value_kind:     by_value
      - .offset:         48
        .size:           32
        .value_kind:     by_value
      - .offset:         80
        .size:           4
        .value_kind:     hidden_block_count_x
      - .offset:         84
        .size:           4
        .value_kind:     hidden_block_count_y
      - .offset:         88
        .size:           4
        .value_kind:     hidden_block_count_z
      - .offset:         92
        .size:           2
        .value_kind:     hidden_group_size_x
      - .offset:         94
        .size:           2
        .value_kind:     hidden_group_size_y
      - .offset:         96
        .size:           2
        .value_kind:     hidden_group_size_z
      - .offset:         98
        .size:           2
        .value_kind:     hidden_remainder_x
      - .offset:         100
        .size:           2
        .value_kind:     hidden_remainder_y
      - .offset:         102
        .size:           2
        .value_kind:     hidden_remainder_z
      - .offset:         120
        .size:           8
        .value_kind:     hidden_global_offset_x
      - .offset:         128
        .size:           8
        .value_kind:     hidden_global_offset_y
      - .offset:         136
        .size:           8
        .value_kind:     hidden_global_offset_z
      - .offset:         144
        .size:           2
        .value_kind:     hidden_grid_dims
    .group_segment_fixed_size: 0
    .kernarg_segment_align: 8
    .kernarg_segment_size: 336
    .language:       OpenCL C
    .language_version:
      - 2
      - 0
    .max_flat_workgroup_size: 256
    .name:           _ZN2at6native12_GLOBAL__N_143distribution_elementwise_grid_stride_kernelIjLi4EZZZNS0_9templates4cuda21random_from_to_kernelIPNS_17CUDAGeneratorImplEEEvRNS_18TensorIteratorBaseEmlT_ENKUlvE_clEvENKUlvE6_clEvEUlP25hiprandStatePhilox4_32_10E0_ZNS1_27distribution_nullary_kernelIbj15HIP_vector_typeIjLj4EES7_SF_ZZZNS5_IS7_EEvS9_mlSA_ENKSB_clEvENKSC_clEvEUljE_EEvS9_T2_RKT3_T4_EUlijE_EEvlNS_15PhiloxCudaStateET1_SK_
    .private_segment_fixed_size: 0
    .sgpr_count:     25
    .sgpr_spill_count: 0
    .symbol:         _ZN2at6native12_GLOBAL__N_143distribution_elementwise_grid_stride_kernelIjLi4EZZZNS0_9templates4cuda21random_from_to_kernelIPNS_17CUDAGeneratorImplEEEvRNS_18TensorIteratorBaseEmlT_ENKUlvE_clEvENKUlvE6_clEvEUlP25hiprandStatePhilox4_32_10E0_ZNS1_27distribution_nullary_kernelIbj15HIP_vector_typeIjLj4EES7_SF_ZZZNS5_IS7_EEvS9_mlSA_ENKSB_clEvENKSC_clEvEUljE_EEvS9_T2_RKT3_T4_EUlijE_EEvlNS_15PhiloxCudaStateET1_SK_.kd
    .uniform_work_group_size: 1
    .uses_dynamic_stack: false
    .vgpr_count:     46
    .vgpr_spill_count: 0
    .wavefront_size: 32
    .workgroup_processor_mode: 1
  - .args:
      - .offset:         0
        .size:           8
        .value_kind:     by_value
      - .offset:         8
        .size:           32
        .value_kind:     by_value
      - .offset:         40
        .size:           1
        .value_kind:     by_value
      - .offset:         48
        .size:           288
        .value_kind:     by_value
      - .offset:         336
        .size:           4
        .value_kind:     hidden_block_count_x
      - .offset:         340
        .size:           4
        .value_kind:     hidden_block_count_y
      - .offset:         344
        .size:           4
        .value_kind:     hidden_block_count_z
      - .offset:         348
        .size:           2
        .value_kind:     hidden_group_size_x
      - .offset:         350
        .size:           2
        .value_kind:     hidden_group_size_y
      - .offset:         352
        .size:           2
        .value_kind:     hidden_group_size_z
      - .offset:         354
        .size:           2
        .value_kind:     hidden_remainder_x
      - .offset:         356
        .size:           2
        .value_kind:     hidden_remainder_y
      - .offset:         358
        .size:           2
        .value_kind:     hidden_remainder_z
      - .offset:         376
        .size:           8
        .value_kind:     hidden_global_offset_x
      - .offset:         384
        .size:           8
        .value_kind:     hidden_global_offset_y
      - .offset:         392
        .size:           8
        .value_kind:     hidden_global_offset_z
      - .offset:         400
        .size:           2
        .value_kind:     hidden_grid_dims
    .group_segment_fixed_size: 0
    .kernarg_segment_align: 8
    .kernarg_segment_size: 592
    .language:       OpenCL C
    .language_version:
      - 2
      - 0
    .max_flat_workgroup_size: 256
    .name:           _ZN2at6native12_GLOBAL__N_143distribution_elementwise_grid_stride_kernelIjLi4EZZZNS0_9templates4cuda21random_from_to_kernelIPNS_17CUDAGeneratorImplEEEvRNS_18TensorIteratorBaseEmlT_ENKUlvE_clEvENKUlvE6_clEvEUlP25hiprandStatePhilox4_32_10E0_ZNS1_27distribution_nullary_kernelIbj15HIP_vector_typeIjLj4EES7_SF_ZZZNS5_IS7_EEvS9_mlSA_ENKSB_clEvENKSC_clEvEUljE_EEvS9_T2_RKT3_T4_EUlijE0_EEvlNS_15PhiloxCudaStateET1_SK_
    .private_segment_fixed_size: 0
    .sgpr_count:     62
    .sgpr_spill_count: 0
    .symbol:         _ZN2at6native12_GLOBAL__N_143distribution_elementwise_grid_stride_kernelIjLi4EZZZNS0_9templates4cuda21random_from_to_kernelIPNS_17CUDAGeneratorImplEEEvRNS_18TensorIteratorBaseEmlT_ENKUlvE_clEvENKUlvE6_clEvEUlP25hiprandStatePhilox4_32_10E0_ZNS1_27distribution_nullary_kernelIbj15HIP_vector_typeIjLj4EES7_SF_ZZZNS5_IS7_EEvS9_mlSA_ENKSB_clEvENKSC_clEvEUljE_EEvS9_T2_RKT3_T4_EUlijE0_EEvlNS_15PhiloxCudaStateET1_SK_.kd
    .uniform_work_group_size: 1
    .uses_dynamic_stack: false
    .vgpr_count:     45
    .vgpr_spill_count: 0
    .wavefront_size: 32
    .workgroup_processor_mode: 1
  - .args:
      - .offset:         0
        .size:           8
        .value_kind:     by_value
      - .offset:         8
        .size:           32
        .value_kind:     by_value
      - .offset:         40
        .size:           1
        .value_kind:     by_value
      - .offset:         48
        .size:           32
        .value_kind:     by_value
      - .offset:         80
        .size:           4
        .value_kind:     hidden_block_count_x
      - .offset:         84
        .size:           4
        .value_kind:     hidden_block_count_y
      - .offset:         88
        .size:           4
        .value_kind:     hidden_block_count_z
      - .offset:         92
        .size:           2
        .value_kind:     hidden_group_size_x
      - .offset:         94
        .size:           2
        .value_kind:     hidden_group_size_y
      - .offset:         96
        .size:           2
        .value_kind:     hidden_group_size_z
      - .offset:         98
        .size:           2
        .value_kind:     hidden_remainder_x
      - .offset:         100
        .size:           2
        .value_kind:     hidden_remainder_y
      - .offset:         102
        .size:           2
        .value_kind:     hidden_remainder_z
      - .offset:         120
        .size:           8
        .value_kind:     hidden_global_offset_x
      - .offset:         128
        .size:           8
        .value_kind:     hidden_global_offset_y
      - .offset:         136
        .size:           8
        .value_kind:     hidden_global_offset_z
      - .offset:         144
        .size:           2
        .value_kind:     hidden_grid_dims
    .group_segment_fixed_size: 0
    .kernarg_segment_align: 8
    .kernarg_segment_size: 336
    .language:       OpenCL C
    .language_version:
      - 2
      - 0
    .max_flat_workgroup_size: 256
    .name:           _ZN2at6native12_GLOBAL__N_143distribution_elementwise_grid_stride_kernelImLi2EZZZNS0_9templates4cuda21random_from_to_kernelIPNS_17CUDAGeneratorImplEEEvRNS_18TensorIteratorBaseEmlT_ENKUlvE_clEvENKUlvE7_clEvEUlP25hiprandStatePhilox4_32_10E_ZNS1_27distribution_nullary_kernelIN3c104HalfEm15HIP_vector_typeIyLj2EES7_SF_ZZZNS5_IS7_EEvS9_mlSA_ENKSB_clEvENKSC_clEvEUlmE_EEvS9_T2_RKT3_T4_EUlimE_EEvlNS_15PhiloxCudaStateET1_SM_
    .private_segment_fixed_size: 0
    .sgpr_count:     25
    .sgpr_spill_count: 0
    .symbol:         _ZN2at6native12_GLOBAL__N_143distribution_elementwise_grid_stride_kernelImLi2EZZZNS0_9templates4cuda21random_from_to_kernelIPNS_17CUDAGeneratorImplEEEvRNS_18TensorIteratorBaseEmlT_ENKUlvE_clEvENKUlvE7_clEvEUlP25hiprandStatePhilox4_32_10E_ZNS1_27distribution_nullary_kernelIN3c104HalfEm15HIP_vector_typeIyLj2EES7_SF_ZZZNS5_IS7_EEvS9_mlSA_ENKSB_clEvENKSC_clEvEUlmE_EEvS9_T2_RKT3_T4_EUlimE_EEvlNS_15PhiloxCudaStateET1_SM_.kd
    .uniform_work_group_size: 1
    .uses_dynamic_stack: false
    .vgpr_count:     47
    .vgpr_spill_count: 0
    .wavefront_size: 32
    .workgroup_processor_mode: 1
  - .args:
      - .offset:         0
        .size:           8
        .value_kind:     by_value
      - .offset:         8
        .size:           32
        .value_kind:     by_value
      - .offset:         40
        .size:           1
        .value_kind:     by_value
      - .offset:         48
        .size:           288
        .value_kind:     by_value
      - .offset:         336
        .size:           4
        .value_kind:     hidden_block_count_x
      - .offset:         340
        .size:           4
        .value_kind:     hidden_block_count_y
      - .offset:         344
        .size:           4
        .value_kind:     hidden_block_count_z
      - .offset:         348
        .size:           2
        .value_kind:     hidden_group_size_x
      - .offset:         350
        .size:           2
        .value_kind:     hidden_group_size_y
      - .offset:         352
        .size:           2
        .value_kind:     hidden_group_size_z
      - .offset:         354
        .size:           2
        .value_kind:     hidden_remainder_x
      - .offset:         356
        .size:           2
        .value_kind:     hidden_remainder_y
      - .offset:         358
        .size:           2
        .value_kind:     hidden_remainder_z
      - .offset:         376
        .size:           8
        .value_kind:     hidden_global_offset_x
      - .offset:         384
        .size:           8
        .value_kind:     hidden_global_offset_y
      - .offset:         392
        .size:           8
        .value_kind:     hidden_global_offset_z
      - .offset:         400
        .size:           2
        .value_kind:     hidden_grid_dims
    .group_segment_fixed_size: 0
    .kernarg_segment_align: 8
    .kernarg_segment_size: 592
    .language:       OpenCL C
    .language_version:
      - 2
      - 0
    .max_flat_workgroup_size: 256
    .name:           _ZN2at6native12_GLOBAL__N_143distribution_elementwise_grid_stride_kernelImLi2EZZZNS0_9templates4cuda21random_from_to_kernelIPNS_17CUDAGeneratorImplEEEvRNS_18TensorIteratorBaseEmlT_ENKUlvE_clEvENKUlvE7_clEvEUlP25hiprandStatePhilox4_32_10E_ZNS1_27distribution_nullary_kernelIN3c104HalfEm15HIP_vector_typeIyLj2EES7_SF_ZZZNS5_IS7_EEvS9_mlSA_ENKSB_clEvENKSC_clEvEUlmE_EEvS9_T2_RKT3_T4_EUlimE0_EEvlNS_15PhiloxCudaStateET1_SM_
    .private_segment_fixed_size: 0
    .sgpr_count:     58
    .sgpr_spill_count: 0
    .symbol:         _ZN2at6native12_GLOBAL__N_143distribution_elementwise_grid_stride_kernelImLi2EZZZNS0_9templates4cuda21random_from_to_kernelIPNS_17CUDAGeneratorImplEEEvRNS_18TensorIteratorBaseEmlT_ENKUlvE_clEvENKUlvE7_clEvEUlP25hiprandStatePhilox4_32_10E_ZNS1_27distribution_nullary_kernelIN3c104HalfEm15HIP_vector_typeIyLj2EES7_SF_ZZZNS5_IS7_EEvS9_mlSA_ENKSB_clEvENKSC_clEvEUlmE_EEvS9_T2_RKT3_T4_EUlimE0_EEvlNS_15PhiloxCudaStateET1_SM_.kd
    .uniform_work_group_size: 1
    .uses_dynamic_stack: false
    .vgpr_count:     46
    .vgpr_spill_count: 0
    .wavefront_size: 32
    .workgroup_processor_mode: 1
  - .args:
      - .offset:         0
        .size:           8
        .value_kind:     by_value
      - .offset:         8
        .size:           32
        .value_kind:     by_value
      - .offset:         40
        .size:           1
        .value_kind:     by_value
      - .offset:         48
        .size:           32
        .value_kind:     by_value
      - .offset:         80
        .size:           4
        .value_kind:     hidden_block_count_x
      - .offset:         84
        .size:           4
        .value_kind:     hidden_block_count_y
      - .offset:         88
        .size:           4
        .value_kind:     hidden_block_count_z
      - .offset:         92
        .size:           2
        .value_kind:     hidden_group_size_x
      - .offset:         94
        .size:           2
        .value_kind:     hidden_group_size_y
      - .offset:         96
        .size:           2
        .value_kind:     hidden_group_size_z
      - .offset:         98
        .size:           2
        .value_kind:     hidden_remainder_x
      - .offset:         100
        .size:           2
        .value_kind:     hidden_remainder_y
      - .offset:         102
        .size:           2
        .value_kind:     hidden_remainder_z
      - .offset:         120
        .size:           8
        .value_kind:     hidden_global_offset_x
      - .offset:         128
        .size:           8
        .value_kind:     hidden_global_offset_y
      - .offset:         136
        .size:           8
        .value_kind:     hidden_global_offset_z
      - .offset:         144
        .size:           2
        .value_kind:     hidden_grid_dims
    .group_segment_fixed_size: 0
    .kernarg_segment_align: 8
    .kernarg_segment_size: 336
    .language:       OpenCL C
    .language_version:
      - 2
      - 0
    .max_flat_workgroup_size: 256
    .name:           _ZN2at6native12_GLOBAL__N_143distribution_elementwise_grid_stride_kernelIjLi4EZZZNS0_9templates4cuda21random_from_to_kernelIPNS_17CUDAGeneratorImplEEEvRNS_18TensorIteratorBaseEmlT_ENKUlvE_clEvENKUlvE7_clEvEUlP25hiprandStatePhilox4_32_10E0_ZNS1_27distribution_nullary_kernelIN3c104HalfEj15HIP_vector_typeIjLj4EES7_SF_ZZZNS5_IS7_EEvS9_mlSA_ENKSB_clEvENKSC_clEvEUljE_EEvS9_T2_RKT3_T4_EUlijE_EEvlNS_15PhiloxCudaStateET1_SM_
    .private_segment_fixed_size: 0
    .sgpr_count:     25
    .sgpr_spill_count: 0
    .symbol:         _ZN2at6native12_GLOBAL__N_143distribution_elementwise_grid_stride_kernelIjLi4EZZZNS0_9templates4cuda21random_from_to_kernelIPNS_17CUDAGeneratorImplEEEvRNS_18TensorIteratorBaseEmlT_ENKUlvE_clEvENKUlvE7_clEvEUlP25hiprandStatePhilox4_32_10E0_ZNS1_27distribution_nullary_kernelIN3c104HalfEj15HIP_vector_typeIjLj4EES7_SF_ZZZNS5_IS7_EEvS9_mlSA_ENKSB_clEvENKSC_clEvEUljE_EEvS9_T2_RKT3_T4_EUlijE_EEvlNS_15PhiloxCudaStateET1_SM_.kd
    .uniform_work_group_size: 1
    .uses_dynamic_stack: false
    .vgpr_count:     48
    .vgpr_spill_count: 0
    .wavefront_size: 32
    .workgroup_processor_mode: 1
  - .args:
      - .offset:         0
        .size:           8
        .value_kind:     by_value
      - .offset:         8
        .size:           32
        .value_kind:     by_value
      - .offset:         40
        .size:           1
        .value_kind:     by_value
      - .offset:         48
        .size:           288
        .value_kind:     by_value
      - .offset:         336
        .size:           4
        .value_kind:     hidden_block_count_x
      - .offset:         340
        .size:           4
        .value_kind:     hidden_block_count_y
      - .offset:         344
        .size:           4
        .value_kind:     hidden_block_count_z
      - .offset:         348
        .size:           2
        .value_kind:     hidden_group_size_x
      - .offset:         350
        .size:           2
        .value_kind:     hidden_group_size_y
      - .offset:         352
        .size:           2
        .value_kind:     hidden_group_size_z
      - .offset:         354
        .size:           2
        .value_kind:     hidden_remainder_x
      - .offset:         356
        .size:           2
        .value_kind:     hidden_remainder_y
      - .offset:         358
        .size:           2
        .value_kind:     hidden_remainder_z
      - .offset:         376
        .size:           8
        .value_kind:     hidden_global_offset_x
      - .offset:         384
        .size:           8
        .value_kind:     hidden_global_offset_y
      - .offset:         392
        .size:           8
        .value_kind:     hidden_global_offset_z
      - .offset:         400
        .size:           2
        .value_kind:     hidden_grid_dims
    .group_segment_fixed_size: 0
    .kernarg_segment_align: 8
    .kernarg_segment_size: 592
    .language:       OpenCL C
    .language_version:
      - 2
      - 0
    .max_flat_workgroup_size: 256
    .name:           _ZN2at6native12_GLOBAL__N_143distribution_elementwise_grid_stride_kernelIjLi4EZZZNS0_9templates4cuda21random_from_to_kernelIPNS_17CUDAGeneratorImplEEEvRNS_18TensorIteratorBaseEmlT_ENKUlvE_clEvENKUlvE7_clEvEUlP25hiprandStatePhilox4_32_10E0_ZNS1_27distribution_nullary_kernelIN3c104HalfEj15HIP_vector_typeIjLj4EES7_SF_ZZZNS5_IS7_EEvS9_mlSA_ENKSB_clEvENKSC_clEvEUljE_EEvS9_T2_RKT3_T4_EUlijE0_EEvlNS_15PhiloxCudaStateET1_SM_
    .private_segment_fixed_size: 0
    .sgpr_count:     62
    .sgpr_spill_count: 0
    .symbol:         _ZN2at6native12_GLOBAL__N_143distribution_elementwise_grid_stride_kernelIjLi4EZZZNS0_9templates4cuda21random_from_to_kernelIPNS_17CUDAGeneratorImplEEEvRNS_18TensorIteratorBaseEmlT_ENKUlvE_clEvENKUlvE7_clEvEUlP25hiprandStatePhilox4_32_10E0_ZNS1_27distribution_nullary_kernelIN3c104HalfEj15HIP_vector_typeIjLj4EES7_SF_ZZZNS5_IS7_EEvS9_mlSA_ENKSB_clEvENKSC_clEvEUljE_EEvS9_T2_RKT3_T4_EUlijE0_EEvlNS_15PhiloxCudaStateET1_SM_.kd
    .uniform_work_group_size: 1
    .uses_dynamic_stack: false
    .vgpr_count:     45
    .vgpr_spill_count: 0
    .wavefront_size: 32
    .workgroup_processor_mode: 1
  - .args:
      - .offset:         0
        .size:           8
        .value_kind:     by_value
      - .offset:         8
        .size:           32
        .value_kind:     by_value
      - .offset:         40
        .size:           1
        .value_kind:     by_value
      - .offset:         48
        .size:           32
        .value_kind:     by_value
      - .offset:         80
        .size:           4
        .value_kind:     hidden_block_count_x
      - .offset:         84
        .size:           4
        .value_kind:     hidden_block_count_y
      - .offset:         88
        .size:           4
        .value_kind:     hidden_block_count_z
      - .offset:         92
        .size:           2
        .value_kind:     hidden_group_size_x
      - .offset:         94
        .size:           2
        .value_kind:     hidden_group_size_y
      - .offset:         96
        .size:           2
        .value_kind:     hidden_group_size_z
      - .offset:         98
        .size:           2
        .value_kind:     hidden_remainder_x
      - .offset:         100
        .size:           2
        .value_kind:     hidden_remainder_y
      - .offset:         102
        .size:           2
        .value_kind:     hidden_remainder_z
      - .offset:         120
        .size:           8
        .value_kind:     hidden_global_offset_x
      - .offset:         128
        .size:           8
        .value_kind:     hidden_global_offset_y
      - .offset:         136
        .size:           8
        .value_kind:     hidden_global_offset_z
      - .offset:         144
        .size:           2
        .value_kind:     hidden_grid_dims
    .group_segment_fixed_size: 0
    .kernarg_segment_align: 8
    .kernarg_segment_size: 336
    .language:       OpenCL C
    .language_version:
      - 2
      - 0
    .max_flat_workgroup_size: 256
    .name:           _ZN2at6native12_GLOBAL__N_143distribution_elementwise_grid_stride_kernelImLi2EZZZNS0_9templates4cuda21random_from_to_kernelIPNS_17CUDAGeneratorImplEEEvRNS_18TensorIteratorBaseEmlT_ENKUlvE_clEvENKUlvE8_clEvEUlP25hiprandStatePhilox4_32_10E_ZNS1_27distribution_nullary_kernelIN3c108BFloat16Em15HIP_vector_typeIyLj2EES7_SF_ZZZNS5_IS7_EEvS9_mlSA_ENKSB_clEvENKSC_clEvEUlmE_EEvS9_T2_RKT3_T4_EUlimE_EEvlNS_15PhiloxCudaStateET1_SM_
    .private_segment_fixed_size: 0
    .sgpr_count:     25
    .sgpr_spill_count: 0
    .symbol:         _ZN2at6native12_GLOBAL__N_143distribution_elementwise_grid_stride_kernelImLi2EZZZNS0_9templates4cuda21random_from_to_kernelIPNS_17CUDAGeneratorImplEEEvRNS_18TensorIteratorBaseEmlT_ENKUlvE_clEvENKUlvE8_clEvEUlP25hiprandStatePhilox4_32_10E_ZNS1_27distribution_nullary_kernelIN3c108BFloat16Em15HIP_vector_typeIyLj2EES7_SF_ZZZNS5_IS7_EEvS9_mlSA_ENKSB_clEvENKSC_clEvEUlmE_EEvS9_T2_RKT3_T4_EUlimE_EEvlNS_15PhiloxCudaStateET1_SM_.kd
    .uniform_work_group_size: 1
    .uses_dynamic_stack: false
    .vgpr_count:     47
    .vgpr_spill_count: 0
    .wavefront_size: 32
    .workgroup_processor_mode: 1
  - .args:
      - .offset:         0
        .size:           8
        .value_kind:     by_value
      - .offset:         8
        .size:           32
        .value_kind:     by_value
      - .offset:         40
        .size:           1
        .value_kind:     by_value
      - .offset:         48
        .size:           288
        .value_kind:     by_value
      - .offset:         336
        .size:           4
        .value_kind:     hidden_block_count_x
      - .offset:         340
        .size:           4
        .value_kind:     hidden_block_count_y
      - .offset:         344
        .size:           4
        .value_kind:     hidden_block_count_z
      - .offset:         348
        .size:           2
        .value_kind:     hidden_group_size_x
      - .offset:         350
        .size:           2
        .value_kind:     hidden_group_size_y
      - .offset:         352
        .size:           2
        .value_kind:     hidden_group_size_z
      - .offset:         354
        .size:           2
        .value_kind:     hidden_remainder_x
      - .offset:         356
        .size:           2
        .value_kind:     hidden_remainder_y
      - .offset:         358
        .size:           2
        .value_kind:     hidden_remainder_z
      - .offset:         376
        .size:           8
        .value_kind:     hidden_global_offset_x
      - .offset:         384
        .size:           8
        .value_kind:     hidden_global_offset_y
      - .offset:         392
        .size:           8
        .value_kind:     hidden_global_offset_z
      - .offset:         400
        .size:           2
        .value_kind:     hidden_grid_dims
    .group_segment_fixed_size: 0
    .kernarg_segment_align: 8
    .kernarg_segment_size: 592
    .language:       OpenCL C
    .language_version:
      - 2
      - 0
    .max_flat_workgroup_size: 256
    .name:           _ZN2at6native12_GLOBAL__N_143distribution_elementwise_grid_stride_kernelImLi2EZZZNS0_9templates4cuda21random_from_to_kernelIPNS_17CUDAGeneratorImplEEEvRNS_18TensorIteratorBaseEmlT_ENKUlvE_clEvENKUlvE8_clEvEUlP25hiprandStatePhilox4_32_10E_ZNS1_27distribution_nullary_kernelIN3c108BFloat16Em15HIP_vector_typeIyLj2EES7_SF_ZZZNS5_IS7_EEvS9_mlSA_ENKSB_clEvENKSC_clEvEUlmE_EEvS9_T2_RKT3_T4_EUlimE0_EEvlNS_15PhiloxCudaStateET1_SM_
    .private_segment_fixed_size: 0
    .sgpr_count:     58
    .sgpr_spill_count: 0
    .symbol:         _ZN2at6native12_GLOBAL__N_143distribution_elementwise_grid_stride_kernelImLi2EZZZNS0_9templates4cuda21random_from_to_kernelIPNS_17CUDAGeneratorImplEEEvRNS_18TensorIteratorBaseEmlT_ENKUlvE_clEvENKUlvE8_clEvEUlP25hiprandStatePhilox4_32_10E_ZNS1_27distribution_nullary_kernelIN3c108BFloat16Em15HIP_vector_typeIyLj2EES7_SF_ZZZNS5_IS7_EEvS9_mlSA_ENKSB_clEvENKSC_clEvEUlmE_EEvS9_T2_RKT3_T4_EUlimE0_EEvlNS_15PhiloxCudaStateET1_SM_.kd
    .uniform_work_group_size: 1
    .uses_dynamic_stack: false
    .vgpr_count:     46
    .vgpr_spill_count: 0
    .wavefront_size: 32
    .workgroup_processor_mode: 1
  - .args:
      - .offset:         0
        .size:           8
        .value_kind:     by_value
      - .offset:         8
        .size:           32
        .value_kind:     by_value
      - .offset:         40
        .size:           1
        .value_kind:     by_value
      - .offset:         48
        .size:           32
        .value_kind:     by_value
      - .offset:         80
        .size:           4
        .value_kind:     hidden_block_count_x
      - .offset:         84
        .size:           4
        .value_kind:     hidden_block_count_y
      - .offset:         88
        .size:           4
        .value_kind:     hidden_block_count_z
      - .offset:         92
        .size:           2
        .value_kind:     hidden_group_size_x
      - .offset:         94
        .size:           2
        .value_kind:     hidden_group_size_y
      - .offset:         96
        .size:           2
        .value_kind:     hidden_group_size_z
      - .offset:         98
        .size:           2
        .value_kind:     hidden_remainder_x
      - .offset:         100
        .size:           2
        .value_kind:     hidden_remainder_y
      - .offset:         102
        .size:           2
        .value_kind:     hidden_remainder_z
      - .offset:         120
        .size:           8
        .value_kind:     hidden_global_offset_x
      - .offset:         128
        .size:           8
        .value_kind:     hidden_global_offset_y
      - .offset:         136
        .size:           8
        .value_kind:     hidden_global_offset_z
      - .offset:         144
        .size:           2
        .value_kind:     hidden_grid_dims
    .group_segment_fixed_size: 0
    .kernarg_segment_align: 8
    .kernarg_segment_size: 336
    .language:       OpenCL C
    .language_version:
      - 2
      - 0
    .max_flat_workgroup_size: 256
    .name:           _ZN2at6native12_GLOBAL__N_143distribution_elementwise_grid_stride_kernelIjLi4EZZZNS0_9templates4cuda21random_from_to_kernelIPNS_17CUDAGeneratorImplEEEvRNS_18TensorIteratorBaseEmlT_ENKUlvE_clEvENKUlvE8_clEvEUlP25hiprandStatePhilox4_32_10E0_ZNS1_27distribution_nullary_kernelIN3c108BFloat16Ej15HIP_vector_typeIjLj4EES7_SF_ZZZNS5_IS7_EEvS9_mlSA_ENKSB_clEvENKSC_clEvEUljE_EEvS9_T2_RKT3_T4_EUlijE_EEvlNS_15PhiloxCudaStateET1_SM_
    .private_segment_fixed_size: 0
    .sgpr_count:     25
    .sgpr_spill_count: 0
    .symbol:         _ZN2at6native12_GLOBAL__N_143distribution_elementwise_grid_stride_kernelIjLi4EZZZNS0_9templates4cuda21random_from_to_kernelIPNS_17CUDAGeneratorImplEEEvRNS_18TensorIteratorBaseEmlT_ENKUlvE_clEvENKUlvE8_clEvEUlP25hiprandStatePhilox4_32_10E0_ZNS1_27distribution_nullary_kernelIN3c108BFloat16Ej15HIP_vector_typeIjLj4EES7_SF_ZZZNS5_IS7_EEvS9_mlSA_ENKSB_clEvENKSC_clEvEUljE_EEvS9_T2_RKT3_T4_EUlijE_EEvlNS_15PhiloxCudaStateET1_SM_.kd
    .uniform_work_group_size: 1
    .uses_dynamic_stack: false
    .vgpr_count:     48
    .vgpr_spill_count: 0
    .wavefront_size: 32
    .workgroup_processor_mode: 1
  - .args:
      - .offset:         0
        .size:           8
        .value_kind:     by_value
      - .offset:         8
        .size:           32
        .value_kind:     by_value
      - .offset:         40
        .size:           1
        .value_kind:     by_value
      - .offset:         48
        .size:           288
        .value_kind:     by_value
      - .offset:         336
        .size:           4
        .value_kind:     hidden_block_count_x
      - .offset:         340
        .size:           4
        .value_kind:     hidden_block_count_y
      - .offset:         344
        .size:           4
        .value_kind:     hidden_block_count_z
      - .offset:         348
        .size:           2
        .value_kind:     hidden_group_size_x
      - .offset:         350
        .size:           2
        .value_kind:     hidden_group_size_y
      - .offset:         352
        .size:           2
        .value_kind:     hidden_group_size_z
      - .offset:         354
        .size:           2
        .value_kind:     hidden_remainder_x
      - .offset:         356
        .size:           2
        .value_kind:     hidden_remainder_y
      - .offset:         358
        .size:           2
        .value_kind:     hidden_remainder_z
      - .offset:         376
        .size:           8
        .value_kind:     hidden_global_offset_x
      - .offset:         384
        .size:           8
        .value_kind:     hidden_global_offset_y
      - .offset:         392
        .size:           8
        .value_kind:     hidden_global_offset_z
      - .offset:         400
        .size:           2
        .value_kind:     hidden_grid_dims
    .group_segment_fixed_size: 0
    .kernarg_segment_align: 8
    .kernarg_segment_size: 592
    .language:       OpenCL C
    .language_version:
      - 2
      - 0
    .max_flat_workgroup_size: 256
    .name:           _ZN2at6native12_GLOBAL__N_143distribution_elementwise_grid_stride_kernelIjLi4EZZZNS0_9templates4cuda21random_from_to_kernelIPNS_17CUDAGeneratorImplEEEvRNS_18TensorIteratorBaseEmlT_ENKUlvE_clEvENKUlvE8_clEvEUlP25hiprandStatePhilox4_32_10E0_ZNS1_27distribution_nullary_kernelIN3c108BFloat16Ej15HIP_vector_typeIjLj4EES7_SF_ZZZNS5_IS7_EEvS9_mlSA_ENKSB_clEvENKSC_clEvEUljE_EEvS9_T2_RKT3_T4_EUlijE0_EEvlNS_15PhiloxCudaStateET1_SM_
    .private_segment_fixed_size: 0
    .sgpr_count:     62
    .sgpr_spill_count: 0
    .symbol:         _ZN2at6native12_GLOBAL__N_143distribution_elementwise_grid_stride_kernelIjLi4EZZZNS0_9templates4cuda21random_from_to_kernelIPNS_17CUDAGeneratorImplEEEvRNS_18TensorIteratorBaseEmlT_ENKUlvE_clEvENKUlvE8_clEvEUlP25hiprandStatePhilox4_32_10E0_ZNS1_27distribution_nullary_kernelIN3c108BFloat16Ej15HIP_vector_typeIjLj4EES7_SF_ZZZNS5_IS7_EEvS9_mlSA_ENKSB_clEvENKSC_clEvEUljE_EEvS9_T2_RKT3_T4_EUlijE0_EEvlNS_15PhiloxCudaStateET1_SM_.kd
    .uniform_work_group_size: 1
    .uses_dynamic_stack: false
    .vgpr_count:     45
    .vgpr_spill_count: 0
    .wavefront_size: 32
    .workgroup_processor_mode: 1
  - .args:
      - .offset:         0
        .size:           8
        .value_kind:     by_value
      - .offset:         8
        .size:           32
        .value_kind:     by_value
      - .offset:         40
        .size:           1
        .value_kind:     by_value
      - .offset:         48
        .size:           32
        .value_kind:     by_value
      - .offset:         80
        .size:           4
        .value_kind:     hidden_block_count_x
      - .offset:         84
        .size:           4
        .value_kind:     hidden_block_count_y
      - .offset:         88
        .size:           4
        .value_kind:     hidden_block_count_z
      - .offset:         92
        .size:           2
        .value_kind:     hidden_group_size_x
      - .offset:         94
        .size:           2
        .value_kind:     hidden_group_size_y
      - .offset:         96
        .size:           2
        .value_kind:     hidden_group_size_z
      - .offset:         98
        .size:           2
        .value_kind:     hidden_remainder_x
      - .offset:         100
        .size:           2
        .value_kind:     hidden_remainder_y
      - .offset:         102
        .size:           2
        .value_kind:     hidden_remainder_z
      - .offset:         120
        .size:           8
        .value_kind:     hidden_global_offset_x
      - .offset:         128
        .size:           8
        .value_kind:     hidden_global_offset_y
      - .offset:         136
        .size:           8
        .value_kind:     hidden_global_offset_z
      - .offset:         144
        .size:           2
        .value_kind:     hidden_grid_dims
    .group_segment_fixed_size: 0
    .kernarg_segment_align: 8
    .kernarg_segment_size: 336
    .language:       OpenCL C
    .language_version:
      - 2
      - 0
    .max_flat_workgroup_size: 256
    .name:           _ZN2at6native12_GLOBAL__N_143distribution_elementwise_grid_stride_kernelImLi2EZZZNS0_9templates4cuda21random_from_to_kernelIPNS_17CUDAGeneratorImplEEEvRNS_18TensorIteratorBaseEmlT_ENKUlvE_clEvENKUlvE9_clEvEUlP25hiprandStatePhilox4_32_10E_ZNS1_27distribution_nullary_kernelItm15HIP_vector_typeIyLj2EES7_SF_ZZZNS5_IS7_EEvS9_mlSA_ENKSB_clEvENKSC_clEvEUlmE_EEvS9_T2_RKT3_T4_EUlimE_EEvlNS_15PhiloxCudaStateET1_SK_
    .private_segment_fixed_size: 0
    .sgpr_count:     25
    .sgpr_spill_count: 0
    .symbol:         _ZN2at6native12_GLOBAL__N_143distribution_elementwise_grid_stride_kernelImLi2EZZZNS0_9templates4cuda21random_from_to_kernelIPNS_17CUDAGeneratorImplEEEvRNS_18TensorIteratorBaseEmlT_ENKUlvE_clEvENKUlvE9_clEvEUlP25hiprandStatePhilox4_32_10E_ZNS1_27distribution_nullary_kernelItm15HIP_vector_typeIyLj2EES7_SF_ZZZNS5_IS7_EEvS9_mlSA_ENKSB_clEvENKSC_clEvEUlmE_EEvS9_T2_RKT3_T4_EUlimE_EEvlNS_15PhiloxCudaStateET1_SK_.kd
    .uniform_work_group_size: 1
    .uses_dynamic_stack: false
    .vgpr_count:     47
    .vgpr_spill_count: 0
    .wavefront_size: 32
    .workgroup_processor_mode: 1
  - .args:
      - .offset:         0
        .size:           8
        .value_kind:     by_value
      - .offset:         8
        .size:           32
        .value_kind:     by_value
      - .offset:         40
        .size:           1
        .value_kind:     by_value
      - .offset:         48
        .size:           288
        .value_kind:     by_value
      - .offset:         336
        .size:           4
        .value_kind:     hidden_block_count_x
      - .offset:         340
        .size:           4
        .value_kind:     hidden_block_count_y
      - .offset:         344
        .size:           4
        .value_kind:     hidden_block_count_z
      - .offset:         348
        .size:           2
        .value_kind:     hidden_group_size_x
      - .offset:         350
        .size:           2
        .value_kind:     hidden_group_size_y
      - .offset:         352
        .size:           2
        .value_kind:     hidden_group_size_z
      - .offset:         354
        .size:           2
        .value_kind:     hidden_remainder_x
      - .offset:         356
        .size:           2
        .value_kind:     hidden_remainder_y
      - .offset:         358
        .size:           2
        .value_kind:     hidden_remainder_z
      - .offset:         376
        .size:           8
        .value_kind:     hidden_global_offset_x
      - .offset:         384
        .size:           8
        .value_kind:     hidden_global_offset_y
      - .offset:         392
        .size:           8
        .value_kind:     hidden_global_offset_z
      - .offset:         400
        .size:           2
        .value_kind:     hidden_grid_dims
    .group_segment_fixed_size: 0
    .kernarg_segment_align: 8
    .kernarg_segment_size: 592
    .language:       OpenCL C
    .language_version:
      - 2
      - 0
    .max_flat_workgroup_size: 256
    .name:           _ZN2at6native12_GLOBAL__N_143distribution_elementwise_grid_stride_kernelImLi2EZZZNS0_9templates4cuda21random_from_to_kernelIPNS_17CUDAGeneratorImplEEEvRNS_18TensorIteratorBaseEmlT_ENKUlvE_clEvENKUlvE9_clEvEUlP25hiprandStatePhilox4_32_10E_ZNS1_27distribution_nullary_kernelItm15HIP_vector_typeIyLj2EES7_SF_ZZZNS5_IS7_EEvS9_mlSA_ENKSB_clEvENKSC_clEvEUlmE_EEvS9_T2_RKT3_T4_EUlimE0_EEvlNS_15PhiloxCudaStateET1_SK_
    .private_segment_fixed_size: 0
    .sgpr_count:     58
    .sgpr_spill_count: 0
    .symbol:         _ZN2at6native12_GLOBAL__N_143distribution_elementwise_grid_stride_kernelImLi2EZZZNS0_9templates4cuda21random_from_to_kernelIPNS_17CUDAGeneratorImplEEEvRNS_18TensorIteratorBaseEmlT_ENKUlvE_clEvENKUlvE9_clEvEUlP25hiprandStatePhilox4_32_10E_ZNS1_27distribution_nullary_kernelItm15HIP_vector_typeIyLj2EES7_SF_ZZZNS5_IS7_EEvS9_mlSA_ENKSB_clEvENKSC_clEvEUlmE_EEvS9_T2_RKT3_T4_EUlimE0_EEvlNS_15PhiloxCudaStateET1_SK_.kd
    .uniform_work_group_size: 1
    .uses_dynamic_stack: false
    .vgpr_count:     46
    .vgpr_spill_count: 0
    .wavefront_size: 32
    .workgroup_processor_mode: 1
  - .args:
      - .offset:         0
        .size:           8
        .value_kind:     by_value
      - .offset:         8
        .size:           32
        .value_kind:     by_value
      - .offset:         40
        .size:           1
        .value_kind:     by_value
      - .offset:         48
        .size:           32
        .value_kind:     by_value
      - .offset:         80
        .size:           4
        .value_kind:     hidden_block_count_x
      - .offset:         84
        .size:           4
        .value_kind:     hidden_block_count_y
      - .offset:         88
        .size:           4
        .value_kind:     hidden_block_count_z
      - .offset:         92
        .size:           2
        .value_kind:     hidden_group_size_x
      - .offset:         94
        .size:           2
        .value_kind:     hidden_group_size_y
      - .offset:         96
        .size:           2
        .value_kind:     hidden_group_size_z
      - .offset:         98
        .size:           2
        .value_kind:     hidden_remainder_x
      - .offset:         100
        .size:           2
        .value_kind:     hidden_remainder_y
      - .offset:         102
        .size:           2
        .value_kind:     hidden_remainder_z
      - .offset:         120
        .size:           8
        .value_kind:     hidden_global_offset_x
      - .offset:         128
        .size:           8
        .value_kind:     hidden_global_offset_y
      - .offset:         136
        .size:           8
        .value_kind:     hidden_global_offset_z
      - .offset:         144
        .size:           2
        .value_kind:     hidden_grid_dims
    .group_segment_fixed_size: 0
    .kernarg_segment_align: 8
    .kernarg_segment_size: 336
    .language:       OpenCL C
    .language_version:
      - 2
      - 0
    .max_flat_workgroup_size: 256
    .name:           _ZN2at6native12_GLOBAL__N_143distribution_elementwise_grid_stride_kernelIjLi4EZZZNS0_9templates4cuda21random_from_to_kernelIPNS_17CUDAGeneratorImplEEEvRNS_18TensorIteratorBaseEmlT_ENKUlvE_clEvENKUlvE9_clEvEUlP25hiprandStatePhilox4_32_10E0_ZNS1_27distribution_nullary_kernelItj15HIP_vector_typeIjLj4EES7_SF_ZZZNS5_IS7_EEvS9_mlSA_ENKSB_clEvENKSC_clEvEUljE_EEvS9_T2_RKT3_T4_EUlijE_EEvlNS_15PhiloxCudaStateET1_SK_
    .private_segment_fixed_size: 0
    .sgpr_count:     25
    .sgpr_spill_count: 0
    .symbol:         _ZN2at6native12_GLOBAL__N_143distribution_elementwise_grid_stride_kernelIjLi4EZZZNS0_9templates4cuda21random_from_to_kernelIPNS_17CUDAGeneratorImplEEEvRNS_18TensorIteratorBaseEmlT_ENKUlvE_clEvENKUlvE9_clEvEUlP25hiprandStatePhilox4_32_10E0_ZNS1_27distribution_nullary_kernelItj15HIP_vector_typeIjLj4EES7_SF_ZZZNS5_IS7_EEvS9_mlSA_ENKSB_clEvENKSC_clEvEUljE_EEvS9_T2_RKT3_T4_EUlijE_EEvlNS_15PhiloxCudaStateET1_SK_.kd
    .uniform_work_group_size: 1
    .uses_dynamic_stack: false
    .vgpr_count:     46
    .vgpr_spill_count: 0
    .wavefront_size: 32
    .workgroup_processor_mode: 1
  - .args:
      - .offset:         0
        .size:           8
        .value_kind:     by_value
      - .offset:         8
        .size:           32
        .value_kind:     by_value
      - .offset:         40
        .size:           1
        .value_kind:     by_value
      - .offset:         48
        .size:           288
        .value_kind:     by_value
      - .offset:         336
        .size:           4
        .value_kind:     hidden_block_count_x
      - .offset:         340
        .size:           4
        .value_kind:     hidden_block_count_y
      - .offset:         344
        .size:           4
        .value_kind:     hidden_block_count_z
      - .offset:         348
        .size:           2
        .value_kind:     hidden_group_size_x
      - .offset:         350
        .size:           2
        .value_kind:     hidden_group_size_y
      - .offset:         352
        .size:           2
        .value_kind:     hidden_group_size_z
      - .offset:         354
        .size:           2
        .value_kind:     hidden_remainder_x
      - .offset:         356
        .size:           2
        .value_kind:     hidden_remainder_y
      - .offset:         358
        .size:           2
        .value_kind:     hidden_remainder_z
      - .offset:         376
        .size:           8
        .value_kind:     hidden_global_offset_x
      - .offset:         384
        .size:           8
        .value_kind:     hidden_global_offset_y
      - .offset:         392
        .size:           8
        .value_kind:     hidden_global_offset_z
      - .offset:         400
        .size:           2
        .value_kind:     hidden_grid_dims
    .group_segment_fixed_size: 0
    .kernarg_segment_align: 8
    .kernarg_segment_size: 592
    .language:       OpenCL C
    .language_version:
      - 2
      - 0
    .max_flat_workgroup_size: 256
    .name:           _ZN2at6native12_GLOBAL__N_143distribution_elementwise_grid_stride_kernelIjLi4EZZZNS0_9templates4cuda21random_from_to_kernelIPNS_17CUDAGeneratorImplEEEvRNS_18TensorIteratorBaseEmlT_ENKUlvE_clEvENKUlvE9_clEvEUlP25hiprandStatePhilox4_32_10E0_ZNS1_27distribution_nullary_kernelItj15HIP_vector_typeIjLj4EES7_SF_ZZZNS5_IS7_EEvS9_mlSA_ENKSB_clEvENKSC_clEvEUljE_EEvS9_T2_RKT3_T4_EUlijE0_EEvlNS_15PhiloxCudaStateET1_SK_
    .private_segment_fixed_size: 0
    .sgpr_count:     58
    .sgpr_spill_count: 0
    .symbol:         _ZN2at6native12_GLOBAL__N_143distribution_elementwise_grid_stride_kernelIjLi4EZZZNS0_9templates4cuda21random_from_to_kernelIPNS_17CUDAGeneratorImplEEEvRNS_18TensorIteratorBaseEmlT_ENKUlvE_clEvENKUlvE9_clEvEUlP25hiprandStatePhilox4_32_10E0_ZNS1_27distribution_nullary_kernelItj15HIP_vector_typeIjLj4EES7_SF_ZZZNS5_IS7_EEvS9_mlSA_ENKSB_clEvENKSC_clEvEUljE_EEvS9_T2_RKT3_T4_EUlijE0_EEvlNS_15PhiloxCudaStateET1_SK_.kd
    .uniform_work_group_size: 1
    .uses_dynamic_stack: false
    .vgpr_count:     45
    .vgpr_spill_count: 0
    .wavefront_size: 32
    .workgroup_processor_mode: 1
  - .args:
      - .offset:         0
        .size:           8
        .value_kind:     by_value
      - .offset:         8
        .size:           32
        .value_kind:     by_value
      - .offset:         40
        .size:           1
        .value_kind:     by_value
      - .offset:         48
        .size:           32
        .value_kind:     by_value
      - .offset:         80
        .size:           4
        .value_kind:     hidden_block_count_x
      - .offset:         84
        .size:           4
        .value_kind:     hidden_block_count_y
      - .offset:         88
        .size:           4
        .value_kind:     hidden_block_count_z
      - .offset:         92
        .size:           2
        .value_kind:     hidden_group_size_x
      - .offset:         94
        .size:           2
        .value_kind:     hidden_group_size_y
      - .offset:         96
        .size:           2
        .value_kind:     hidden_group_size_z
      - .offset:         98
        .size:           2
        .value_kind:     hidden_remainder_x
      - .offset:         100
        .size:           2
        .value_kind:     hidden_remainder_y
      - .offset:         102
        .size:           2
        .value_kind:     hidden_remainder_z
      - .offset:         120
        .size:           8
        .value_kind:     hidden_global_offset_x
      - .offset:         128
        .size:           8
        .value_kind:     hidden_global_offset_y
      - .offset:         136
        .size:           8
        .value_kind:     hidden_global_offset_z
      - .offset:         144
        .size:           2
        .value_kind:     hidden_grid_dims
    .group_segment_fixed_size: 0
    .kernarg_segment_align: 8
    .kernarg_segment_size: 336
    .language:       OpenCL C
    .language_version:
      - 2
      - 0
    .max_flat_workgroup_size: 256
    .name:           _ZN2at6native12_GLOBAL__N_143distribution_elementwise_grid_stride_kernelImLi2EZZZNS0_9templates4cuda21random_from_to_kernelIPNS_17CUDAGeneratorImplEEEvRNS_18TensorIteratorBaseEmlT_ENKUlvE_clEvENKUlvE10_clEvEUlP25hiprandStatePhilox4_32_10E_ZNS1_27distribution_nullary_kernelIjm15HIP_vector_typeIyLj2EES7_SF_ZZZNS5_IS7_EEvS9_mlSA_ENKSB_clEvENKSC_clEvEUlmE_EEvS9_T2_RKT3_T4_EUlimE_EEvlNS_15PhiloxCudaStateET1_SK_
    .private_segment_fixed_size: 0
    .sgpr_count:     25
    .sgpr_spill_count: 0
    .symbol:         _ZN2at6native12_GLOBAL__N_143distribution_elementwise_grid_stride_kernelImLi2EZZZNS0_9templates4cuda21random_from_to_kernelIPNS_17CUDAGeneratorImplEEEvRNS_18TensorIteratorBaseEmlT_ENKUlvE_clEvENKUlvE10_clEvEUlP25hiprandStatePhilox4_32_10E_ZNS1_27distribution_nullary_kernelIjm15HIP_vector_typeIyLj2EES7_SF_ZZZNS5_IS7_EEvS9_mlSA_ENKSB_clEvENKSC_clEvEUlmE_EEvS9_T2_RKT3_T4_EUlimE_EEvlNS_15PhiloxCudaStateET1_SK_.kd
    .uniform_work_group_size: 1
    .uses_dynamic_stack: false
    .vgpr_count:     47
    .vgpr_spill_count: 0
    .wavefront_size: 32
    .workgroup_processor_mode: 1
  - .args:
      - .offset:         0
        .size:           8
        .value_kind:     by_value
      - .offset:         8
        .size:           32
        .value_kind:     by_value
      - .offset:         40
        .size:           1
        .value_kind:     by_value
      - .offset:         48
        .size:           288
        .value_kind:     by_value
      - .offset:         336
        .size:           4
        .value_kind:     hidden_block_count_x
      - .offset:         340
        .size:           4
        .value_kind:     hidden_block_count_y
      - .offset:         344
        .size:           4
        .value_kind:     hidden_block_count_z
      - .offset:         348
        .size:           2
        .value_kind:     hidden_group_size_x
      - .offset:         350
        .size:           2
        .value_kind:     hidden_group_size_y
      - .offset:         352
        .size:           2
        .value_kind:     hidden_group_size_z
      - .offset:         354
        .size:           2
        .value_kind:     hidden_remainder_x
      - .offset:         356
        .size:           2
        .value_kind:     hidden_remainder_y
      - .offset:         358
        .size:           2
        .value_kind:     hidden_remainder_z
      - .offset:         376
        .size:           8
        .value_kind:     hidden_global_offset_x
      - .offset:         384
        .size:           8
        .value_kind:     hidden_global_offset_y
      - .offset:         392
        .size:           8
        .value_kind:     hidden_global_offset_z
      - .offset:         400
        .size:           2
        .value_kind:     hidden_grid_dims
    .group_segment_fixed_size: 0
    .kernarg_segment_align: 8
    .kernarg_segment_size: 592
    .language:       OpenCL C
    .language_version:
      - 2
      - 0
    .max_flat_workgroup_size: 256
    .name:           _ZN2at6native12_GLOBAL__N_143distribution_elementwise_grid_stride_kernelImLi2EZZZNS0_9templates4cuda21random_from_to_kernelIPNS_17CUDAGeneratorImplEEEvRNS_18TensorIteratorBaseEmlT_ENKUlvE_clEvENKUlvE10_clEvEUlP25hiprandStatePhilox4_32_10E_ZNS1_27distribution_nullary_kernelIjm15HIP_vector_typeIyLj2EES7_SF_ZZZNS5_IS7_EEvS9_mlSA_ENKSB_clEvENKSC_clEvEUlmE_EEvS9_T2_RKT3_T4_EUlimE0_EEvlNS_15PhiloxCudaStateET1_SK_
    .private_segment_fixed_size: 0
    .sgpr_count:     58
    .sgpr_spill_count: 0
    .symbol:         _ZN2at6native12_GLOBAL__N_143distribution_elementwise_grid_stride_kernelImLi2EZZZNS0_9templates4cuda21random_from_to_kernelIPNS_17CUDAGeneratorImplEEEvRNS_18TensorIteratorBaseEmlT_ENKUlvE_clEvENKUlvE10_clEvEUlP25hiprandStatePhilox4_32_10E_ZNS1_27distribution_nullary_kernelIjm15HIP_vector_typeIyLj2EES7_SF_ZZZNS5_IS7_EEvS9_mlSA_ENKSB_clEvENKSC_clEvEUlmE_EEvS9_T2_RKT3_T4_EUlimE0_EEvlNS_15PhiloxCudaStateET1_SK_.kd
    .uniform_work_group_size: 1
    .uses_dynamic_stack: false
    .vgpr_count:     46
    .vgpr_spill_count: 0
    .wavefront_size: 32
    .workgroup_processor_mode: 1
  - .args:
      - .offset:         0
        .size:           8
        .value_kind:     by_value
      - .offset:         8
        .size:           32
        .value_kind:     by_value
      - .offset:         40
        .size:           1
        .value_kind:     by_value
      - .offset:         48
        .size:           32
        .value_kind:     by_value
      - .offset:         80
        .size:           4
        .value_kind:     hidden_block_count_x
      - .offset:         84
        .size:           4
        .value_kind:     hidden_block_count_y
      - .offset:         88
        .size:           4
        .value_kind:     hidden_block_count_z
      - .offset:         92
        .size:           2
        .value_kind:     hidden_group_size_x
      - .offset:         94
        .size:           2
        .value_kind:     hidden_group_size_y
      - .offset:         96
        .size:           2
        .value_kind:     hidden_group_size_z
      - .offset:         98
        .size:           2
        .value_kind:     hidden_remainder_x
      - .offset:         100
        .size:           2
        .value_kind:     hidden_remainder_y
      - .offset:         102
        .size:           2
        .value_kind:     hidden_remainder_z
      - .offset:         120
        .size:           8
        .value_kind:     hidden_global_offset_x
      - .offset:         128
        .size:           8
        .value_kind:     hidden_global_offset_y
      - .offset:         136
        .size:           8
        .value_kind:     hidden_global_offset_z
      - .offset:         144
        .size:           2
        .value_kind:     hidden_grid_dims
    .group_segment_fixed_size: 0
    .kernarg_segment_align: 8
    .kernarg_segment_size: 336
    .language:       OpenCL C
    .language_version:
      - 2
      - 0
    .max_flat_workgroup_size: 256
    .name:           _ZN2at6native12_GLOBAL__N_143distribution_elementwise_grid_stride_kernelIjLi4EZZZNS0_9templates4cuda21random_from_to_kernelIPNS_17CUDAGeneratorImplEEEvRNS_18TensorIteratorBaseEmlT_ENKUlvE_clEvENKUlvE10_clEvEUlP25hiprandStatePhilox4_32_10E0_ZNS1_27distribution_nullary_kernelIjj15HIP_vector_typeIjLj4EES7_SF_ZZZNS5_IS7_EEvS9_mlSA_ENKSB_clEvENKSC_clEvEUljE_EEvS9_T2_RKT3_T4_EUlijE_EEvlNS_15PhiloxCudaStateET1_SK_
    .private_segment_fixed_size: 0
    .sgpr_count:     25
    .sgpr_spill_count: 0
    .symbol:         _ZN2at6native12_GLOBAL__N_143distribution_elementwise_grid_stride_kernelIjLi4EZZZNS0_9templates4cuda21random_from_to_kernelIPNS_17CUDAGeneratorImplEEEvRNS_18TensorIteratorBaseEmlT_ENKUlvE_clEvENKUlvE10_clEvEUlP25hiprandStatePhilox4_32_10E0_ZNS1_27distribution_nullary_kernelIjj15HIP_vector_typeIjLj4EES7_SF_ZZZNS5_IS7_EEvS9_mlSA_ENKSB_clEvENKSC_clEvEUljE_EEvS9_T2_RKT3_T4_EUlijE_EEvlNS_15PhiloxCudaStateET1_SK_.kd
    .uniform_work_group_size: 1
    .uses_dynamic_stack: false
    .vgpr_count:     46
    .vgpr_spill_count: 0
    .wavefront_size: 32
    .workgroup_processor_mode: 1
  - .args:
      - .offset:         0
        .size:           8
        .value_kind:     by_value
      - .offset:         8
        .size:           32
        .value_kind:     by_value
      - .offset:         40
        .size:           1
        .value_kind:     by_value
      - .offset:         48
        .size:           288
        .value_kind:     by_value
      - .offset:         336
        .size:           4
        .value_kind:     hidden_block_count_x
      - .offset:         340
        .size:           4
        .value_kind:     hidden_block_count_y
      - .offset:         344
        .size:           4
        .value_kind:     hidden_block_count_z
      - .offset:         348
        .size:           2
        .value_kind:     hidden_group_size_x
      - .offset:         350
        .size:           2
        .value_kind:     hidden_group_size_y
      - .offset:         352
        .size:           2
        .value_kind:     hidden_group_size_z
      - .offset:         354
        .size:           2
        .value_kind:     hidden_remainder_x
      - .offset:         356
        .size:           2
        .value_kind:     hidden_remainder_y
      - .offset:         358
        .size:           2
        .value_kind:     hidden_remainder_z
      - .offset:         376
        .size:           8
        .value_kind:     hidden_global_offset_x
      - .offset:         384
        .size:           8
        .value_kind:     hidden_global_offset_y
      - .offset:         392
        .size:           8
        .value_kind:     hidden_global_offset_z
      - .offset:         400
        .size:           2
        .value_kind:     hidden_grid_dims
    .group_segment_fixed_size: 0
    .kernarg_segment_align: 8
    .kernarg_segment_size: 592
    .language:       OpenCL C
    .language_version:
      - 2
      - 0
    .max_flat_workgroup_size: 256
    .name:           _ZN2at6native12_GLOBAL__N_143distribution_elementwise_grid_stride_kernelIjLi4EZZZNS0_9templates4cuda21random_from_to_kernelIPNS_17CUDAGeneratorImplEEEvRNS_18TensorIteratorBaseEmlT_ENKUlvE_clEvENKUlvE10_clEvEUlP25hiprandStatePhilox4_32_10E0_ZNS1_27distribution_nullary_kernelIjj15HIP_vector_typeIjLj4EES7_SF_ZZZNS5_IS7_EEvS9_mlSA_ENKSB_clEvENKSC_clEvEUljE_EEvS9_T2_RKT3_T4_EUlijE0_EEvlNS_15PhiloxCudaStateET1_SK_
    .private_segment_fixed_size: 0
    .sgpr_count:     58
    .sgpr_spill_count: 0
    .symbol:         _ZN2at6native12_GLOBAL__N_143distribution_elementwise_grid_stride_kernelIjLi4EZZZNS0_9templates4cuda21random_from_to_kernelIPNS_17CUDAGeneratorImplEEEvRNS_18TensorIteratorBaseEmlT_ENKUlvE_clEvENKUlvE10_clEvEUlP25hiprandStatePhilox4_32_10E0_ZNS1_27distribution_nullary_kernelIjj15HIP_vector_typeIjLj4EES7_SF_ZZZNS5_IS7_EEvS9_mlSA_ENKSB_clEvENKSC_clEvEUljE_EEvS9_T2_RKT3_T4_EUlijE0_EEvlNS_15PhiloxCudaStateET1_SK_.kd
    .uniform_work_group_size: 1
    .uses_dynamic_stack: false
    .vgpr_count:     45
    .vgpr_spill_count: 0
    .wavefront_size: 32
    .workgroup_processor_mode: 1
  - .args:
      - .offset:         0
        .size:           8
        .value_kind:     by_value
      - .offset:         8
        .size:           32
        .value_kind:     by_value
      - .offset:         40
        .size:           1
        .value_kind:     by_value
      - .offset:         48
        .size:           32
        .value_kind:     by_value
      - .offset:         80
        .size:           4
        .value_kind:     hidden_block_count_x
      - .offset:         84
        .size:           4
        .value_kind:     hidden_block_count_y
      - .offset:         88
        .size:           4
        .value_kind:     hidden_block_count_z
      - .offset:         92
        .size:           2
        .value_kind:     hidden_group_size_x
      - .offset:         94
        .size:           2
        .value_kind:     hidden_group_size_y
      - .offset:         96
        .size:           2
        .value_kind:     hidden_group_size_z
      - .offset:         98
        .size:           2
        .value_kind:     hidden_remainder_x
      - .offset:         100
        .size:           2
        .value_kind:     hidden_remainder_y
      - .offset:         102
        .size:           2
        .value_kind:     hidden_remainder_z
      - .offset:         120
        .size:           8
        .value_kind:     hidden_global_offset_x
      - .offset:         128
        .size:           8
        .value_kind:     hidden_global_offset_y
      - .offset:         136
        .size:           8
        .value_kind:     hidden_global_offset_z
      - .offset:         144
        .size:           2
        .value_kind:     hidden_grid_dims
    .group_segment_fixed_size: 0
    .kernarg_segment_align: 8
    .kernarg_segment_size: 336
    .language:       OpenCL C
    .language_version:
      - 2
      - 0
    .max_flat_workgroup_size: 256
    .name:           _ZN2at6native12_GLOBAL__N_143distribution_elementwise_grid_stride_kernelImLi2EZZZNS0_9templates4cuda21random_from_to_kernelIPNS_17CUDAGeneratorImplEEEvRNS_18TensorIteratorBaseEmlT_ENKUlvE_clEvENKUlvE11_clEvEUlP25hiprandStatePhilox4_32_10E_ZNS1_27distribution_nullary_kernelImm15HIP_vector_typeIyLj2EES7_SF_ZZZNS5_IS7_EEvS9_mlSA_ENKSB_clEvENKSC_clEvEUlmE_EEvS9_T2_RKT3_T4_EUlimE_EEvlNS_15PhiloxCudaStateET1_SK_
    .private_segment_fixed_size: 0
    .sgpr_count:     25
    .sgpr_spill_count: 0
    .symbol:         _ZN2at6native12_GLOBAL__N_143distribution_elementwise_grid_stride_kernelImLi2EZZZNS0_9templates4cuda21random_from_to_kernelIPNS_17CUDAGeneratorImplEEEvRNS_18TensorIteratorBaseEmlT_ENKUlvE_clEvENKUlvE11_clEvEUlP25hiprandStatePhilox4_32_10E_ZNS1_27distribution_nullary_kernelImm15HIP_vector_typeIyLj2EES7_SF_ZZZNS5_IS7_EEvS9_mlSA_ENKSB_clEvENKSC_clEvEUlmE_EEvS9_T2_RKT3_T4_EUlimE_EEvlNS_15PhiloxCudaStateET1_SK_.kd
    .uniform_work_group_size: 1
    .uses_dynamic_stack: false
    .vgpr_count:     47
    .vgpr_spill_count: 0
    .wavefront_size: 32
    .workgroup_processor_mode: 1
  - .args:
      - .offset:         0
        .size:           8
        .value_kind:     by_value
      - .offset:         8
        .size:           32
        .value_kind:     by_value
      - .offset:         40
        .size:           1
        .value_kind:     by_value
      - .offset:         48
        .size:           288
        .value_kind:     by_value
      - .offset:         336
        .size:           4
        .value_kind:     hidden_block_count_x
      - .offset:         340
        .size:           4
        .value_kind:     hidden_block_count_y
      - .offset:         344
        .size:           4
        .value_kind:     hidden_block_count_z
      - .offset:         348
        .size:           2
        .value_kind:     hidden_group_size_x
      - .offset:         350
        .size:           2
        .value_kind:     hidden_group_size_y
      - .offset:         352
        .size:           2
        .value_kind:     hidden_group_size_z
      - .offset:         354
        .size:           2
        .value_kind:     hidden_remainder_x
      - .offset:         356
        .size:           2
        .value_kind:     hidden_remainder_y
      - .offset:         358
        .size:           2
        .value_kind:     hidden_remainder_z
      - .offset:         376
        .size:           8
        .value_kind:     hidden_global_offset_x
      - .offset:         384
        .size:           8
        .value_kind:     hidden_global_offset_y
      - .offset:         392
        .size:           8
        .value_kind:     hidden_global_offset_z
      - .offset:         400
        .size:           2
        .value_kind:     hidden_grid_dims
    .group_segment_fixed_size: 0
    .kernarg_segment_align: 8
    .kernarg_segment_size: 592
    .language:       OpenCL C
    .language_version:
      - 2
      - 0
    .max_flat_workgroup_size: 256
    .name:           _ZN2at6native12_GLOBAL__N_143distribution_elementwise_grid_stride_kernelImLi2EZZZNS0_9templates4cuda21random_from_to_kernelIPNS_17CUDAGeneratorImplEEEvRNS_18TensorIteratorBaseEmlT_ENKUlvE_clEvENKUlvE11_clEvEUlP25hiprandStatePhilox4_32_10E_ZNS1_27distribution_nullary_kernelImm15HIP_vector_typeIyLj2EES7_SF_ZZZNS5_IS7_EEvS9_mlSA_ENKSB_clEvENKSC_clEvEUlmE_EEvS9_T2_RKT3_T4_EUlimE0_EEvlNS_15PhiloxCudaStateET1_SK_
    .private_segment_fixed_size: 0
    .sgpr_count:     58
    .sgpr_spill_count: 0
    .symbol:         _ZN2at6native12_GLOBAL__N_143distribution_elementwise_grid_stride_kernelImLi2EZZZNS0_9templates4cuda21random_from_to_kernelIPNS_17CUDAGeneratorImplEEEvRNS_18TensorIteratorBaseEmlT_ENKUlvE_clEvENKUlvE11_clEvEUlP25hiprandStatePhilox4_32_10E_ZNS1_27distribution_nullary_kernelImm15HIP_vector_typeIyLj2EES7_SF_ZZZNS5_IS7_EEvS9_mlSA_ENKSB_clEvENKSC_clEvEUlmE_EEvS9_T2_RKT3_T4_EUlimE0_EEvlNS_15PhiloxCudaStateET1_SK_.kd
    .uniform_work_group_size: 1
    .uses_dynamic_stack: false
    .vgpr_count:     46
    .vgpr_spill_count: 0
    .wavefront_size: 32
    .workgroup_processor_mode: 1
  - .args:
      - .offset:         0
        .size:           8
        .value_kind:     by_value
      - .offset:         8
        .size:           32
        .value_kind:     by_value
      - .offset:         40
        .size:           1
        .value_kind:     by_value
      - .offset:         48
        .size:           32
        .value_kind:     by_value
      - .offset:         80
        .size:           4
        .value_kind:     hidden_block_count_x
      - .offset:         84
        .size:           4
        .value_kind:     hidden_block_count_y
      - .offset:         88
        .size:           4
        .value_kind:     hidden_block_count_z
      - .offset:         92
        .size:           2
        .value_kind:     hidden_group_size_x
      - .offset:         94
        .size:           2
        .value_kind:     hidden_group_size_y
      - .offset:         96
        .size:           2
        .value_kind:     hidden_group_size_z
      - .offset:         98
        .size:           2
        .value_kind:     hidden_remainder_x
      - .offset:         100
        .size:           2
        .value_kind:     hidden_remainder_y
      - .offset:         102
        .size:           2
        .value_kind:     hidden_remainder_z
      - .offset:         120
        .size:           8
        .value_kind:     hidden_global_offset_x
      - .offset:         128
        .size:           8
        .value_kind:     hidden_global_offset_y
      - .offset:         136
        .size:           8
        .value_kind:     hidden_global_offset_z
      - .offset:         144
        .size:           2
        .value_kind:     hidden_grid_dims
    .group_segment_fixed_size: 0
    .kernarg_segment_align: 8
    .kernarg_segment_size: 336
    .language:       OpenCL C
    .language_version:
      - 2
      - 0
    .max_flat_workgroup_size: 256
    .name:           _ZN2at6native12_GLOBAL__N_143distribution_elementwise_grid_stride_kernelIjLi4EZZZNS0_9templates4cuda21random_from_to_kernelIPNS_17CUDAGeneratorImplEEEvRNS_18TensorIteratorBaseEmlT_ENKUlvE_clEvENKUlvE11_clEvEUlP25hiprandStatePhilox4_32_10E0_ZNS1_27distribution_nullary_kernelImj15HIP_vector_typeIjLj4EES7_SF_ZZZNS5_IS7_EEvS9_mlSA_ENKSB_clEvENKSC_clEvEUljE_EEvS9_T2_RKT3_T4_EUlijE_EEvlNS_15PhiloxCudaStateET1_SK_
    .private_segment_fixed_size: 0
    .sgpr_count:     25
    .sgpr_spill_count: 0
    .symbol:         _ZN2at6native12_GLOBAL__N_143distribution_elementwise_grid_stride_kernelIjLi4EZZZNS0_9templates4cuda21random_from_to_kernelIPNS_17CUDAGeneratorImplEEEvRNS_18TensorIteratorBaseEmlT_ENKUlvE_clEvENKUlvE11_clEvEUlP25hiprandStatePhilox4_32_10E0_ZNS1_27distribution_nullary_kernelImj15HIP_vector_typeIjLj4EES7_SF_ZZZNS5_IS7_EEvS9_mlSA_ENKSB_clEvENKSC_clEvEUljE_EEvS9_T2_RKT3_T4_EUlijE_EEvlNS_15PhiloxCudaStateET1_SK_.kd
    .uniform_work_group_size: 1
    .uses_dynamic_stack: false
    .vgpr_count:     46
    .vgpr_spill_count: 0
    .wavefront_size: 32
    .workgroup_processor_mode: 1
  - .args:
      - .offset:         0
        .size:           8
        .value_kind:     by_value
      - .offset:         8
        .size:           32
        .value_kind:     by_value
      - .offset:         40
        .size:           1
        .value_kind:     by_value
      - .offset:         48
        .size:           288
        .value_kind:     by_value
      - .offset:         336
        .size:           4
        .value_kind:     hidden_block_count_x
      - .offset:         340
        .size:           4
        .value_kind:     hidden_block_count_y
      - .offset:         344
        .size:           4
        .value_kind:     hidden_block_count_z
      - .offset:         348
        .size:           2
        .value_kind:     hidden_group_size_x
      - .offset:         350
        .size:           2
        .value_kind:     hidden_group_size_y
      - .offset:         352
        .size:           2
        .value_kind:     hidden_group_size_z
      - .offset:         354
        .size:           2
        .value_kind:     hidden_remainder_x
      - .offset:         356
        .size:           2
        .value_kind:     hidden_remainder_y
      - .offset:         358
        .size:           2
        .value_kind:     hidden_remainder_z
      - .offset:         376
        .size:           8
        .value_kind:     hidden_global_offset_x
      - .offset:         384
        .size:           8
        .value_kind:     hidden_global_offset_y
      - .offset:         392
        .size:           8
        .value_kind:     hidden_global_offset_z
      - .offset:         400
        .size:           2
        .value_kind:     hidden_grid_dims
    .group_segment_fixed_size: 0
    .kernarg_segment_align: 8
    .kernarg_segment_size: 592
    .language:       OpenCL C
    .language_version:
      - 2
      - 0
    .max_flat_workgroup_size: 256
    .name:           _ZN2at6native12_GLOBAL__N_143distribution_elementwise_grid_stride_kernelIjLi4EZZZNS0_9templates4cuda21random_from_to_kernelIPNS_17CUDAGeneratorImplEEEvRNS_18TensorIteratorBaseEmlT_ENKUlvE_clEvENKUlvE11_clEvEUlP25hiprandStatePhilox4_32_10E0_ZNS1_27distribution_nullary_kernelImj15HIP_vector_typeIjLj4EES7_SF_ZZZNS5_IS7_EEvS9_mlSA_ENKSB_clEvENKSC_clEvEUljE_EEvS9_T2_RKT3_T4_EUlijE0_EEvlNS_15PhiloxCudaStateET1_SK_
    .private_segment_fixed_size: 0
    .sgpr_count:     62
    .sgpr_spill_count: 0
    .symbol:         _ZN2at6native12_GLOBAL__N_143distribution_elementwise_grid_stride_kernelIjLi4EZZZNS0_9templates4cuda21random_from_to_kernelIPNS_17CUDAGeneratorImplEEEvRNS_18TensorIteratorBaseEmlT_ENKUlvE_clEvENKUlvE11_clEvEUlP25hiprandStatePhilox4_32_10E0_ZNS1_27distribution_nullary_kernelImj15HIP_vector_typeIjLj4EES7_SF_ZZZNS5_IS7_EEvS9_mlSA_ENKSB_clEvENKSC_clEvEUljE_EEvS9_T2_RKT3_T4_EUlijE0_EEvlNS_15PhiloxCudaStateET1_SK_.kd
    .uniform_work_group_size: 1
    .uses_dynamic_stack: false
    .vgpr_count:     45
    .vgpr_spill_count: 0
    .wavefront_size: 32
    .workgroup_processor_mode: 1
  - .args:
      - .offset:         0
        .size:           8
        .value_kind:     by_value
      - .offset:         8
        .size:           32
        .value_kind:     by_value
      - .offset:         40
        .size:           1
        .value_kind:     by_value
      - .offset:         48
        .size:           16
        .value_kind:     by_value
      - .offset:         64
        .size:           4
        .value_kind:     hidden_block_count_x
      - .offset:         68
        .size:           4
        .value_kind:     hidden_block_count_y
      - .offset:         72
        .size:           4
        .value_kind:     hidden_block_count_z
      - .offset:         76
        .size:           2
        .value_kind:     hidden_group_size_x
      - .offset:         78
        .size:           2
        .value_kind:     hidden_group_size_y
      - .offset:         80
        .size:           2
        .value_kind:     hidden_group_size_z
      - .offset:         82
        .size:           2
        .value_kind:     hidden_remainder_x
      - .offset:         84
        .size:           2
        .value_kind:     hidden_remainder_y
      - .offset:         86
        .size:           2
        .value_kind:     hidden_remainder_z
      - .offset:         104
        .size:           8
        .value_kind:     hidden_global_offset_x
      - .offset:         112
        .size:           8
        .value_kind:     hidden_global_offset_y
      - .offset:         120
        .size:           8
        .value_kind:     hidden_global_offset_z
      - .offset:         128
        .size:           2
        .value_kind:     hidden_grid_dims
    .group_segment_fixed_size: 0
    .kernarg_segment_align: 8
    .kernarg_segment_size: 320
    .language:       OpenCL C
    .language_version:
      - 2
      - 0
    .max_flat_workgroup_size: 256
    .name:           _ZN2at6native12_GLOBAL__N_143distribution_elementwise_grid_stride_kernelImLi2EZZZNS0_9templates4cuda32random_full_64_bits_range_kernelIPNS_17CUDAGeneratorImplEEEvRNS_18TensorIteratorBaseET_ENKUlvE_clEvENKUlvE_clEvEUlP25hiprandStatePhilox4_32_10E_ZNS1_27distribution_nullary_kernelIhm15HIP_vector_typeIyLj2EES7_SF_ZZZNS5_IS7_EEvS9_SA_ENKSB_clEvENKSC_clEvEUlmE_EEvS9_T2_RKT3_T4_EUlimE_EEvlNS_15PhiloxCudaStateET1_SK_
    .private_segment_fixed_size: 0
    .sgpr_count:     25
    .sgpr_spill_count: 0
    .symbol:         _ZN2at6native12_GLOBAL__N_143distribution_elementwise_grid_stride_kernelImLi2EZZZNS0_9templates4cuda32random_full_64_bits_range_kernelIPNS_17CUDAGeneratorImplEEEvRNS_18TensorIteratorBaseET_ENKUlvE_clEvENKUlvE_clEvEUlP25hiprandStatePhilox4_32_10E_ZNS1_27distribution_nullary_kernelIhm15HIP_vector_typeIyLj2EES7_SF_ZZZNS5_IS7_EEvS9_SA_ENKSB_clEvENKSC_clEvEUlmE_EEvS9_T2_RKT3_T4_EUlimE_EEvlNS_15PhiloxCudaStateET1_SK_.kd
    .uniform_work_group_size: 1
    .uses_dynamic_stack: false
    .vgpr_count:     43
    .vgpr_spill_count: 0
    .wavefront_size: 32
    .workgroup_processor_mode: 1
  - .args:
      - .offset:         0
        .size:           8
        .value_kind:     by_value
      - .offset:         8
        .size:           32
        .value_kind:     by_value
      - .offset:         40
        .size:           1
        .value_kind:     by_value
      - .offset:         48
        .size:           280
        .value_kind:     by_value
      - .offset:         328
        .size:           4
        .value_kind:     hidden_block_count_x
      - .offset:         332
        .size:           4
        .value_kind:     hidden_block_count_y
      - .offset:         336
        .size:           4
        .value_kind:     hidden_block_count_z
      - .offset:         340
        .size:           2
        .value_kind:     hidden_group_size_x
      - .offset:         342
        .size:           2
        .value_kind:     hidden_group_size_y
      - .offset:         344
        .size:           2
        .value_kind:     hidden_group_size_z
      - .offset:         346
        .size:           2
        .value_kind:     hidden_remainder_x
      - .offset:         348
        .size:           2
        .value_kind:     hidden_remainder_y
      - .offset:         350
        .size:           2
        .value_kind:     hidden_remainder_z
      - .offset:         368
        .size:           8
        .value_kind:     hidden_global_offset_x
      - .offset:         376
        .size:           8
        .value_kind:     hidden_global_offset_y
      - .offset:         384
        .size:           8
        .value_kind:     hidden_global_offset_z
      - .offset:         392
        .size:           2
        .value_kind:     hidden_grid_dims
    .group_segment_fixed_size: 0
    .kernarg_segment_align: 8
    .kernarg_segment_size: 584
    .language:       OpenCL C
    .language_version:
      - 2
      - 0
    .max_flat_workgroup_size: 256
    .name:           _ZN2at6native12_GLOBAL__N_143distribution_elementwise_grid_stride_kernelImLi2EZZZNS0_9templates4cuda32random_full_64_bits_range_kernelIPNS_17CUDAGeneratorImplEEEvRNS_18TensorIteratorBaseET_ENKUlvE_clEvENKUlvE_clEvEUlP25hiprandStatePhilox4_32_10E_ZNS1_27distribution_nullary_kernelIhm15HIP_vector_typeIyLj2EES7_SF_ZZZNS5_IS7_EEvS9_SA_ENKSB_clEvENKSC_clEvEUlmE_EEvS9_T2_RKT3_T4_EUlimE0_EEvlNS_15PhiloxCudaStateET1_SK_
    .private_segment_fixed_size: 0
    .sgpr_count:     54
    .sgpr_spill_count: 0
    .symbol:         _ZN2at6native12_GLOBAL__N_143distribution_elementwise_grid_stride_kernelImLi2EZZZNS0_9templates4cuda32random_full_64_bits_range_kernelIPNS_17CUDAGeneratorImplEEEvRNS_18TensorIteratorBaseET_ENKUlvE_clEvENKUlvE_clEvEUlP25hiprandStatePhilox4_32_10E_ZNS1_27distribution_nullary_kernelIhm15HIP_vector_typeIyLj2EES7_SF_ZZZNS5_IS7_EEvS9_SA_ENKSB_clEvENKSC_clEvEUlmE_EEvS9_T2_RKT3_T4_EUlimE0_EEvlNS_15PhiloxCudaStateET1_SK_.kd
    .uniform_work_group_size: 1
    .uses_dynamic_stack: false
    .vgpr_count:     41
    .vgpr_spill_count: 0
    .wavefront_size: 32
    .workgroup_processor_mode: 1
  - .args:
      - .offset:         0
        .size:           8
        .value_kind:     by_value
      - .offset:         8
        .size:           32
        .value_kind:     by_value
      - .offset:         40
        .size:           1
        .value_kind:     by_value
      - .offset:         48
        .size:           16
        .value_kind:     by_value
      - .offset:         64
        .size:           4
        .value_kind:     hidden_block_count_x
      - .offset:         68
        .size:           4
        .value_kind:     hidden_block_count_y
      - .offset:         72
        .size:           4
        .value_kind:     hidden_block_count_z
      - .offset:         76
        .size:           2
        .value_kind:     hidden_group_size_x
      - .offset:         78
        .size:           2
        .value_kind:     hidden_group_size_y
      - .offset:         80
        .size:           2
        .value_kind:     hidden_group_size_z
      - .offset:         82
        .size:           2
        .value_kind:     hidden_remainder_x
      - .offset:         84
        .size:           2
        .value_kind:     hidden_remainder_y
      - .offset:         86
        .size:           2
        .value_kind:     hidden_remainder_z
      - .offset:         104
        .size:           8
        .value_kind:     hidden_global_offset_x
      - .offset:         112
        .size:           8
        .value_kind:     hidden_global_offset_y
      - .offset:         120
        .size:           8
        .value_kind:     hidden_global_offset_z
      - .offset:         128
        .size:           2
        .value_kind:     hidden_grid_dims
    .group_segment_fixed_size: 0
    .kernarg_segment_align: 8
    .kernarg_segment_size: 320
    .language:       OpenCL C
    .language_version:
      - 2
      - 0
    .max_flat_workgroup_size: 256
    .name:           _ZN2at6native12_GLOBAL__N_143distribution_elementwise_grid_stride_kernelImLi2EZZZNS0_9templates4cuda32random_full_64_bits_range_kernelIPNS_17CUDAGeneratorImplEEEvRNS_18TensorIteratorBaseET_ENKUlvE_clEvENKUlvE0_clEvEUlP25hiprandStatePhilox4_32_10E_ZNS1_27distribution_nullary_kernelIam15HIP_vector_typeIyLj2EES7_SF_ZZZNS5_IS7_EEvS9_SA_ENKSB_clEvENKSC_clEvEUlmE_EEvS9_T2_RKT3_T4_EUlimE_EEvlNS_15PhiloxCudaStateET1_SK_
    .private_segment_fixed_size: 0
    .sgpr_count:     25
    .sgpr_spill_count: 0
    .symbol:         _ZN2at6native12_GLOBAL__N_143distribution_elementwise_grid_stride_kernelImLi2EZZZNS0_9templates4cuda32random_full_64_bits_range_kernelIPNS_17CUDAGeneratorImplEEEvRNS_18TensorIteratorBaseET_ENKUlvE_clEvENKUlvE0_clEvEUlP25hiprandStatePhilox4_32_10E_ZNS1_27distribution_nullary_kernelIam15HIP_vector_typeIyLj2EES7_SF_ZZZNS5_IS7_EEvS9_SA_ENKSB_clEvENKSC_clEvEUlmE_EEvS9_T2_RKT3_T4_EUlimE_EEvlNS_15PhiloxCudaStateET1_SK_.kd
    .uniform_work_group_size: 1
    .uses_dynamic_stack: false
    .vgpr_count:     43
    .vgpr_spill_count: 0
    .wavefront_size: 32
    .workgroup_processor_mode: 1
  - .args:
      - .offset:         0
        .size:           8
        .value_kind:     by_value
      - .offset:         8
        .size:           32
        .value_kind:     by_value
      - .offset:         40
        .size:           1
        .value_kind:     by_value
      - .offset:         48
        .size:           280
        .value_kind:     by_value
      - .offset:         328
        .size:           4
        .value_kind:     hidden_block_count_x
      - .offset:         332
        .size:           4
        .value_kind:     hidden_block_count_y
      - .offset:         336
        .size:           4
        .value_kind:     hidden_block_count_z
      - .offset:         340
        .size:           2
        .value_kind:     hidden_group_size_x
      - .offset:         342
        .size:           2
        .value_kind:     hidden_group_size_y
      - .offset:         344
        .size:           2
        .value_kind:     hidden_group_size_z
      - .offset:         346
        .size:           2
        .value_kind:     hidden_remainder_x
      - .offset:         348
        .size:           2
        .value_kind:     hidden_remainder_y
      - .offset:         350
        .size:           2
        .value_kind:     hidden_remainder_z
      - .offset:         368
        .size:           8
        .value_kind:     hidden_global_offset_x
      - .offset:         376
        .size:           8
        .value_kind:     hidden_global_offset_y
      - .offset:         384
        .size:           8
        .value_kind:     hidden_global_offset_z
      - .offset:         392
        .size:           2
        .value_kind:     hidden_grid_dims
    .group_segment_fixed_size: 0
    .kernarg_segment_align: 8
    .kernarg_segment_size: 584
    .language:       OpenCL C
    .language_version:
      - 2
      - 0
    .max_flat_workgroup_size: 256
    .name:           _ZN2at6native12_GLOBAL__N_143distribution_elementwise_grid_stride_kernelImLi2EZZZNS0_9templates4cuda32random_full_64_bits_range_kernelIPNS_17CUDAGeneratorImplEEEvRNS_18TensorIteratorBaseET_ENKUlvE_clEvENKUlvE0_clEvEUlP25hiprandStatePhilox4_32_10E_ZNS1_27distribution_nullary_kernelIam15HIP_vector_typeIyLj2EES7_SF_ZZZNS5_IS7_EEvS9_SA_ENKSB_clEvENKSC_clEvEUlmE_EEvS9_T2_RKT3_T4_EUlimE0_EEvlNS_15PhiloxCudaStateET1_SK_
    .private_segment_fixed_size: 0
    .sgpr_count:     54
    .sgpr_spill_count: 0
    .symbol:         _ZN2at6native12_GLOBAL__N_143distribution_elementwise_grid_stride_kernelImLi2EZZZNS0_9templates4cuda32random_full_64_bits_range_kernelIPNS_17CUDAGeneratorImplEEEvRNS_18TensorIteratorBaseET_ENKUlvE_clEvENKUlvE0_clEvEUlP25hiprandStatePhilox4_32_10E_ZNS1_27distribution_nullary_kernelIam15HIP_vector_typeIyLj2EES7_SF_ZZZNS5_IS7_EEvS9_SA_ENKSB_clEvENKSC_clEvEUlmE_EEvS9_T2_RKT3_T4_EUlimE0_EEvlNS_15PhiloxCudaStateET1_SK_.kd
    .uniform_work_group_size: 1
    .uses_dynamic_stack: false
    .vgpr_count:     41
    .vgpr_spill_count: 0
    .wavefront_size: 32
    .workgroup_processor_mode: 1
  - .args:
      - .offset:         0
        .size:           8
        .value_kind:     by_value
      - .offset:         8
        .size:           32
        .value_kind:     by_value
      - .offset:         40
        .size:           1
        .value_kind:     by_value
      - .offset:         48
        .size:           16
        .value_kind:     by_value
      - .offset:         64
        .size:           4
        .value_kind:     hidden_block_count_x
      - .offset:         68
        .size:           4
        .value_kind:     hidden_block_count_y
      - .offset:         72
        .size:           4
        .value_kind:     hidden_block_count_z
      - .offset:         76
        .size:           2
        .value_kind:     hidden_group_size_x
      - .offset:         78
        .size:           2
        .value_kind:     hidden_group_size_y
      - .offset:         80
        .size:           2
        .value_kind:     hidden_group_size_z
      - .offset:         82
        .size:           2
        .value_kind:     hidden_remainder_x
      - .offset:         84
        .size:           2
        .value_kind:     hidden_remainder_y
      - .offset:         86
        .size:           2
        .value_kind:     hidden_remainder_z
      - .offset:         104
        .size:           8
        .value_kind:     hidden_global_offset_x
      - .offset:         112
        .size:           8
        .value_kind:     hidden_global_offset_y
      - .offset:         120
        .size:           8
        .value_kind:     hidden_global_offset_z
      - .offset:         128
        .size:           2
        .value_kind:     hidden_grid_dims
    .group_segment_fixed_size: 0
    .kernarg_segment_align: 8
    .kernarg_segment_size: 320
    .language:       OpenCL C
    .language_version:
      - 2
      - 0
    .max_flat_workgroup_size: 256
    .name:           _ZN2at6native12_GLOBAL__N_143distribution_elementwise_grid_stride_kernelImLi2EZZZNS0_9templates4cuda32random_full_64_bits_range_kernelIPNS_17CUDAGeneratorImplEEEvRNS_18TensorIteratorBaseET_ENKUlvE_clEvENKUlvE1_clEvEUlP25hiprandStatePhilox4_32_10E_ZNS1_27distribution_nullary_kernelIim15HIP_vector_typeIyLj2EES7_SF_ZZZNS5_IS7_EEvS9_SA_ENKSB_clEvENKSC_clEvEUlmE_EEvS9_T2_RKT3_T4_EUlimE_EEvlNS_15PhiloxCudaStateET1_SK_
    .private_segment_fixed_size: 0
    .sgpr_count:     25
    .sgpr_spill_count: 0
    .symbol:         _ZN2at6native12_GLOBAL__N_143distribution_elementwise_grid_stride_kernelImLi2EZZZNS0_9templates4cuda32random_full_64_bits_range_kernelIPNS_17CUDAGeneratorImplEEEvRNS_18TensorIteratorBaseET_ENKUlvE_clEvENKUlvE1_clEvEUlP25hiprandStatePhilox4_32_10E_ZNS1_27distribution_nullary_kernelIim15HIP_vector_typeIyLj2EES7_SF_ZZZNS5_IS7_EEvS9_SA_ENKSB_clEvENKSC_clEvEUlmE_EEvS9_T2_RKT3_T4_EUlimE_EEvlNS_15PhiloxCudaStateET1_SK_.kd
    .uniform_work_group_size: 1
    .uses_dynamic_stack: false
    .vgpr_count:     43
    .vgpr_spill_count: 0
    .wavefront_size: 32
    .workgroup_processor_mode: 1
  - .args:
      - .offset:         0
        .size:           8
        .value_kind:     by_value
      - .offset:         8
        .size:           32
        .value_kind:     by_value
      - .offset:         40
        .size:           1
        .value_kind:     by_value
      - .offset:         48
        .size:           280
        .value_kind:     by_value
      - .offset:         328
        .size:           4
        .value_kind:     hidden_block_count_x
      - .offset:         332
        .size:           4
        .value_kind:     hidden_block_count_y
      - .offset:         336
        .size:           4
        .value_kind:     hidden_block_count_z
      - .offset:         340
        .size:           2
        .value_kind:     hidden_group_size_x
      - .offset:         342
        .size:           2
        .value_kind:     hidden_group_size_y
      - .offset:         344
        .size:           2
        .value_kind:     hidden_group_size_z
      - .offset:         346
        .size:           2
        .value_kind:     hidden_remainder_x
      - .offset:         348
        .size:           2
        .value_kind:     hidden_remainder_y
      - .offset:         350
        .size:           2
        .value_kind:     hidden_remainder_z
      - .offset:         368
        .size:           8
        .value_kind:     hidden_global_offset_x
      - .offset:         376
        .size:           8
        .value_kind:     hidden_global_offset_y
      - .offset:         384
        .size:           8
        .value_kind:     hidden_global_offset_z
      - .offset:         392
        .size:           2
        .value_kind:     hidden_grid_dims
    .group_segment_fixed_size: 0
    .kernarg_segment_align: 8
    .kernarg_segment_size: 584
    .language:       OpenCL C
    .language_version:
      - 2
      - 0
    .max_flat_workgroup_size: 256
    .name:           _ZN2at6native12_GLOBAL__N_143distribution_elementwise_grid_stride_kernelImLi2EZZZNS0_9templates4cuda32random_full_64_bits_range_kernelIPNS_17CUDAGeneratorImplEEEvRNS_18TensorIteratorBaseET_ENKUlvE_clEvENKUlvE1_clEvEUlP25hiprandStatePhilox4_32_10E_ZNS1_27distribution_nullary_kernelIim15HIP_vector_typeIyLj2EES7_SF_ZZZNS5_IS7_EEvS9_SA_ENKSB_clEvENKSC_clEvEUlmE_EEvS9_T2_RKT3_T4_EUlimE0_EEvlNS_15PhiloxCudaStateET1_SK_
    .private_segment_fixed_size: 0
    .sgpr_count:     54
    .sgpr_spill_count: 0
    .symbol:         _ZN2at6native12_GLOBAL__N_143distribution_elementwise_grid_stride_kernelImLi2EZZZNS0_9templates4cuda32random_full_64_bits_range_kernelIPNS_17CUDAGeneratorImplEEEvRNS_18TensorIteratorBaseET_ENKUlvE_clEvENKUlvE1_clEvEUlP25hiprandStatePhilox4_32_10E_ZNS1_27distribution_nullary_kernelIim15HIP_vector_typeIyLj2EES7_SF_ZZZNS5_IS7_EEvS9_SA_ENKSB_clEvENKSC_clEvEUlmE_EEvS9_T2_RKT3_T4_EUlimE0_EEvlNS_15PhiloxCudaStateET1_SK_.kd
    .uniform_work_group_size: 1
    .uses_dynamic_stack: false
    .vgpr_count:     41
    .vgpr_spill_count: 0
    .wavefront_size: 32
    .workgroup_processor_mode: 1
  - .args:
      - .offset:         0
        .size:           8
        .value_kind:     by_value
      - .offset:         8
        .size:           32
        .value_kind:     by_value
      - .offset:         40
        .size:           1
        .value_kind:     by_value
      - .offset:         48
        .size:           16
        .value_kind:     by_value
      - .offset:         64
        .size:           4
        .value_kind:     hidden_block_count_x
      - .offset:         68
        .size:           4
        .value_kind:     hidden_block_count_y
      - .offset:         72
        .size:           4
        .value_kind:     hidden_block_count_z
      - .offset:         76
        .size:           2
        .value_kind:     hidden_group_size_x
      - .offset:         78
        .size:           2
        .value_kind:     hidden_group_size_y
      - .offset:         80
        .size:           2
        .value_kind:     hidden_group_size_z
      - .offset:         82
        .size:           2
        .value_kind:     hidden_remainder_x
      - .offset:         84
        .size:           2
        .value_kind:     hidden_remainder_y
      - .offset:         86
        .size:           2
        .value_kind:     hidden_remainder_z
      - .offset:         104
        .size:           8
        .value_kind:     hidden_global_offset_x
      - .offset:         112
        .size:           8
        .value_kind:     hidden_global_offset_y
      - .offset:         120
        .size:           8
        .value_kind:     hidden_global_offset_z
      - .offset:         128
        .size:           2
        .value_kind:     hidden_grid_dims
    .group_segment_fixed_size: 0
    .kernarg_segment_align: 8
    .kernarg_segment_size: 320
    .language:       OpenCL C
    .language_version:
      - 2
      - 0
    .max_flat_workgroup_size: 256
    .name:           _ZN2at6native12_GLOBAL__N_143distribution_elementwise_grid_stride_kernelImLi2EZZZNS0_9templates4cuda32random_full_64_bits_range_kernelIPNS_17CUDAGeneratorImplEEEvRNS_18TensorIteratorBaseET_ENKUlvE_clEvENKUlvE2_clEvEUlP25hiprandStatePhilox4_32_10E_ZNS1_27distribution_nullary_kernelIlm15HIP_vector_typeIyLj2EES7_SF_ZZZNS5_IS7_EEvS9_SA_ENKSB_clEvENKSC_clEvEUlmE_EEvS9_T2_RKT3_T4_EUlimE_EEvlNS_15PhiloxCudaStateET1_SK_
    .private_segment_fixed_size: 0
    .sgpr_count:     25
    .sgpr_spill_count: 0
    .symbol:         _ZN2at6native12_GLOBAL__N_143distribution_elementwise_grid_stride_kernelImLi2EZZZNS0_9templates4cuda32random_full_64_bits_range_kernelIPNS_17CUDAGeneratorImplEEEvRNS_18TensorIteratorBaseET_ENKUlvE_clEvENKUlvE2_clEvEUlP25hiprandStatePhilox4_32_10E_ZNS1_27distribution_nullary_kernelIlm15HIP_vector_typeIyLj2EES7_SF_ZZZNS5_IS7_EEvS9_SA_ENKSB_clEvENKSC_clEvEUlmE_EEvS9_T2_RKT3_T4_EUlimE_EEvlNS_15PhiloxCudaStateET1_SK_.kd
    .uniform_work_group_size: 1
    .uses_dynamic_stack: false
    .vgpr_count:     42
    .vgpr_spill_count: 0
    .wavefront_size: 32
    .workgroup_processor_mode: 1
  - .args:
      - .offset:         0
        .size:           8
        .value_kind:     by_value
      - .offset:         8
        .size:           32
        .value_kind:     by_value
      - .offset:         40
        .size:           1
        .value_kind:     by_value
      - .offset:         48
        .size:           280
        .value_kind:     by_value
      - .offset:         328
        .size:           4
        .value_kind:     hidden_block_count_x
      - .offset:         332
        .size:           4
        .value_kind:     hidden_block_count_y
      - .offset:         336
        .size:           4
        .value_kind:     hidden_block_count_z
      - .offset:         340
        .size:           2
        .value_kind:     hidden_group_size_x
      - .offset:         342
        .size:           2
        .value_kind:     hidden_group_size_y
      - .offset:         344
        .size:           2
        .value_kind:     hidden_group_size_z
      - .offset:         346
        .size:           2
        .value_kind:     hidden_remainder_x
      - .offset:         348
        .size:           2
        .value_kind:     hidden_remainder_y
      - .offset:         350
        .size:           2
        .value_kind:     hidden_remainder_z
      - .offset:         368
        .size:           8
        .value_kind:     hidden_global_offset_x
      - .offset:         376
        .size:           8
        .value_kind:     hidden_global_offset_y
      - .offset:         384
        .size:           8
        .value_kind:     hidden_global_offset_z
      - .offset:         392
        .size:           2
        .value_kind:     hidden_grid_dims
    .group_segment_fixed_size: 0
    .kernarg_segment_align: 8
    .kernarg_segment_size: 584
    .language:       OpenCL C
    .language_version:
      - 2
      - 0
    .max_flat_workgroup_size: 256
    .name:           _ZN2at6native12_GLOBAL__N_143distribution_elementwise_grid_stride_kernelImLi2EZZZNS0_9templates4cuda32random_full_64_bits_range_kernelIPNS_17CUDAGeneratorImplEEEvRNS_18TensorIteratorBaseET_ENKUlvE_clEvENKUlvE2_clEvEUlP25hiprandStatePhilox4_32_10E_ZNS1_27distribution_nullary_kernelIlm15HIP_vector_typeIyLj2EES7_SF_ZZZNS5_IS7_EEvS9_SA_ENKSB_clEvENKSC_clEvEUlmE_EEvS9_T2_RKT3_T4_EUlimE0_EEvlNS_15PhiloxCudaStateET1_SK_
    .private_segment_fixed_size: 0
    .sgpr_count:     54
    .sgpr_spill_count: 0
    .symbol:         _ZN2at6native12_GLOBAL__N_143distribution_elementwise_grid_stride_kernelImLi2EZZZNS0_9templates4cuda32random_full_64_bits_range_kernelIPNS_17CUDAGeneratorImplEEEvRNS_18TensorIteratorBaseET_ENKUlvE_clEvENKUlvE2_clEvEUlP25hiprandStatePhilox4_32_10E_ZNS1_27distribution_nullary_kernelIlm15HIP_vector_typeIyLj2EES7_SF_ZZZNS5_IS7_EEvS9_SA_ENKSB_clEvENKSC_clEvEUlmE_EEvS9_T2_RKT3_T4_EUlimE0_EEvlNS_15PhiloxCudaStateET1_SK_.kd
    .uniform_work_group_size: 1
    .uses_dynamic_stack: false
    .vgpr_count:     44
    .vgpr_spill_count: 0
    .wavefront_size: 32
    .workgroup_processor_mode: 1
  - .args:
      - .offset:         0
        .size:           8
        .value_kind:     by_value
      - .offset:         8
        .size:           32
        .value_kind:     by_value
      - .offset:         40
        .size:           1
        .value_kind:     by_value
      - .offset:         48
        .size:           16
        .value_kind:     by_value
      - .offset:         64
        .size:           4
        .value_kind:     hidden_block_count_x
      - .offset:         68
        .size:           4
        .value_kind:     hidden_block_count_y
      - .offset:         72
        .size:           4
        .value_kind:     hidden_block_count_z
      - .offset:         76
        .size:           2
        .value_kind:     hidden_group_size_x
      - .offset:         78
        .size:           2
        .value_kind:     hidden_group_size_y
      - .offset:         80
        .size:           2
        .value_kind:     hidden_group_size_z
      - .offset:         82
        .size:           2
        .value_kind:     hidden_remainder_x
      - .offset:         84
        .size:           2
        .value_kind:     hidden_remainder_y
      - .offset:         86
        .size:           2
        .value_kind:     hidden_remainder_z
      - .offset:         104
        .size:           8
        .value_kind:     hidden_global_offset_x
      - .offset:         112
        .size:           8
        .value_kind:     hidden_global_offset_y
      - .offset:         120
        .size:           8
        .value_kind:     hidden_global_offset_z
      - .offset:         128
        .size:           2
        .value_kind:     hidden_grid_dims
    .group_segment_fixed_size: 0
    .kernarg_segment_align: 8
    .kernarg_segment_size: 320
    .language:       OpenCL C
    .language_version:
      - 2
      - 0
    .max_flat_workgroup_size: 256
    .name:           _ZN2at6native12_GLOBAL__N_143distribution_elementwise_grid_stride_kernelImLi2EZZZNS0_9templates4cuda32random_full_64_bits_range_kernelIPNS_17CUDAGeneratorImplEEEvRNS_18TensorIteratorBaseET_ENKUlvE_clEvENKUlvE3_clEvEUlP25hiprandStatePhilox4_32_10E_ZNS1_27distribution_nullary_kernelIsm15HIP_vector_typeIyLj2EES7_SF_ZZZNS5_IS7_EEvS9_SA_ENKSB_clEvENKSC_clEvEUlmE_EEvS9_T2_RKT3_T4_EUlimE_EEvlNS_15PhiloxCudaStateET1_SK_
    .private_segment_fixed_size: 0
    .sgpr_count:     25
    .sgpr_spill_count: 0
    .symbol:         _ZN2at6native12_GLOBAL__N_143distribution_elementwise_grid_stride_kernelImLi2EZZZNS0_9templates4cuda32random_full_64_bits_range_kernelIPNS_17CUDAGeneratorImplEEEvRNS_18TensorIteratorBaseET_ENKUlvE_clEvENKUlvE3_clEvEUlP25hiprandStatePhilox4_32_10E_ZNS1_27distribution_nullary_kernelIsm15HIP_vector_typeIyLj2EES7_SF_ZZZNS5_IS7_EEvS9_SA_ENKSB_clEvENKSC_clEvEUlmE_EEvS9_T2_RKT3_T4_EUlimE_EEvlNS_15PhiloxCudaStateET1_SK_.kd
    .uniform_work_group_size: 1
    .uses_dynamic_stack: false
    .vgpr_count:     43
    .vgpr_spill_count: 0
    .wavefront_size: 32
    .workgroup_processor_mode: 1
  - .args:
      - .offset:         0
        .size:           8
        .value_kind:     by_value
      - .offset:         8
        .size:           32
        .value_kind:     by_value
      - .offset:         40
        .size:           1
        .value_kind:     by_value
      - .offset:         48
        .size:           280
        .value_kind:     by_value
      - .offset:         328
        .size:           4
        .value_kind:     hidden_block_count_x
      - .offset:         332
        .size:           4
        .value_kind:     hidden_block_count_y
      - .offset:         336
        .size:           4
        .value_kind:     hidden_block_count_z
      - .offset:         340
        .size:           2
        .value_kind:     hidden_group_size_x
      - .offset:         342
        .size:           2
        .value_kind:     hidden_group_size_y
      - .offset:         344
        .size:           2
        .value_kind:     hidden_group_size_z
      - .offset:         346
        .size:           2
        .value_kind:     hidden_remainder_x
      - .offset:         348
        .size:           2
        .value_kind:     hidden_remainder_y
      - .offset:         350
        .size:           2
        .value_kind:     hidden_remainder_z
      - .offset:         368
        .size:           8
        .value_kind:     hidden_global_offset_x
      - .offset:         376
        .size:           8
        .value_kind:     hidden_global_offset_y
      - .offset:         384
        .size:           8
        .value_kind:     hidden_global_offset_z
      - .offset:         392
        .size:           2
        .value_kind:     hidden_grid_dims
    .group_segment_fixed_size: 0
    .kernarg_segment_align: 8
    .kernarg_segment_size: 584
    .language:       OpenCL C
    .language_version:
      - 2
      - 0
    .max_flat_workgroup_size: 256
    .name:           _ZN2at6native12_GLOBAL__N_143distribution_elementwise_grid_stride_kernelImLi2EZZZNS0_9templates4cuda32random_full_64_bits_range_kernelIPNS_17CUDAGeneratorImplEEEvRNS_18TensorIteratorBaseET_ENKUlvE_clEvENKUlvE3_clEvEUlP25hiprandStatePhilox4_32_10E_ZNS1_27distribution_nullary_kernelIsm15HIP_vector_typeIyLj2EES7_SF_ZZZNS5_IS7_EEvS9_SA_ENKSB_clEvENKSC_clEvEUlmE_EEvS9_T2_RKT3_T4_EUlimE0_EEvlNS_15PhiloxCudaStateET1_SK_
    .private_segment_fixed_size: 0
    .sgpr_count:     54
    .sgpr_spill_count: 0
    .symbol:         _ZN2at6native12_GLOBAL__N_143distribution_elementwise_grid_stride_kernelImLi2EZZZNS0_9templates4cuda32random_full_64_bits_range_kernelIPNS_17CUDAGeneratorImplEEEvRNS_18TensorIteratorBaseET_ENKUlvE_clEvENKUlvE3_clEvEUlP25hiprandStatePhilox4_32_10E_ZNS1_27distribution_nullary_kernelIsm15HIP_vector_typeIyLj2EES7_SF_ZZZNS5_IS7_EEvS9_SA_ENKSB_clEvENKSC_clEvEUlmE_EEvS9_T2_RKT3_T4_EUlimE0_EEvlNS_15PhiloxCudaStateET1_SK_.kd
    .uniform_work_group_size: 1
    .uses_dynamic_stack: false
    .vgpr_count:     41
    .vgpr_spill_count: 0
    .wavefront_size: 32
    .workgroup_processor_mode: 1
  - .args:
      - .offset:         0
        .size:           8
        .value_kind:     by_value
      - .offset:         8
        .size:           32
        .value_kind:     by_value
      - .offset:         40
        .size:           1
        .value_kind:     by_value
      - .offset:         48
        .size:           16
        .value_kind:     by_value
      - .offset:         64
        .size:           4
        .value_kind:     hidden_block_count_x
      - .offset:         68
        .size:           4
        .value_kind:     hidden_block_count_y
      - .offset:         72
        .size:           4
        .value_kind:     hidden_block_count_z
      - .offset:         76
        .size:           2
        .value_kind:     hidden_group_size_x
      - .offset:         78
        .size:           2
        .value_kind:     hidden_group_size_y
      - .offset:         80
        .size:           2
        .value_kind:     hidden_group_size_z
      - .offset:         82
        .size:           2
        .value_kind:     hidden_remainder_x
      - .offset:         84
        .size:           2
        .value_kind:     hidden_remainder_y
      - .offset:         86
        .size:           2
        .value_kind:     hidden_remainder_z
      - .offset:         104
        .size:           8
        .value_kind:     hidden_global_offset_x
      - .offset:         112
        .size:           8
        .value_kind:     hidden_global_offset_y
      - .offset:         120
        .size:           8
        .value_kind:     hidden_global_offset_z
      - .offset:         128
        .size:           2
        .value_kind:     hidden_grid_dims
    .group_segment_fixed_size: 0
    .kernarg_segment_align: 8
    .kernarg_segment_size: 320
    .language:       OpenCL C
    .language_version:
      - 2
      - 0
    .max_flat_workgroup_size: 256
    .name:           _ZN2at6native12_GLOBAL__N_143distribution_elementwise_grid_stride_kernelImLi2EZZZNS0_9templates4cuda32random_full_64_bits_range_kernelIPNS_17CUDAGeneratorImplEEEvRNS_18TensorIteratorBaseET_ENKUlvE_clEvENKUlvE4_clEvEUlP25hiprandStatePhilox4_32_10E_ZNS1_27distribution_nullary_kernelIdm15HIP_vector_typeIyLj2EES7_SF_ZZZNS5_IS7_EEvS9_SA_ENKSB_clEvENKSC_clEvEUlmE_EEvS9_T2_RKT3_T4_EUlimE_EEvlNS_15PhiloxCudaStateET1_SK_
    .private_segment_fixed_size: 0
    .sgpr_count:     25
    .sgpr_spill_count: 0
    .symbol:         _ZN2at6native12_GLOBAL__N_143distribution_elementwise_grid_stride_kernelImLi2EZZZNS0_9templates4cuda32random_full_64_bits_range_kernelIPNS_17CUDAGeneratorImplEEEvRNS_18TensorIteratorBaseET_ENKUlvE_clEvENKUlvE4_clEvEUlP25hiprandStatePhilox4_32_10E_ZNS1_27distribution_nullary_kernelIdm15HIP_vector_typeIyLj2EES7_SF_ZZZNS5_IS7_EEvS9_SA_ENKSB_clEvENKSC_clEvEUlmE_EEvS9_T2_RKT3_T4_EUlimE_EEvlNS_15PhiloxCudaStateET1_SK_.kd
    .uniform_work_group_size: 1
    .uses_dynamic_stack: false
    .vgpr_count:     42
    .vgpr_spill_count: 0
    .wavefront_size: 32
    .workgroup_processor_mode: 1
  - .args:
      - .offset:         0
        .size:           8
        .value_kind:     by_value
      - .offset:         8
        .size:           32
        .value_kind:     by_value
      - .offset:         40
        .size:           1
        .value_kind:     by_value
      - .offset:         48
        .size:           280
        .value_kind:     by_value
      - .offset:         328
        .size:           4
        .value_kind:     hidden_block_count_x
      - .offset:         332
        .size:           4
        .value_kind:     hidden_block_count_y
      - .offset:         336
        .size:           4
        .value_kind:     hidden_block_count_z
      - .offset:         340
        .size:           2
        .value_kind:     hidden_group_size_x
      - .offset:         342
        .size:           2
        .value_kind:     hidden_group_size_y
      - .offset:         344
        .size:           2
        .value_kind:     hidden_group_size_z
      - .offset:         346
        .size:           2
        .value_kind:     hidden_remainder_x
      - .offset:         348
        .size:           2
        .value_kind:     hidden_remainder_y
      - .offset:         350
        .size:           2
        .value_kind:     hidden_remainder_z
      - .offset:         368
        .size:           8
        .value_kind:     hidden_global_offset_x
      - .offset:         376
        .size:           8
        .value_kind:     hidden_global_offset_y
      - .offset:         384
        .size:           8
        .value_kind:     hidden_global_offset_z
      - .offset:         392
        .size:           2
        .value_kind:     hidden_grid_dims
    .group_segment_fixed_size: 0
    .kernarg_segment_align: 8
    .kernarg_segment_size: 584
    .language:       OpenCL C
    .language_version:
      - 2
      - 0
    .max_flat_workgroup_size: 256
    .name:           _ZN2at6native12_GLOBAL__N_143distribution_elementwise_grid_stride_kernelImLi2EZZZNS0_9templates4cuda32random_full_64_bits_range_kernelIPNS_17CUDAGeneratorImplEEEvRNS_18TensorIteratorBaseET_ENKUlvE_clEvENKUlvE4_clEvEUlP25hiprandStatePhilox4_32_10E_ZNS1_27distribution_nullary_kernelIdm15HIP_vector_typeIyLj2EES7_SF_ZZZNS5_IS7_EEvS9_SA_ENKSB_clEvENKSC_clEvEUlmE_EEvS9_T2_RKT3_T4_EUlimE0_EEvlNS_15PhiloxCudaStateET1_SK_
    .private_segment_fixed_size: 0
    .sgpr_count:     54
    .sgpr_spill_count: 0
    .symbol:         _ZN2at6native12_GLOBAL__N_143distribution_elementwise_grid_stride_kernelImLi2EZZZNS0_9templates4cuda32random_full_64_bits_range_kernelIPNS_17CUDAGeneratorImplEEEvRNS_18TensorIteratorBaseET_ENKUlvE_clEvENKUlvE4_clEvEUlP25hiprandStatePhilox4_32_10E_ZNS1_27distribution_nullary_kernelIdm15HIP_vector_typeIyLj2EES7_SF_ZZZNS5_IS7_EEvS9_SA_ENKSB_clEvENKSC_clEvEUlmE_EEvS9_T2_RKT3_T4_EUlimE0_EEvlNS_15PhiloxCudaStateET1_SK_.kd
    .uniform_work_group_size: 1
    .uses_dynamic_stack: false
    .vgpr_count:     44
    .vgpr_spill_count: 0
    .wavefront_size: 32
    .workgroup_processor_mode: 1
  - .args:
      - .offset:         0
        .size:           8
        .value_kind:     by_value
      - .offset:         8
        .size:           32
        .value_kind:     by_value
      - .offset:         40
        .size:           1
        .value_kind:     by_value
      - .offset:         48
        .size:           16
        .value_kind:     by_value
      - .offset:         64
        .size:           4
        .value_kind:     hidden_block_count_x
      - .offset:         68
        .size:           4
        .value_kind:     hidden_block_count_y
      - .offset:         72
        .size:           4
        .value_kind:     hidden_block_count_z
      - .offset:         76
        .size:           2
        .value_kind:     hidden_group_size_x
      - .offset:         78
        .size:           2
        .value_kind:     hidden_group_size_y
      - .offset:         80
        .size:           2
        .value_kind:     hidden_group_size_z
      - .offset:         82
        .size:           2
        .value_kind:     hidden_remainder_x
      - .offset:         84
        .size:           2
        .value_kind:     hidden_remainder_y
      - .offset:         86
        .size:           2
        .value_kind:     hidden_remainder_z
      - .offset:         104
        .size:           8
        .value_kind:     hidden_global_offset_x
      - .offset:         112
        .size:           8
        .value_kind:     hidden_global_offset_y
      - .offset:         120
        .size:           8
        .value_kind:     hidden_global_offset_z
      - .offset:         128
        .size:           2
        .value_kind:     hidden_grid_dims
    .group_segment_fixed_size: 0
    .kernarg_segment_align: 8
    .kernarg_segment_size: 320
    .language:       OpenCL C
    .language_version:
      - 2
      - 0
    .max_flat_workgroup_size: 256
    .name:           _ZN2at6native12_GLOBAL__N_143distribution_elementwise_grid_stride_kernelImLi2EZZZNS0_9templates4cuda32random_full_64_bits_range_kernelIPNS_17CUDAGeneratorImplEEEvRNS_18TensorIteratorBaseET_ENKUlvE_clEvENKUlvE5_clEvEUlP25hiprandStatePhilox4_32_10E_ZNS1_27distribution_nullary_kernelIfm15HIP_vector_typeIyLj2EES7_SF_ZZZNS5_IS7_EEvS9_SA_ENKSB_clEvENKSC_clEvEUlmE_EEvS9_T2_RKT3_T4_EUlimE_EEvlNS_15PhiloxCudaStateET1_SK_
    .private_segment_fixed_size: 0
    .sgpr_count:     25
    .sgpr_spill_count: 0
    .symbol:         _ZN2at6native12_GLOBAL__N_143distribution_elementwise_grid_stride_kernelImLi2EZZZNS0_9templates4cuda32random_full_64_bits_range_kernelIPNS_17CUDAGeneratorImplEEEvRNS_18TensorIteratorBaseET_ENKUlvE_clEvENKUlvE5_clEvEUlP25hiprandStatePhilox4_32_10E_ZNS1_27distribution_nullary_kernelIfm15HIP_vector_typeIyLj2EES7_SF_ZZZNS5_IS7_EEvS9_SA_ENKSB_clEvENKSC_clEvEUlmE_EEvS9_T2_RKT3_T4_EUlimE_EEvlNS_15PhiloxCudaStateET1_SK_.kd
    .uniform_work_group_size: 1
    .uses_dynamic_stack: false
    .vgpr_count:     42
    .vgpr_spill_count: 0
    .wavefront_size: 32
    .workgroup_processor_mode: 1
  - .args:
      - .offset:         0
        .size:           8
        .value_kind:     by_value
      - .offset:         8
        .size:           32
        .value_kind:     by_value
      - .offset:         40
        .size:           1
        .value_kind:     by_value
      - .offset:         48
        .size:           280
        .value_kind:     by_value
      - .offset:         328
        .size:           4
        .value_kind:     hidden_block_count_x
      - .offset:         332
        .size:           4
        .value_kind:     hidden_block_count_y
      - .offset:         336
        .size:           4
        .value_kind:     hidden_block_count_z
      - .offset:         340
        .size:           2
        .value_kind:     hidden_group_size_x
      - .offset:         342
        .size:           2
        .value_kind:     hidden_group_size_y
      - .offset:         344
        .size:           2
        .value_kind:     hidden_group_size_z
      - .offset:         346
        .size:           2
        .value_kind:     hidden_remainder_x
      - .offset:         348
        .size:           2
        .value_kind:     hidden_remainder_y
      - .offset:         350
        .size:           2
        .value_kind:     hidden_remainder_z
      - .offset:         368
        .size:           8
        .value_kind:     hidden_global_offset_x
      - .offset:         376
        .size:           8
        .value_kind:     hidden_global_offset_y
      - .offset:         384
        .size:           8
        .value_kind:     hidden_global_offset_z
      - .offset:         392
        .size:           2
        .value_kind:     hidden_grid_dims
    .group_segment_fixed_size: 0
    .kernarg_segment_align: 8
    .kernarg_segment_size: 584
    .language:       OpenCL C
    .language_version:
      - 2
      - 0
    .max_flat_workgroup_size: 256
    .name:           _ZN2at6native12_GLOBAL__N_143distribution_elementwise_grid_stride_kernelImLi2EZZZNS0_9templates4cuda32random_full_64_bits_range_kernelIPNS_17CUDAGeneratorImplEEEvRNS_18TensorIteratorBaseET_ENKUlvE_clEvENKUlvE5_clEvEUlP25hiprandStatePhilox4_32_10E_ZNS1_27distribution_nullary_kernelIfm15HIP_vector_typeIyLj2EES7_SF_ZZZNS5_IS7_EEvS9_SA_ENKSB_clEvENKSC_clEvEUlmE_EEvS9_T2_RKT3_T4_EUlimE0_EEvlNS_15PhiloxCudaStateET1_SK_
    .private_segment_fixed_size: 0
    .sgpr_count:     54
    .sgpr_spill_count: 0
    .symbol:         _ZN2at6native12_GLOBAL__N_143distribution_elementwise_grid_stride_kernelImLi2EZZZNS0_9templates4cuda32random_full_64_bits_range_kernelIPNS_17CUDAGeneratorImplEEEvRNS_18TensorIteratorBaseET_ENKUlvE_clEvENKUlvE5_clEvEUlP25hiprandStatePhilox4_32_10E_ZNS1_27distribution_nullary_kernelIfm15HIP_vector_typeIyLj2EES7_SF_ZZZNS5_IS7_EEvS9_SA_ENKSB_clEvENKSC_clEvEUlmE_EEvS9_T2_RKT3_T4_EUlimE0_EEvlNS_15PhiloxCudaStateET1_SK_.kd
    .uniform_work_group_size: 1
    .uses_dynamic_stack: false
    .vgpr_count:     44
    .vgpr_spill_count: 0
    .wavefront_size: 32
    .workgroup_processor_mode: 1
  - .args:
      - .offset:         0
        .size:           8
        .value_kind:     by_value
      - .offset:         8
        .size:           32
        .value_kind:     by_value
      - .offset:         40
        .size:           1
        .value_kind:     by_value
      - .offset:         48
        .size:           16
        .value_kind:     by_value
      - .offset:         64
        .size:           4
        .value_kind:     hidden_block_count_x
      - .offset:         68
        .size:           4
        .value_kind:     hidden_block_count_y
      - .offset:         72
        .size:           4
        .value_kind:     hidden_block_count_z
      - .offset:         76
        .size:           2
        .value_kind:     hidden_group_size_x
      - .offset:         78
        .size:           2
        .value_kind:     hidden_group_size_y
      - .offset:         80
        .size:           2
        .value_kind:     hidden_group_size_z
      - .offset:         82
        .size:           2
        .value_kind:     hidden_remainder_x
      - .offset:         84
        .size:           2
        .value_kind:     hidden_remainder_y
      - .offset:         86
        .size:           2
        .value_kind:     hidden_remainder_z
      - .offset:         104
        .size:           8
        .value_kind:     hidden_global_offset_x
      - .offset:         112
        .size:           8
        .value_kind:     hidden_global_offset_y
      - .offset:         120
        .size:           8
        .value_kind:     hidden_global_offset_z
      - .offset:         128
        .size:           2
        .value_kind:     hidden_grid_dims
    .group_segment_fixed_size: 0
    .kernarg_segment_align: 8
    .kernarg_segment_size: 320
    .language:       OpenCL C
    .language_version:
      - 2
      - 0
    .max_flat_workgroup_size: 256
    .name:           _ZN2at6native12_GLOBAL__N_143distribution_elementwise_grid_stride_kernelImLi2EZZZNS0_9templates4cuda32random_full_64_bits_range_kernelIPNS_17CUDAGeneratorImplEEEvRNS_18TensorIteratorBaseET_ENKUlvE_clEvENKUlvE6_clEvEUlP25hiprandStatePhilox4_32_10E_ZNS1_27distribution_nullary_kernelIN3c108BFloat16Em15HIP_vector_typeIyLj2EES7_SF_ZZZNS5_IS7_EEvS9_SA_ENKSB_clEvENKSC_clEvEUlmE_EEvS9_T2_RKT3_T4_EUlimE_EEvlNS_15PhiloxCudaStateET1_SM_
    .private_segment_fixed_size: 0
    .sgpr_count:     25
    .sgpr_spill_count: 0
    .symbol:         _ZN2at6native12_GLOBAL__N_143distribution_elementwise_grid_stride_kernelImLi2EZZZNS0_9templates4cuda32random_full_64_bits_range_kernelIPNS_17CUDAGeneratorImplEEEvRNS_18TensorIteratorBaseET_ENKUlvE_clEvENKUlvE6_clEvEUlP25hiprandStatePhilox4_32_10E_ZNS1_27distribution_nullary_kernelIN3c108BFloat16Em15HIP_vector_typeIyLj2EES7_SF_ZZZNS5_IS7_EEvS9_SA_ENKSB_clEvENKSC_clEvEUlmE_EEvS9_T2_RKT3_T4_EUlimE_EEvlNS_15PhiloxCudaStateET1_SM_.kd
    .uniform_work_group_size: 1
    .uses_dynamic_stack: false
    .vgpr_count:     42
    .vgpr_spill_count: 0
    .wavefront_size: 32
    .workgroup_processor_mode: 1
  - .args:
      - .offset:         0
        .size:           8
        .value_kind:     by_value
      - .offset:         8
        .size:           32
        .value_kind:     by_value
      - .offset:         40
        .size:           1
        .value_kind:     by_value
      - .offset:         48
        .size:           280
        .value_kind:     by_value
      - .offset:         328
        .size:           4
        .value_kind:     hidden_block_count_x
      - .offset:         332
        .size:           4
        .value_kind:     hidden_block_count_y
      - .offset:         336
        .size:           4
        .value_kind:     hidden_block_count_z
      - .offset:         340
        .size:           2
        .value_kind:     hidden_group_size_x
      - .offset:         342
        .size:           2
        .value_kind:     hidden_group_size_y
      - .offset:         344
        .size:           2
        .value_kind:     hidden_group_size_z
      - .offset:         346
        .size:           2
        .value_kind:     hidden_remainder_x
      - .offset:         348
        .size:           2
        .value_kind:     hidden_remainder_y
      - .offset:         350
        .size:           2
        .value_kind:     hidden_remainder_z
      - .offset:         368
        .size:           8
        .value_kind:     hidden_global_offset_x
      - .offset:         376
        .size:           8
        .value_kind:     hidden_global_offset_y
      - .offset:         384
        .size:           8
        .value_kind:     hidden_global_offset_z
      - .offset:         392
        .size:           2
        .value_kind:     hidden_grid_dims
    .group_segment_fixed_size: 0
    .kernarg_segment_align: 8
    .kernarg_segment_size: 584
    .language:       OpenCL C
    .language_version:
      - 2
      - 0
    .max_flat_workgroup_size: 256
    .name:           _ZN2at6native12_GLOBAL__N_143distribution_elementwise_grid_stride_kernelImLi2EZZZNS0_9templates4cuda32random_full_64_bits_range_kernelIPNS_17CUDAGeneratorImplEEEvRNS_18TensorIteratorBaseET_ENKUlvE_clEvENKUlvE6_clEvEUlP25hiprandStatePhilox4_32_10E_ZNS1_27distribution_nullary_kernelIN3c108BFloat16Em15HIP_vector_typeIyLj2EES7_SF_ZZZNS5_IS7_EEvS9_SA_ENKSB_clEvENKSC_clEvEUlmE_EEvS9_T2_RKT3_T4_EUlimE0_EEvlNS_15PhiloxCudaStateET1_SM_
    .private_segment_fixed_size: 0
    .sgpr_count:     54
    .sgpr_spill_count: 0
    .symbol:         _ZN2at6native12_GLOBAL__N_143distribution_elementwise_grid_stride_kernelImLi2EZZZNS0_9templates4cuda32random_full_64_bits_range_kernelIPNS_17CUDAGeneratorImplEEEvRNS_18TensorIteratorBaseET_ENKUlvE_clEvENKUlvE6_clEvEUlP25hiprandStatePhilox4_32_10E_ZNS1_27distribution_nullary_kernelIN3c108BFloat16Em15HIP_vector_typeIyLj2EES7_SF_ZZZNS5_IS7_EEvS9_SA_ENKSB_clEvENKSC_clEvEUlmE_EEvS9_T2_RKT3_T4_EUlimE0_EEvlNS_15PhiloxCudaStateET1_SM_.kd
    .uniform_work_group_size: 1
    .uses_dynamic_stack: false
    .vgpr_count:     44
    .vgpr_spill_count: 0
    .wavefront_size: 32
    .workgroup_processor_mode: 1
  - .args:
      - .offset:         0
        .size:           8
        .value_kind:     by_value
      - .offset:         8
        .size:           32
        .value_kind:     by_value
      - .offset:         40
        .size:           1
        .value_kind:     by_value
      - .offset:         48
        .size:           16
        .value_kind:     by_value
      - .offset:         64
        .size:           4
        .value_kind:     hidden_block_count_x
      - .offset:         68
        .size:           4
        .value_kind:     hidden_block_count_y
      - .offset:         72
        .size:           4
        .value_kind:     hidden_block_count_z
      - .offset:         76
        .size:           2
        .value_kind:     hidden_group_size_x
      - .offset:         78
        .size:           2
        .value_kind:     hidden_group_size_y
      - .offset:         80
        .size:           2
        .value_kind:     hidden_group_size_z
      - .offset:         82
        .size:           2
        .value_kind:     hidden_remainder_x
      - .offset:         84
        .size:           2
        .value_kind:     hidden_remainder_y
      - .offset:         86
        .size:           2
        .value_kind:     hidden_remainder_z
      - .offset:         104
        .size:           8
        .value_kind:     hidden_global_offset_x
      - .offset:         112
        .size:           8
        .value_kind:     hidden_global_offset_y
      - .offset:         120
        .size:           8
        .value_kind:     hidden_global_offset_z
      - .offset:         128
        .size:           2
        .value_kind:     hidden_grid_dims
    .group_segment_fixed_size: 0
    .kernarg_segment_align: 8
    .kernarg_segment_size: 320
    .language:       OpenCL C
    .language_version:
      - 2
      - 0
    .max_flat_workgroup_size: 256
    .name:           _ZN2at6native12_GLOBAL__N_143distribution_elementwise_grid_stride_kernelImLi2EZZZNS0_9templates4cuda13random_kernelIPNS_17CUDAGeneratorImplEEEvRNS_18TensorIteratorBaseET_ENKUlvE_clEvENKUlvE_clEvEUlP25hiprandStatePhilox4_32_10E_ZNS1_27distribution_nullary_kernelIhm15HIP_vector_typeIyLj2EES7_SF_ZZZNS5_IS7_EEvS9_SA_ENKSB_clEvENKSC_clEvEUlmE_EEvS9_T2_RKT3_T4_EUlimE_EEvlNS_15PhiloxCudaStateET1_SK_
    .private_segment_fixed_size: 0
    .sgpr_count:     25
    .sgpr_spill_count: 0
    .symbol:         _ZN2at6native12_GLOBAL__N_143distribution_elementwise_grid_stride_kernelImLi2EZZZNS0_9templates4cuda13random_kernelIPNS_17CUDAGeneratorImplEEEvRNS_18TensorIteratorBaseET_ENKUlvE_clEvENKUlvE_clEvEUlP25hiprandStatePhilox4_32_10E_ZNS1_27distribution_nullary_kernelIhm15HIP_vector_typeIyLj2EES7_SF_ZZZNS5_IS7_EEvS9_SA_ENKSB_clEvENKSC_clEvEUlmE_EEvS9_T2_RKT3_T4_EUlimE_EEvlNS_15PhiloxCudaStateET1_SK_.kd
    .uniform_work_group_size: 1
    .uses_dynamic_stack: false
    .vgpr_count:     43
    .vgpr_spill_count: 0
    .wavefront_size: 32
    .workgroup_processor_mode: 1
  - .args:
      - .offset:         0
        .size:           8
        .value_kind:     by_value
      - .offset:         8
        .size:           32
        .value_kind:     by_value
      - .offset:         40
        .size:           1
        .value_kind:     by_value
      - .offset:         48
        .size:           280
        .value_kind:     by_value
      - .offset:         328
        .size:           4
        .value_kind:     hidden_block_count_x
      - .offset:         332
        .size:           4
        .value_kind:     hidden_block_count_y
      - .offset:         336
        .size:           4
        .value_kind:     hidden_block_count_z
      - .offset:         340
        .size:           2
        .value_kind:     hidden_group_size_x
      - .offset:         342
        .size:           2
        .value_kind:     hidden_group_size_y
      - .offset:         344
        .size:           2
        .value_kind:     hidden_group_size_z
      - .offset:         346
        .size:           2
        .value_kind:     hidden_remainder_x
      - .offset:         348
        .size:           2
        .value_kind:     hidden_remainder_y
      - .offset:         350
        .size:           2
        .value_kind:     hidden_remainder_z
      - .offset:         368
        .size:           8
        .value_kind:     hidden_global_offset_x
      - .offset:         376
        .size:           8
        .value_kind:     hidden_global_offset_y
      - .offset:         384
        .size:           8
        .value_kind:     hidden_global_offset_z
      - .offset:         392
        .size:           2
        .value_kind:     hidden_grid_dims
    .group_segment_fixed_size: 0
    .kernarg_segment_align: 8
    .kernarg_segment_size: 584
    .language:       OpenCL C
    .language_version:
      - 2
      - 0
    .max_flat_workgroup_size: 256
    .name:           _ZN2at6native12_GLOBAL__N_143distribution_elementwise_grid_stride_kernelImLi2EZZZNS0_9templates4cuda13random_kernelIPNS_17CUDAGeneratorImplEEEvRNS_18TensorIteratorBaseET_ENKUlvE_clEvENKUlvE_clEvEUlP25hiprandStatePhilox4_32_10E_ZNS1_27distribution_nullary_kernelIhm15HIP_vector_typeIyLj2EES7_SF_ZZZNS5_IS7_EEvS9_SA_ENKSB_clEvENKSC_clEvEUlmE_EEvS9_T2_RKT3_T4_EUlimE0_EEvlNS_15PhiloxCudaStateET1_SK_
    .private_segment_fixed_size: 0
    .sgpr_count:     54
    .sgpr_spill_count: 0
    .symbol:         _ZN2at6native12_GLOBAL__N_143distribution_elementwise_grid_stride_kernelImLi2EZZZNS0_9templates4cuda13random_kernelIPNS_17CUDAGeneratorImplEEEvRNS_18TensorIteratorBaseET_ENKUlvE_clEvENKUlvE_clEvEUlP25hiprandStatePhilox4_32_10E_ZNS1_27distribution_nullary_kernelIhm15HIP_vector_typeIyLj2EES7_SF_ZZZNS5_IS7_EEvS9_SA_ENKSB_clEvENKSC_clEvEUlmE_EEvS9_T2_RKT3_T4_EUlimE0_EEvlNS_15PhiloxCudaStateET1_SK_.kd
    .uniform_work_group_size: 1
    .uses_dynamic_stack: false
    .vgpr_count:     41
    .vgpr_spill_count: 0
    .wavefront_size: 32
    .workgroup_processor_mode: 1
  - .args:
      - .offset:         0
        .size:           8
        .value_kind:     by_value
      - .offset:         8
        .size:           32
        .value_kind:     by_value
      - .offset:         40
        .size:           1
        .value_kind:     by_value
      - .offset:         48
        .size:           16
        .value_kind:     by_value
      - .offset:         64
        .size:           4
        .value_kind:     hidden_block_count_x
      - .offset:         68
        .size:           4
        .value_kind:     hidden_block_count_y
      - .offset:         72
        .size:           4
        .value_kind:     hidden_block_count_z
      - .offset:         76
        .size:           2
        .value_kind:     hidden_group_size_x
      - .offset:         78
        .size:           2
        .value_kind:     hidden_group_size_y
      - .offset:         80
        .size:           2
        .value_kind:     hidden_group_size_z
      - .offset:         82
        .size:           2
        .value_kind:     hidden_remainder_x
      - .offset:         84
        .size:           2
        .value_kind:     hidden_remainder_y
      - .offset:         86
        .size:           2
        .value_kind:     hidden_remainder_z
      - .offset:         104
        .size:           8
        .value_kind:     hidden_global_offset_x
      - .offset:         112
        .size:           8
        .value_kind:     hidden_global_offset_y
      - .offset:         120
        .size:           8
        .value_kind:     hidden_global_offset_z
      - .offset:         128
        .size:           2
        .value_kind:     hidden_grid_dims
    .group_segment_fixed_size: 0
    .kernarg_segment_align: 8
    .kernarg_segment_size: 320
    .language:       OpenCL C
    .language_version:
      - 2
      - 0
    .max_flat_workgroup_size: 256
    .name:           _ZN2at6native12_GLOBAL__N_143distribution_elementwise_grid_stride_kernelIjLi4EZZZNS0_9templates4cuda13random_kernelIPNS_17CUDAGeneratorImplEEEvRNS_18TensorIteratorBaseET_ENKUlvE_clEvENKUlvE_clEvEUlP25hiprandStatePhilox4_32_10E0_ZNS1_27distribution_nullary_kernelIhj15HIP_vector_typeIjLj4EES7_SF_ZZZNS5_IS7_EEvS9_SA_ENKSB_clEvENKSC_clEvEUljE_EEvS9_T2_RKT3_T4_EUlijE_EEvlNS_15PhiloxCudaStateET1_SK_
    .private_segment_fixed_size: 0
    .sgpr_count:     25
    .sgpr_spill_count: 0
    .symbol:         _ZN2at6native12_GLOBAL__N_143distribution_elementwise_grid_stride_kernelIjLi4EZZZNS0_9templates4cuda13random_kernelIPNS_17CUDAGeneratorImplEEEvRNS_18TensorIteratorBaseET_ENKUlvE_clEvENKUlvE_clEvEUlP25hiprandStatePhilox4_32_10E0_ZNS1_27distribution_nullary_kernelIhj15HIP_vector_typeIjLj4EES7_SF_ZZZNS5_IS7_EEvS9_SA_ENKSB_clEvENKSC_clEvEUljE_EEvS9_T2_RKT3_T4_EUlijE_EEvlNS_15PhiloxCudaStateET1_SK_.kd
    .uniform_work_group_size: 1
    .uses_dynamic_stack: false
    .vgpr_count:     44
    .vgpr_spill_count: 0
    .wavefront_size: 32
    .workgroup_processor_mode: 1
  - .args:
      - .offset:         0
        .size:           8
        .value_kind:     by_value
      - .offset:         8
        .size:           32
        .value_kind:     by_value
      - .offset:         40
        .size:           1
        .value_kind:     by_value
      - .offset:         48
        .size:           280
        .value_kind:     by_value
      - .offset:         328
        .size:           4
        .value_kind:     hidden_block_count_x
      - .offset:         332
        .size:           4
        .value_kind:     hidden_block_count_y
      - .offset:         336
        .size:           4
        .value_kind:     hidden_block_count_z
      - .offset:         340
        .size:           2
        .value_kind:     hidden_group_size_x
      - .offset:         342
        .size:           2
        .value_kind:     hidden_group_size_y
      - .offset:         344
        .size:           2
        .value_kind:     hidden_group_size_z
      - .offset:         346
        .size:           2
        .value_kind:     hidden_remainder_x
      - .offset:         348
        .size:           2
        .value_kind:     hidden_remainder_y
      - .offset:         350
        .size:           2
        .value_kind:     hidden_remainder_z
      - .offset:         368
        .size:           8
        .value_kind:     hidden_global_offset_x
      - .offset:         376
        .size:           8
        .value_kind:     hidden_global_offset_y
      - .offset:         384
        .size:           8
        .value_kind:     hidden_global_offset_z
      - .offset:         392
        .size:           2
        .value_kind:     hidden_grid_dims
    .group_segment_fixed_size: 0
    .kernarg_segment_align: 8
    .kernarg_segment_size: 584
    .language:       OpenCL C
    .language_version:
      - 2
      - 0
    .max_flat_workgroup_size: 256
    .name:           _ZN2at6native12_GLOBAL__N_143distribution_elementwise_grid_stride_kernelIjLi4EZZZNS0_9templates4cuda13random_kernelIPNS_17CUDAGeneratorImplEEEvRNS_18TensorIteratorBaseET_ENKUlvE_clEvENKUlvE_clEvEUlP25hiprandStatePhilox4_32_10E0_ZNS1_27distribution_nullary_kernelIhj15HIP_vector_typeIjLj4EES7_SF_ZZZNS5_IS7_EEvS9_SA_ENKSB_clEvENKSC_clEvEUljE_EEvS9_T2_RKT3_T4_EUlijE0_EEvlNS_15PhiloxCudaStateET1_SK_
    .private_segment_fixed_size: 0
    .sgpr_count:     58
    .sgpr_spill_count: 0
    .symbol:         _ZN2at6native12_GLOBAL__N_143distribution_elementwise_grid_stride_kernelIjLi4EZZZNS0_9templates4cuda13random_kernelIPNS_17CUDAGeneratorImplEEEvRNS_18TensorIteratorBaseET_ENKUlvE_clEvENKUlvE_clEvEUlP25hiprandStatePhilox4_32_10E0_ZNS1_27distribution_nullary_kernelIhj15HIP_vector_typeIjLj4EES7_SF_ZZZNS5_IS7_EEvS9_SA_ENKSB_clEvENKSC_clEvEUljE_EEvS9_T2_RKT3_T4_EUlijE0_EEvlNS_15PhiloxCudaStateET1_SK_.kd
    .uniform_work_group_size: 1
    .uses_dynamic_stack: false
    .vgpr_count:     44
    .vgpr_spill_count: 0
    .wavefront_size: 32
    .workgroup_processor_mode: 1
  - .args:
      - .offset:         0
        .size:           8
        .value_kind:     by_value
      - .offset:         8
        .size:           32
        .value_kind:     by_value
      - .offset:         40
        .size:           1
        .value_kind:     by_value
      - .offset:         48
        .size:           16
        .value_kind:     by_value
      - .offset:         64
        .size:           4
        .value_kind:     hidden_block_count_x
      - .offset:         68
        .size:           4
        .value_kind:     hidden_block_count_y
      - .offset:         72
        .size:           4
        .value_kind:     hidden_block_count_z
      - .offset:         76
        .size:           2
        .value_kind:     hidden_group_size_x
      - .offset:         78
        .size:           2
        .value_kind:     hidden_group_size_y
      - .offset:         80
        .size:           2
        .value_kind:     hidden_group_size_z
      - .offset:         82
        .size:           2
        .value_kind:     hidden_remainder_x
      - .offset:         84
        .size:           2
        .value_kind:     hidden_remainder_y
      - .offset:         86
        .size:           2
        .value_kind:     hidden_remainder_z
      - .offset:         104
        .size:           8
        .value_kind:     hidden_global_offset_x
      - .offset:         112
        .size:           8
        .value_kind:     hidden_global_offset_y
      - .offset:         120
        .size:           8
        .value_kind:     hidden_global_offset_z
      - .offset:         128
        .size:           2
        .value_kind:     hidden_grid_dims
    .group_segment_fixed_size: 0
    .kernarg_segment_align: 8
    .kernarg_segment_size: 320
    .language:       OpenCL C
    .language_version:
      - 2
      - 0
    .max_flat_workgroup_size: 256
    .name:           _ZN2at6native12_GLOBAL__N_143distribution_elementwise_grid_stride_kernelImLi2EZZZNS0_9templates4cuda13random_kernelIPNS_17CUDAGeneratorImplEEEvRNS_18TensorIteratorBaseET_ENKUlvE_clEvENKUlvE0_clEvEUlP25hiprandStatePhilox4_32_10E_ZNS1_27distribution_nullary_kernelIam15HIP_vector_typeIyLj2EES7_SF_ZZZNS5_IS7_EEvS9_SA_ENKSB_clEvENKSC_clEvEUlmE_EEvS9_T2_RKT3_T4_EUlimE_EEvlNS_15PhiloxCudaStateET1_SK_
    .private_segment_fixed_size: 0
    .sgpr_count:     25
    .sgpr_spill_count: 0
    .symbol:         _ZN2at6native12_GLOBAL__N_143distribution_elementwise_grid_stride_kernelImLi2EZZZNS0_9templates4cuda13random_kernelIPNS_17CUDAGeneratorImplEEEvRNS_18TensorIteratorBaseET_ENKUlvE_clEvENKUlvE0_clEvEUlP25hiprandStatePhilox4_32_10E_ZNS1_27distribution_nullary_kernelIam15HIP_vector_typeIyLj2EES7_SF_ZZZNS5_IS7_EEvS9_SA_ENKSB_clEvENKSC_clEvEUlmE_EEvS9_T2_RKT3_T4_EUlimE_EEvlNS_15PhiloxCudaStateET1_SK_.kd
    .uniform_work_group_size: 1
    .uses_dynamic_stack: false
    .vgpr_count:     43
    .vgpr_spill_count: 0
    .wavefront_size: 32
    .workgroup_processor_mode: 1
  - .args:
      - .offset:         0
        .size:           8
        .value_kind:     by_value
      - .offset:         8
        .size:           32
        .value_kind:     by_value
      - .offset:         40
        .size:           1
        .value_kind:     by_value
      - .offset:         48
        .size:           280
        .value_kind:     by_value
      - .offset:         328
        .size:           4
        .value_kind:     hidden_block_count_x
      - .offset:         332
        .size:           4
        .value_kind:     hidden_block_count_y
      - .offset:         336
        .size:           4
        .value_kind:     hidden_block_count_z
      - .offset:         340
        .size:           2
        .value_kind:     hidden_group_size_x
      - .offset:         342
        .size:           2
        .value_kind:     hidden_group_size_y
      - .offset:         344
        .size:           2
        .value_kind:     hidden_group_size_z
      - .offset:         346
        .size:           2
        .value_kind:     hidden_remainder_x
      - .offset:         348
        .size:           2
        .value_kind:     hidden_remainder_y
      - .offset:         350
        .size:           2
        .value_kind:     hidden_remainder_z
      - .offset:         368
        .size:           8
        .value_kind:     hidden_global_offset_x
      - .offset:         376
        .size:           8
        .value_kind:     hidden_global_offset_y
      - .offset:         384
        .size:           8
        .value_kind:     hidden_global_offset_z
      - .offset:         392
        .size:           2
        .value_kind:     hidden_grid_dims
    .group_segment_fixed_size: 0
    .kernarg_segment_align: 8
    .kernarg_segment_size: 584
    .language:       OpenCL C
    .language_version:
      - 2
      - 0
    .max_flat_workgroup_size: 256
    .name:           _ZN2at6native12_GLOBAL__N_143distribution_elementwise_grid_stride_kernelImLi2EZZZNS0_9templates4cuda13random_kernelIPNS_17CUDAGeneratorImplEEEvRNS_18TensorIteratorBaseET_ENKUlvE_clEvENKUlvE0_clEvEUlP25hiprandStatePhilox4_32_10E_ZNS1_27distribution_nullary_kernelIam15HIP_vector_typeIyLj2EES7_SF_ZZZNS5_IS7_EEvS9_SA_ENKSB_clEvENKSC_clEvEUlmE_EEvS9_T2_RKT3_T4_EUlimE0_EEvlNS_15PhiloxCudaStateET1_SK_
    .private_segment_fixed_size: 0
    .sgpr_count:     54
    .sgpr_spill_count: 0
    .symbol:         _ZN2at6native12_GLOBAL__N_143distribution_elementwise_grid_stride_kernelImLi2EZZZNS0_9templates4cuda13random_kernelIPNS_17CUDAGeneratorImplEEEvRNS_18TensorIteratorBaseET_ENKUlvE_clEvENKUlvE0_clEvEUlP25hiprandStatePhilox4_32_10E_ZNS1_27distribution_nullary_kernelIam15HIP_vector_typeIyLj2EES7_SF_ZZZNS5_IS7_EEvS9_SA_ENKSB_clEvENKSC_clEvEUlmE_EEvS9_T2_RKT3_T4_EUlimE0_EEvlNS_15PhiloxCudaStateET1_SK_.kd
    .uniform_work_group_size: 1
    .uses_dynamic_stack: false
    .vgpr_count:     41
    .vgpr_spill_count: 0
    .wavefront_size: 32
    .workgroup_processor_mode: 1
  - .args:
      - .offset:         0
        .size:           8
        .value_kind:     by_value
      - .offset:         8
        .size:           32
        .value_kind:     by_value
      - .offset:         40
        .size:           1
        .value_kind:     by_value
      - .offset:         48
        .size:           16
        .value_kind:     by_value
      - .offset:         64
        .size:           4
        .value_kind:     hidden_block_count_x
      - .offset:         68
        .size:           4
        .value_kind:     hidden_block_count_y
      - .offset:         72
        .size:           4
        .value_kind:     hidden_block_count_z
      - .offset:         76
        .size:           2
        .value_kind:     hidden_group_size_x
      - .offset:         78
        .size:           2
        .value_kind:     hidden_group_size_y
      - .offset:         80
        .size:           2
        .value_kind:     hidden_group_size_z
      - .offset:         82
        .size:           2
        .value_kind:     hidden_remainder_x
      - .offset:         84
        .size:           2
        .value_kind:     hidden_remainder_y
      - .offset:         86
        .size:           2
        .value_kind:     hidden_remainder_z
      - .offset:         104
        .size:           8
        .value_kind:     hidden_global_offset_x
      - .offset:         112
        .size:           8
        .value_kind:     hidden_global_offset_y
      - .offset:         120
        .size:           8
        .value_kind:     hidden_global_offset_z
      - .offset:         128
        .size:           2
        .value_kind:     hidden_grid_dims
    .group_segment_fixed_size: 0
    .kernarg_segment_align: 8
    .kernarg_segment_size: 320
    .language:       OpenCL C
    .language_version:
      - 2
      - 0
    .max_flat_workgroup_size: 256
    .name:           _ZN2at6native12_GLOBAL__N_143distribution_elementwise_grid_stride_kernelIjLi4EZZZNS0_9templates4cuda13random_kernelIPNS_17CUDAGeneratorImplEEEvRNS_18TensorIteratorBaseET_ENKUlvE_clEvENKUlvE0_clEvEUlP25hiprandStatePhilox4_32_10E0_ZNS1_27distribution_nullary_kernelIaj15HIP_vector_typeIjLj4EES7_SF_ZZZNS5_IS7_EEvS9_SA_ENKSB_clEvENKSC_clEvEUljE_EEvS9_T2_RKT3_T4_EUlijE_EEvlNS_15PhiloxCudaStateET1_SK_
    .private_segment_fixed_size: 0
    .sgpr_count:     25
    .sgpr_spill_count: 0
    .symbol:         _ZN2at6native12_GLOBAL__N_143distribution_elementwise_grid_stride_kernelIjLi4EZZZNS0_9templates4cuda13random_kernelIPNS_17CUDAGeneratorImplEEEvRNS_18TensorIteratorBaseET_ENKUlvE_clEvENKUlvE0_clEvEUlP25hiprandStatePhilox4_32_10E0_ZNS1_27distribution_nullary_kernelIaj15HIP_vector_typeIjLj4EES7_SF_ZZZNS5_IS7_EEvS9_SA_ENKSB_clEvENKSC_clEvEUljE_EEvS9_T2_RKT3_T4_EUlijE_EEvlNS_15PhiloxCudaStateET1_SK_.kd
    .uniform_work_group_size: 1
    .uses_dynamic_stack: false
    .vgpr_count:     44
    .vgpr_spill_count: 0
    .wavefront_size: 32
    .workgroup_processor_mode: 1
  - .args:
      - .offset:         0
        .size:           8
        .value_kind:     by_value
      - .offset:         8
        .size:           32
        .value_kind:     by_value
      - .offset:         40
        .size:           1
        .value_kind:     by_value
      - .offset:         48
        .size:           280
        .value_kind:     by_value
      - .offset:         328
        .size:           4
        .value_kind:     hidden_block_count_x
      - .offset:         332
        .size:           4
        .value_kind:     hidden_block_count_y
      - .offset:         336
        .size:           4
        .value_kind:     hidden_block_count_z
      - .offset:         340
        .size:           2
        .value_kind:     hidden_group_size_x
      - .offset:         342
        .size:           2
        .value_kind:     hidden_group_size_y
      - .offset:         344
        .size:           2
        .value_kind:     hidden_group_size_z
      - .offset:         346
        .size:           2
        .value_kind:     hidden_remainder_x
      - .offset:         348
        .size:           2
        .value_kind:     hidden_remainder_y
      - .offset:         350
        .size:           2
        .value_kind:     hidden_remainder_z
      - .offset:         368
        .size:           8
        .value_kind:     hidden_global_offset_x
      - .offset:         376
        .size:           8
        .value_kind:     hidden_global_offset_y
      - .offset:         384
        .size:           8
        .value_kind:     hidden_global_offset_z
      - .offset:         392
        .size:           2
        .value_kind:     hidden_grid_dims
    .group_segment_fixed_size: 0
    .kernarg_segment_align: 8
    .kernarg_segment_size: 584
    .language:       OpenCL C
    .language_version:
      - 2
      - 0
    .max_flat_workgroup_size: 256
    .name:           _ZN2at6native12_GLOBAL__N_143distribution_elementwise_grid_stride_kernelIjLi4EZZZNS0_9templates4cuda13random_kernelIPNS_17CUDAGeneratorImplEEEvRNS_18TensorIteratorBaseET_ENKUlvE_clEvENKUlvE0_clEvEUlP25hiprandStatePhilox4_32_10E0_ZNS1_27distribution_nullary_kernelIaj15HIP_vector_typeIjLj4EES7_SF_ZZZNS5_IS7_EEvS9_SA_ENKSB_clEvENKSC_clEvEUljE_EEvS9_T2_RKT3_T4_EUlijE0_EEvlNS_15PhiloxCudaStateET1_SK_
    .private_segment_fixed_size: 0
    .sgpr_count:     58
    .sgpr_spill_count: 0
    .symbol:         _ZN2at6native12_GLOBAL__N_143distribution_elementwise_grid_stride_kernelIjLi4EZZZNS0_9templates4cuda13random_kernelIPNS_17CUDAGeneratorImplEEEvRNS_18TensorIteratorBaseET_ENKUlvE_clEvENKUlvE0_clEvEUlP25hiprandStatePhilox4_32_10E0_ZNS1_27distribution_nullary_kernelIaj15HIP_vector_typeIjLj4EES7_SF_ZZZNS5_IS7_EEvS9_SA_ENKSB_clEvENKSC_clEvEUljE_EEvS9_T2_RKT3_T4_EUlijE0_EEvlNS_15PhiloxCudaStateET1_SK_.kd
    .uniform_work_group_size: 1
    .uses_dynamic_stack: false
    .vgpr_count:     44
    .vgpr_spill_count: 0
    .wavefront_size: 32
    .workgroup_processor_mode: 1
  - .args:
      - .offset:         0
        .size:           8
        .value_kind:     by_value
      - .offset:         8
        .size:           32
        .value_kind:     by_value
      - .offset:         40
        .size:           1
        .value_kind:     by_value
      - .offset:         48
        .size:           16
        .value_kind:     by_value
      - .offset:         64
        .size:           4
        .value_kind:     hidden_block_count_x
      - .offset:         68
        .size:           4
        .value_kind:     hidden_block_count_y
      - .offset:         72
        .size:           4
        .value_kind:     hidden_block_count_z
      - .offset:         76
        .size:           2
        .value_kind:     hidden_group_size_x
      - .offset:         78
        .size:           2
        .value_kind:     hidden_group_size_y
      - .offset:         80
        .size:           2
        .value_kind:     hidden_group_size_z
      - .offset:         82
        .size:           2
        .value_kind:     hidden_remainder_x
      - .offset:         84
        .size:           2
        .value_kind:     hidden_remainder_y
      - .offset:         86
        .size:           2
        .value_kind:     hidden_remainder_z
      - .offset:         104
        .size:           8
        .value_kind:     hidden_global_offset_x
      - .offset:         112
        .size:           8
        .value_kind:     hidden_global_offset_y
      - .offset:         120
        .size:           8
        .value_kind:     hidden_global_offset_z
      - .offset:         128
        .size:           2
        .value_kind:     hidden_grid_dims
    .group_segment_fixed_size: 0
    .kernarg_segment_align: 8
    .kernarg_segment_size: 320
    .language:       OpenCL C
    .language_version:
      - 2
      - 0
    .max_flat_workgroup_size: 256
    .name:           _ZN2at6native12_GLOBAL__N_143distribution_elementwise_grid_stride_kernelImLi2EZZZNS0_9templates4cuda13random_kernelIPNS_17CUDAGeneratorImplEEEvRNS_18TensorIteratorBaseET_ENKUlvE_clEvENKUlvE1_clEvEUlP25hiprandStatePhilox4_32_10E_ZNS1_27distribution_nullary_kernelIim15HIP_vector_typeIyLj2EES7_SF_ZZZNS5_IS7_EEvS9_SA_ENKSB_clEvENKSC_clEvEUlmE_EEvS9_T2_RKT3_T4_EUlimE_EEvlNS_15PhiloxCudaStateET1_SK_
    .private_segment_fixed_size: 0
    .sgpr_count:     25
    .sgpr_spill_count: 0
    .symbol:         _ZN2at6native12_GLOBAL__N_143distribution_elementwise_grid_stride_kernelImLi2EZZZNS0_9templates4cuda13random_kernelIPNS_17CUDAGeneratorImplEEEvRNS_18TensorIteratorBaseET_ENKUlvE_clEvENKUlvE1_clEvEUlP25hiprandStatePhilox4_32_10E_ZNS1_27distribution_nullary_kernelIim15HIP_vector_typeIyLj2EES7_SF_ZZZNS5_IS7_EEvS9_SA_ENKSB_clEvENKSC_clEvEUlmE_EEvS9_T2_RKT3_T4_EUlimE_EEvlNS_15PhiloxCudaStateET1_SK_.kd
    .uniform_work_group_size: 1
    .uses_dynamic_stack: false
    .vgpr_count:     43
    .vgpr_spill_count: 0
    .wavefront_size: 32
    .workgroup_processor_mode: 1
  - .args:
      - .offset:         0
        .size:           8
        .value_kind:     by_value
      - .offset:         8
        .size:           32
        .value_kind:     by_value
      - .offset:         40
        .size:           1
        .value_kind:     by_value
      - .offset:         48
        .size:           280
        .value_kind:     by_value
      - .offset:         328
        .size:           4
        .value_kind:     hidden_block_count_x
      - .offset:         332
        .size:           4
        .value_kind:     hidden_block_count_y
      - .offset:         336
        .size:           4
        .value_kind:     hidden_block_count_z
      - .offset:         340
        .size:           2
        .value_kind:     hidden_group_size_x
      - .offset:         342
        .size:           2
        .value_kind:     hidden_group_size_y
      - .offset:         344
        .size:           2
        .value_kind:     hidden_group_size_z
      - .offset:         346
        .size:           2
        .value_kind:     hidden_remainder_x
      - .offset:         348
        .size:           2
        .value_kind:     hidden_remainder_y
      - .offset:         350
        .size:           2
        .value_kind:     hidden_remainder_z
      - .offset:         368
        .size:           8
        .value_kind:     hidden_global_offset_x
      - .offset:         376
        .size:           8
        .value_kind:     hidden_global_offset_y
      - .offset:         384
        .size:           8
        .value_kind:     hidden_global_offset_z
      - .offset:         392
        .size:           2
        .value_kind:     hidden_grid_dims
    .group_segment_fixed_size: 0
    .kernarg_segment_align: 8
    .kernarg_segment_size: 584
    .language:       OpenCL C
    .language_version:
      - 2
      - 0
    .max_flat_workgroup_size: 256
    .name:           _ZN2at6native12_GLOBAL__N_143distribution_elementwise_grid_stride_kernelImLi2EZZZNS0_9templates4cuda13random_kernelIPNS_17CUDAGeneratorImplEEEvRNS_18TensorIteratorBaseET_ENKUlvE_clEvENKUlvE1_clEvEUlP25hiprandStatePhilox4_32_10E_ZNS1_27distribution_nullary_kernelIim15HIP_vector_typeIyLj2EES7_SF_ZZZNS5_IS7_EEvS9_SA_ENKSB_clEvENKSC_clEvEUlmE_EEvS9_T2_RKT3_T4_EUlimE0_EEvlNS_15PhiloxCudaStateET1_SK_
    .private_segment_fixed_size: 0
    .sgpr_count:     54
    .sgpr_spill_count: 0
    .symbol:         _ZN2at6native12_GLOBAL__N_143distribution_elementwise_grid_stride_kernelImLi2EZZZNS0_9templates4cuda13random_kernelIPNS_17CUDAGeneratorImplEEEvRNS_18TensorIteratorBaseET_ENKUlvE_clEvENKUlvE1_clEvEUlP25hiprandStatePhilox4_32_10E_ZNS1_27distribution_nullary_kernelIim15HIP_vector_typeIyLj2EES7_SF_ZZZNS5_IS7_EEvS9_SA_ENKSB_clEvENKSC_clEvEUlmE_EEvS9_T2_RKT3_T4_EUlimE0_EEvlNS_15PhiloxCudaStateET1_SK_.kd
    .uniform_work_group_size: 1
    .uses_dynamic_stack: false
    .vgpr_count:     41
    .vgpr_spill_count: 0
    .wavefront_size: 32
    .workgroup_processor_mode: 1
  - .args:
      - .offset:         0
        .size:           8
        .value_kind:     by_value
      - .offset:         8
        .size:           32
        .value_kind:     by_value
      - .offset:         40
        .size:           1
        .value_kind:     by_value
      - .offset:         48
        .size:           16
        .value_kind:     by_value
      - .offset:         64
        .size:           4
        .value_kind:     hidden_block_count_x
      - .offset:         68
        .size:           4
        .value_kind:     hidden_block_count_y
      - .offset:         72
        .size:           4
        .value_kind:     hidden_block_count_z
      - .offset:         76
        .size:           2
        .value_kind:     hidden_group_size_x
      - .offset:         78
        .size:           2
        .value_kind:     hidden_group_size_y
      - .offset:         80
        .size:           2
        .value_kind:     hidden_group_size_z
      - .offset:         82
        .size:           2
        .value_kind:     hidden_remainder_x
      - .offset:         84
        .size:           2
        .value_kind:     hidden_remainder_y
      - .offset:         86
        .size:           2
        .value_kind:     hidden_remainder_z
      - .offset:         104
        .size:           8
        .value_kind:     hidden_global_offset_x
      - .offset:         112
        .size:           8
        .value_kind:     hidden_global_offset_y
      - .offset:         120
        .size:           8
        .value_kind:     hidden_global_offset_z
      - .offset:         128
        .size:           2
        .value_kind:     hidden_grid_dims
    .group_segment_fixed_size: 0
    .kernarg_segment_align: 8
    .kernarg_segment_size: 320
    .language:       OpenCL C
    .language_version:
      - 2
      - 0
    .max_flat_workgroup_size: 256
    .name:           _ZN2at6native12_GLOBAL__N_143distribution_elementwise_grid_stride_kernelIjLi4EZZZNS0_9templates4cuda13random_kernelIPNS_17CUDAGeneratorImplEEEvRNS_18TensorIteratorBaseET_ENKUlvE_clEvENKUlvE1_clEvEUlP25hiprandStatePhilox4_32_10E0_ZNS1_27distribution_nullary_kernelIij15HIP_vector_typeIjLj4EES7_SF_ZZZNS5_IS7_EEvS9_SA_ENKSB_clEvENKSC_clEvEUljE_EEvS9_T2_RKT3_T4_EUlijE_EEvlNS_15PhiloxCudaStateET1_SK_
    .private_segment_fixed_size: 0
    .sgpr_count:     25
    .sgpr_spill_count: 0
    .symbol:         _ZN2at6native12_GLOBAL__N_143distribution_elementwise_grid_stride_kernelIjLi4EZZZNS0_9templates4cuda13random_kernelIPNS_17CUDAGeneratorImplEEEvRNS_18TensorIteratorBaseET_ENKUlvE_clEvENKUlvE1_clEvEUlP25hiprandStatePhilox4_32_10E0_ZNS1_27distribution_nullary_kernelIij15HIP_vector_typeIjLj4EES7_SF_ZZZNS5_IS7_EEvS9_SA_ENKSB_clEvENKSC_clEvEUljE_EEvS9_T2_RKT3_T4_EUlijE_EEvlNS_15PhiloxCudaStateET1_SK_.kd
    .uniform_work_group_size: 1
    .uses_dynamic_stack: false
    .vgpr_count:     44
    .vgpr_spill_count: 0
    .wavefront_size: 32
    .workgroup_processor_mode: 1
  - .args:
      - .offset:         0
        .size:           8
        .value_kind:     by_value
      - .offset:         8
        .size:           32
        .value_kind:     by_value
      - .offset:         40
        .size:           1
        .value_kind:     by_value
      - .offset:         48
        .size:           280
        .value_kind:     by_value
      - .offset:         328
        .size:           4
        .value_kind:     hidden_block_count_x
      - .offset:         332
        .size:           4
        .value_kind:     hidden_block_count_y
      - .offset:         336
        .size:           4
        .value_kind:     hidden_block_count_z
      - .offset:         340
        .size:           2
        .value_kind:     hidden_group_size_x
      - .offset:         342
        .size:           2
        .value_kind:     hidden_group_size_y
      - .offset:         344
        .size:           2
        .value_kind:     hidden_group_size_z
      - .offset:         346
        .size:           2
        .value_kind:     hidden_remainder_x
      - .offset:         348
        .size:           2
        .value_kind:     hidden_remainder_y
      - .offset:         350
        .size:           2
        .value_kind:     hidden_remainder_z
      - .offset:         368
        .size:           8
        .value_kind:     hidden_global_offset_x
      - .offset:         376
        .size:           8
        .value_kind:     hidden_global_offset_y
      - .offset:         384
        .size:           8
        .value_kind:     hidden_global_offset_z
      - .offset:         392
        .size:           2
        .value_kind:     hidden_grid_dims
    .group_segment_fixed_size: 0
    .kernarg_segment_align: 8
    .kernarg_segment_size: 584
    .language:       OpenCL C
    .language_version:
      - 2
      - 0
    .max_flat_workgroup_size: 256
    .name:           _ZN2at6native12_GLOBAL__N_143distribution_elementwise_grid_stride_kernelIjLi4EZZZNS0_9templates4cuda13random_kernelIPNS_17CUDAGeneratorImplEEEvRNS_18TensorIteratorBaseET_ENKUlvE_clEvENKUlvE1_clEvEUlP25hiprandStatePhilox4_32_10E0_ZNS1_27distribution_nullary_kernelIij15HIP_vector_typeIjLj4EES7_SF_ZZZNS5_IS7_EEvS9_SA_ENKSB_clEvENKSC_clEvEUljE_EEvS9_T2_RKT3_T4_EUlijE0_EEvlNS_15PhiloxCudaStateET1_SK_
    .private_segment_fixed_size: 0
    .sgpr_count:     58
    .sgpr_spill_count: 0
    .symbol:         _ZN2at6native12_GLOBAL__N_143distribution_elementwise_grid_stride_kernelIjLi4EZZZNS0_9templates4cuda13random_kernelIPNS_17CUDAGeneratorImplEEEvRNS_18TensorIteratorBaseET_ENKUlvE_clEvENKUlvE1_clEvEUlP25hiprandStatePhilox4_32_10E0_ZNS1_27distribution_nullary_kernelIij15HIP_vector_typeIjLj4EES7_SF_ZZZNS5_IS7_EEvS9_SA_ENKSB_clEvENKSC_clEvEUljE_EEvS9_T2_RKT3_T4_EUlijE0_EEvlNS_15PhiloxCudaStateET1_SK_.kd
    .uniform_work_group_size: 1
    .uses_dynamic_stack: false
    .vgpr_count:     44
    .vgpr_spill_count: 0
    .wavefront_size: 32
    .workgroup_processor_mode: 1
  - .args:
      - .offset:         0
        .size:           8
        .value_kind:     by_value
      - .offset:         8
        .size:           32
        .value_kind:     by_value
      - .offset:         40
        .size:           1
        .value_kind:     by_value
      - .offset:         48
        .size:           16
        .value_kind:     by_value
      - .offset:         64
        .size:           4
        .value_kind:     hidden_block_count_x
      - .offset:         68
        .size:           4
        .value_kind:     hidden_block_count_y
      - .offset:         72
        .size:           4
        .value_kind:     hidden_block_count_z
      - .offset:         76
        .size:           2
        .value_kind:     hidden_group_size_x
      - .offset:         78
        .size:           2
        .value_kind:     hidden_group_size_y
      - .offset:         80
        .size:           2
        .value_kind:     hidden_group_size_z
      - .offset:         82
        .size:           2
        .value_kind:     hidden_remainder_x
      - .offset:         84
        .size:           2
        .value_kind:     hidden_remainder_y
      - .offset:         86
        .size:           2
        .value_kind:     hidden_remainder_z
      - .offset:         104
        .size:           8
        .value_kind:     hidden_global_offset_x
      - .offset:         112
        .size:           8
        .value_kind:     hidden_global_offset_y
      - .offset:         120
        .size:           8
        .value_kind:     hidden_global_offset_z
      - .offset:         128
        .size:           2
        .value_kind:     hidden_grid_dims
    .group_segment_fixed_size: 0
    .kernarg_segment_align: 8
    .kernarg_segment_size: 320
    .language:       OpenCL C
    .language_version:
      - 2
      - 0
    .max_flat_workgroup_size: 256
    .name:           _ZN2at6native12_GLOBAL__N_143distribution_elementwise_grid_stride_kernelImLi2EZZZNS0_9templates4cuda13random_kernelIPNS_17CUDAGeneratorImplEEEvRNS_18TensorIteratorBaseET_ENKUlvE_clEvENKUlvE2_clEvEUlP25hiprandStatePhilox4_32_10E_ZNS1_27distribution_nullary_kernelIlm15HIP_vector_typeIyLj2EES7_SF_ZZZNS5_IS7_EEvS9_SA_ENKSB_clEvENKSC_clEvEUlmE_EEvS9_T2_RKT3_T4_EUlimE_EEvlNS_15PhiloxCudaStateET1_SK_
    .private_segment_fixed_size: 0
    .sgpr_count:     25
    .sgpr_spill_count: 0
    .symbol:         _ZN2at6native12_GLOBAL__N_143distribution_elementwise_grid_stride_kernelImLi2EZZZNS0_9templates4cuda13random_kernelIPNS_17CUDAGeneratorImplEEEvRNS_18TensorIteratorBaseET_ENKUlvE_clEvENKUlvE2_clEvEUlP25hiprandStatePhilox4_32_10E_ZNS1_27distribution_nullary_kernelIlm15HIP_vector_typeIyLj2EES7_SF_ZZZNS5_IS7_EEvS9_SA_ENKSB_clEvENKSC_clEvEUlmE_EEvS9_T2_RKT3_T4_EUlimE_EEvlNS_15PhiloxCudaStateET1_SK_.kd
    .uniform_work_group_size: 1
    .uses_dynamic_stack: false
    .vgpr_count:     42
    .vgpr_spill_count: 0
    .wavefront_size: 32
    .workgroup_processor_mode: 1
  - .args:
      - .offset:         0
        .size:           8
        .value_kind:     by_value
      - .offset:         8
        .size:           32
        .value_kind:     by_value
      - .offset:         40
        .size:           1
        .value_kind:     by_value
      - .offset:         48
        .size:           280
        .value_kind:     by_value
      - .offset:         328
        .size:           4
        .value_kind:     hidden_block_count_x
      - .offset:         332
        .size:           4
        .value_kind:     hidden_block_count_y
      - .offset:         336
        .size:           4
        .value_kind:     hidden_block_count_z
      - .offset:         340
        .size:           2
        .value_kind:     hidden_group_size_x
      - .offset:         342
        .size:           2
        .value_kind:     hidden_group_size_y
      - .offset:         344
        .size:           2
        .value_kind:     hidden_group_size_z
      - .offset:         346
        .size:           2
        .value_kind:     hidden_remainder_x
      - .offset:         348
        .size:           2
        .value_kind:     hidden_remainder_y
      - .offset:         350
        .size:           2
        .value_kind:     hidden_remainder_z
      - .offset:         368
        .size:           8
        .value_kind:     hidden_global_offset_x
      - .offset:         376
        .size:           8
        .value_kind:     hidden_global_offset_y
      - .offset:         384
        .size:           8
        .value_kind:     hidden_global_offset_z
      - .offset:         392
        .size:           2
        .value_kind:     hidden_grid_dims
    .group_segment_fixed_size: 0
    .kernarg_segment_align: 8
    .kernarg_segment_size: 584
    .language:       OpenCL C
    .language_version:
      - 2
      - 0
    .max_flat_workgroup_size: 256
    .name:           _ZN2at6native12_GLOBAL__N_143distribution_elementwise_grid_stride_kernelImLi2EZZZNS0_9templates4cuda13random_kernelIPNS_17CUDAGeneratorImplEEEvRNS_18TensorIteratorBaseET_ENKUlvE_clEvENKUlvE2_clEvEUlP25hiprandStatePhilox4_32_10E_ZNS1_27distribution_nullary_kernelIlm15HIP_vector_typeIyLj2EES7_SF_ZZZNS5_IS7_EEvS9_SA_ENKSB_clEvENKSC_clEvEUlmE_EEvS9_T2_RKT3_T4_EUlimE0_EEvlNS_15PhiloxCudaStateET1_SK_
    .private_segment_fixed_size: 0
    .sgpr_count:     54
    .sgpr_spill_count: 0
    .symbol:         _ZN2at6native12_GLOBAL__N_143distribution_elementwise_grid_stride_kernelImLi2EZZZNS0_9templates4cuda13random_kernelIPNS_17CUDAGeneratorImplEEEvRNS_18TensorIteratorBaseET_ENKUlvE_clEvENKUlvE2_clEvEUlP25hiprandStatePhilox4_32_10E_ZNS1_27distribution_nullary_kernelIlm15HIP_vector_typeIyLj2EES7_SF_ZZZNS5_IS7_EEvS9_SA_ENKSB_clEvENKSC_clEvEUlmE_EEvS9_T2_RKT3_T4_EUlimE0_EEvlNS_15PhiloxCudaStateET1_SK_.kd
    .uniform_work_group_size: 1
    .uses_dynamic_stack: false
    .vgpr_count:     44
    .vgpr_spill_count: 0
    .wavefront_size: 32
    .workgroup_processor_mode: 1
  - .args:
      - .offset:         0
        .size:           8
        .value_kind:     by_value
      - .offset:         8
        .size:           32
        .value_kind:     by_value
      - .offset:         40
        .size:           1
        .value_kind:     by_value
      - .offset:         48
        .size:           16
        .value_kind:     by_value
      - .offset:         64
        .size:           4
        .value_kind:     hidden_block_count_x
      - .offset:         68
        .size:           4
        .value_kind:     hidden_block_count_y
      - .offset:         72
        .size:           4
        .value_kind:     hidden_block_count_z
      - .offset:         76
        .size:           2
        .value_kind:     hidden_group_size_x
      - .offset:         78
        .size:           2
        .value_kind:     hidden_group_size_y
      - .offset:         80
        .size:           2
        .value_kind:     hidden_group_size_z
      - .offset:         82
        .size:           2
        .value_kind:     hidden_remainder_x
      - .offset:         84
        .size:           2
        .value_kind:     hidden_remainder_y
      - .offset:         86
        .size:           2
        .value_kind:     hidden_remainder_z
      - .offset:         104
        .size:           8
        .value_kind:     hidden_global_offset_x
      - .offset:         112
        .size:           8
        .value_kind:     hidden_global_offset_y
      - .offset:         120
        .size:           8
        .value_kind:     hidden_global_offset_z
      - .offset:         128
        .size:           2
        .value_kind:     hidden_grid_dims
    .group_segment_fixed_size: 0
    .kernarg_segment_align: 8
    .kernarg_segment_size: 320
    .language:       OpenCL C
    .language_version:
      - 2
      - 0
    .max_flat_workgroup_size: 256
    .name:           _ZN2at6native12_GLOBAL__N_143distribution_elementwise_grid_stride_kernelIjLi4EZZZNS0_9templates4cuda13random_kernelIPNS_17CUDAGeneratorImplEEEvRNS_18TensorIteratorBaseET_ENKUlvE_clEvENKUlvE2_clEvEUlP25hiprandStatePhilox4_32_10E0_ZNS1_27distribution_nullary_kernelIlj15HIP_vector_typeIjLj4EES7_SF_ZZZNS5_IS7_EEvS9_SA_ENKSB_clEvENKSC_clEvEUljE_EEvS9_T2_RKT3_T4_EUlijE_EEvlNS_15PhiloxCudaStateET1_SK_
    .private_segment_fixed_size: 0
    .sgpr_count:     25
    .sgpr_spill_count: 0
    .symbol:         _ZN2at6native12_GLOBAL__N_143distribution_elementwise_grid_stride_kernelIjLi4EZZZNS0_9templates4cuda13random_kernelIPNS_17CUDAGeneratorImplEEEvRNS_18TensorIteratorBaseET_ENKUlvE_clEvENKUlvE2_clEvEUlP25hiprandStatePhilox4_32_10E0_ZNS1_27distribution_nullary_kernelIlj15HIP_vector_typeIjLj4EES7_SF_ZZZNS5_IS7_EEvS9_SA_ENKSB_clEvENKSC_clEvEUljE_EEvS9_T2_RKT3_T4_EUlijE_EEvlNS_15PhiloxCudaStateET1_SK_.kd
    .uniform_work_group_size: 1
    .uses_dynamic_stack: false
    .vgpr_count:     46
    .vgpr_spill_count: 0
    .wavefront_size: 32
    .workgroup_processor_mode: 1
  - .args:
      - .offset:         0
        .size:           8
        .value_kind:     by_value
      - .offset:         8
        .size:           32
        .value_kind:     by_value
      - .offset:         40
        .size:           1
        .value_kind:     by_value
      - .offset:         48
        .size:           280
        .value_kind:     by_value
      - .offset:         328
        .size:           4
        .value_kind:     hidden_block_count_x
      - .offset:         332
        .size:           4
        .value_kind:     hidden_block_count_y
      - .offset:         336
        .size:           4
        .value_kind:     hidden_block_count_z
      - .offset:         340
        .size:           2
        .value_kind:     hidden_group_size_x
      - .offset:         342
        .size:           2
        .value_kind:     hidden_group_size_y
      - .offset:         344
        .size:           2
        .value_kind:     hidden_group_size_z
      - .offset:         346
        .size:           2
        .value_kind:     hidden_remainder_x
      - .offset:         348
        .size:           2
        .value_kind:     hidden_remainder_y
      - .offset:         350
        .size:           2
        .value_kind:     hidden_remainder_z
      - .offset:         368
        .size:           8
        .value_kind:     hidden_global_offset_x
      - .offset:         376
        .size:           8
        .value_kind:     hidden_global_offset_y
      - .offset:         384
        .size:           8
        .value_kind:     hidden_global_offset_z
      - .offset:         392
        .size:           2
        .value_kind:     hidden_grid_dims
    .group_segment_fixed_size: 0
    .kernarg_segment_align: 8
    .kernarg_segment_size: 584
    .language:       OpenCL C
    .language_version:
      - 2
      - 0
    .max_flat_workgroup_size: 256
    .name:           _ZN2at6native12_GLOBAL__N_143distribution_elementwise_grid_stride_kernelIjLi4EZZZNS0_9templates4cuda13random_kernelIPNS_17CUDAGeneratorImplEEEvRNS_18TensorIteratorBaseET_ENKUlvE_clEvENKUlvE2_clEvEUlP25hiprandStatePhilox4_32_10E0_ZNS1_27distribution_nullary_kernelIlj15HIP_vector_typeIjLj4EES7_SF_ZZZNS5_IS7_EEvS9_SA_ENKSB_clEvENKSC_clEvEUljE_EEvS9_T2_RKT3_T4_EUlijE0_EEvlNS_15PhiloxCudaStateET1_SK_
    .private_segment_fixed_size: 0
    .sgpr_count:     58
    .sgpr_spill_count: 0
    .symbol:         _ZN2at6native12_GLOBAL__N_143distribution_elementwise_grid_stride_kernelIjLi4EZZZNS0_9templates4cuda13random_kernelIPNS_17CUDAGeneratorImplEEEvRNS_18TensorIteratorBaseET_ENKUlvE_clEvENKUlvE2_clEvEUlP25hiprandStatePhilox4_32_10E0_ZNS1_27distribution_nullary_kernelIlj15HIP_vector_typeIjLj4EES7_SF_ZZZNS5_IS7_EEvS9_SA_ENKSB_clEvENKSC_clEvEUljE_EEvS9_T2_RKT3_T4_EUlijE0_EEvlNS_15PhiloxCudaStateET1_SK_.kd
    .uniform_work_group_size: 1
    .uses_dynamic_stack: false
    .vgpr_count:     45
    .vgpr_spill_count: 0
    .wavefront_size: 32
    .workgroup_processor_mode: 1
  - .args:
      - .offset:         0
        .size:           8
        .value_kind:     by_value
      - .offset:         8
        .size:           32
        .value_kind:     by_value
      - .offset:         40
        .size:           1
        .value_kind:     by_value
      - .offset:         48
        .size:           16
        .value_kind:     by_value
      - .offset:         64
        .size:           4
        .value_kind:     hidden_block_count_x
      - .offset:         68
        .size:           4
        .value_kind:     hidden_block_count_y
      - .offset:         72
        .size:           4
        .value_kind:     hidden_block_count_z
      - .offset:         76
        .size:           2
        .value_kind:     hidden_group_size_x
      - .offset:         78
        .size:           2
        .value_kind:     hidden_group_size_y
      - .offset:         80
        .size:           2
        .value_kind:     hidden_group_size_z
      - .offset:         82
        .size:           2
        .value_kind:     hidden_remainder_x
      - .offset:         84
        .size:           2
        .value_kind:     hidden_remainder_y
      - .offset:         86
        .size:           2
        .value_kind:     hidden_remainder_z
      - .offset:         104
        .size:           8
        .value_kind:     hidden_global_offset_x
      - .offset:         112
        .size:           8
        .value_kind:     hidden_global_offset_y
      - .offset:         120
        .size:           8
        .value_kind:     hidden_global_offset_z
      - .offset:         128
        .size:           2
        .value_kind:     hidden_grid_dims
    .group_segment_fixed_size: 0
    .kernarg_segment_align: 8
    .kernarg_segment_size: 320
    .language:       OpenCL C
    .language_version:
      - 2
      - 0
    .max_flat_workgroup_size: 256
    .name:           _ZN2at6native12_GLOBAL__N_143distribution_elementwise_grid_stride_kernelImLi2EZZZNS0_9templates4cuda13random_kernelIPNS_17CUDAGeneratorImplEEEvRNS_18TensorIteratorBaseET_ENKUlvE_clEvENKUlvE3_clEvEUlP25hiprandStatePhilox4_32_10E_ZNS1_27distribution_nullary_kernelIsm15HIP_vector_typeIyLj2EES7_SF_ZZZNS5_IS7_EEvS9_SA_ENKSB_clEvENKSC_clEvEUlmE_EEvS9_T2_RKT3_T4_EUlimE_EEvlNS_15PhiloxCudaStateET1_SK_
    .private_segment_fixed_size: 0
    .sgpr_count:     25
    .sgpr_spill_count: 0
    .symbol:         _ZN2at6native12_GLOBAL__N_143distribution_elementwise_grid_stride_kernelImLi2EZZZNS0_9templates4cuda13random_kernelIPNS_17CUDAGeneratorImplEEEvRNS_18TensorIteratorBaseET_ENKUlvE_clEvENKUlvE3_clEvEUlP25hiprandStatePhilox4_32_10E_ZNS1_27distribution_nullary_kernelIsm15HIP_vector_typeIyLj2EES7_SF_ZZZNS5_IS7_EEvS9_SA_ENKSB_clEvENKSC_clEvEUlmE_EEvS9_T2_RKT3_T4_EUlimE_EEvlNS_15PhiloxCudaStateET1_SK_.kd
    .uniform_work_group_size: 1
    .uses_dynamic_stack: false
    .vgpr_count:     43
    .vgpr_spill_count: 0
    .wavefront_size: 32
    .workgroup_processor_mode: 1
  - .args:
      - .offset:         0
        .size:           8
        .value_kind:     by_value
      - .offset:         8
        .size:           32
        .value_kind:     by_value
      - .offset:         40
        .size:           1
        .value_kind:     by_value
      - .offset:         48
        .size:           280
        .value_kind:     by_value
      - .offset:         328
        .size:           4
        .value_kind:     hidden_block_count_x
      - .offset:         332
        .size:           4
        .value_kind:     hidden_block_count_y
      - .offset:         336
        .size:           4
        .value_kind:     hidden_block_count_z
      - .offset:         340
        .size:           2
        .value_kind:     hidden_group_size_x
      - .offset:         342
        .size:           2
        .value_kind:     hidden_group_size_y
      - .offset:         344
        .size:           2
        .value_kind:     hidden_group_size_z
      - .offset:         346
        .size:           2
        .value_kind:     hidden_remainder_x
      - .offset:         348
        .size:           2
        .value_kind:     hidden_remainder_y
      - .offset:         350
        .size:           2
        .value_kind:     hidden_remainder_z
      - .offset:         368
        .size:           8
        .value_kind:     hidden_global_offset_x
      - .offset:         376
        .size:           8
        .value_kind:     hidden_global_offset_y
      - .offset:         384
        .size:           8
        .value_kind:     hidden_global_offset_z
      - .offset:         392
        .size:           2
        .value_kind:     hidden_grid_dims
    .group_segment_fixed_size: 0
    .kernarg_segment_align: 8
    .kernarg_segment_size: 584
    .language:       OpenCL C
    .language_version:
      - 2
      - 0
    .max_flat_workgroup_size: 256
    .name:           _ZN2at6native12_GLOBAL__N_143distribution_elementwise_grid_stride_kernelImLi2EZZZNS0_9templates4cuda13random_kernelIPNS_17CUDAGeneratorImplEEEvRNS_18TensorIteratorBaseET_ENKUlvE_clEvENKUlvE3_clEvEUlP25hiprandStatePhilox4_32_10E_ZNS1_27distribution_nullary_kernelIsm15HIP_vector_typeIyLj2EES7_SF_ZZZNS5_IS7_EEvS9_SA_ENKSB_clEvENKSC_clEvEUlmE_EEvS9_T2_RKT3_T4_EUlimE0_EEvlNS_15PhiloxCudaStateET1_SK_
    .private_segment_fixed_size: 0
    .sgpr_count:     54
    .sgpr_spill_count: 0
    .symbol:         _ZN2at6native12_GLOBAL__N_143distribution_elementwise_grid_stride_kernelImLi2EZZZNS0_9templates4cuda13random_kernelIPNS_17CUDAGeneratorImplEEEvRNS_18TensorIteratorBaseET_ENKUlvE_clEvENKUlvE3_clEvEUlP25hiprandStatePhilox4_32_10E_ZNS1_27distribution_nullary_kernelIsm15HIP_vector_typeIyLj2EES7_SF_ZZZNS5_IS7_EEvS9_SA_ENKSB_clEvENKSC_clEvEUlmE_EEvS9_T2_RKT3_T4_EUlimE0_EEvlNS_15PhiloxCudaStateET1_SK_.kd
    .uniform_work_group_size: 1
    .uses_dynamic_stack: false
    .vgpr_count:     41
    .vgpr_spill_count: 0
    .wavefront_size: 32
    .workgroup_processor_mode: 1
  - .args:
      - .offset:         0
        .size:           8
        .value_kind:     by_value
      - .offset:         8
        .size:           32
        .value_kind:     by_value
      - .offset:         40
        .size:           1
        .value_kind:     by_value
      - .offset:         48
        .size:           16
        .value_kind:     by_value
      - .offset:         64
        .size:           4
        .value_kind:     hidden_block_count_x
      - .offset:         68
        .size:           4
        .value_kind:     hidden_block_count_y
      - .offset:         72
        .size:           4
        .value_kind:     hidden_block_count_z
      - .offset:         76
        .size:           2
        .value_kind:     hidden_group_size_x
      - .offset:         78
        .size:           2
        .value_kind:     hidden_group_size_y
      - .offset:         80
        .size:           2
        .value_kind:     hidden_group_size_z
      - .offset:         82
        .size:           2
        .value_kind:     hidden_remainder_x
      - .offset:         84
        .size:           2
        .value_kind:     hidden_remainder_y
      - .offset:         86
        .size:           2
        .value_kind:     hidden_remainder_z
      - .offset:         104
        .size:           8
        .value_kind:     hidden_global_offset_x
      - .offset:         112
        .size:           8
        .value_kind:     hidden_global_offset_y
      - .offset:         120
        .size:           8
        .value_kind:     hidden_global_offset_z
      - .offset:         128
        .size:           2
        .value_kind:     hidden_grid_dims
    .group_segment_fixed_size: 0
    .kernarg_segment_align: 8
    .kernarg_segment_size: 320
    .language:       OpenCL C
    .language_version:
      - 2
      - 0
    .max_flat_workgroup_size: 256
    .name:           _ZN2at6native12_GLOBAL__N_143distribution_elementwise_grid_stride_kernelIjLi4EZZZNS0_9templates4cuda13random_kernelIPNS_17CUDAGeneratorImplEEEvRNS_18TensorIteratorBaseET_ENKUlvE_clEvENKUlvE3_clEvEUlP25hiprandStatePhilox4_32_10E0_ZNS1_27distribution_nullary_kernelIsj15HIP_vector_typeIjLj4EES7_SF_ZZZNS5_IS7_EEvS9_SA_ENKSB_clEvENKSC_clEvEUljE_EEvS9_T2_RKT3_T4_EUlijE_EEvlNS_15PhiloxCudaStateET1_SK_
    .private_segment_fixed_size: 0
    .sgpr_count:     25
    .sgpr_spill_count: 0
    .symbol:         _ZN2at6native12_GLOBAL__N_143distribution_elementwise_grid_stride_kernelIjLi4EZZZNS0_9templates4cuda13random_kernelIPNS_17CUDAGeneratorImplEEEvRNS_18TensorIteratorBaseET_ENKUlvE_clEvENKUlvE3_clEvEUlP25hiprandStatePhilox4_32_10E0_ZNS1_27distribution_nullary_kernelIsj15HIP_vector_typeIjLj4EES7_SF_ZZZNS5_IS7_EEvS9_SA_ENKSB_clEvENKSC_clEvEUljE_EEvS9_T2_RKT3_T4_EUlijE_EEvlNS_15PhiloxCudaStateET1_SK_.kd
    .uniform_work_group_size: 1
    .uses_dynamic_stack: false
    .vgpr_count:     44
    .vgpr_spill_count: 0
    .wavefront_size: 32
    .workgroup_processor_mode: 1
  - .args:
      - .offset:         0
        .size:           8
        .value_kind:     by_value
      - .offset:         8
        .size:           32
        .value_kind:     by_value
      - .offset:         40
        .size:           1
        .value_kind:     by_value
      - .offset:         48
        .size:           280
        .value_kind:     by_value
      - .offset:         328
        .size:           4
        .value_kind:     hidden_block_count_x
      - .offset:         332
        .size:           4
        .value_kind:     hidden_block_count_y
      - .offset:         336
        .size:           4
        .value_kind:     hidden_block_count_z
      - .offset:         340
        .size:           2
        .value_kind:     hidden_group_size_x
      - .offset:         342
        .size:           2
        .value_kind:     hidden_group_size_y
      - .offset:         344
        .size:           2
        .value_kind:     hidden_group_size_z
      - .offset:         346
        .size:           2
        .value_kind:     hidden_remainder_x
      - .offset:         348
        .size:           2
        .value_kind:     hidden_remainder_y
      - .offset:         350
        .size:           2
        .value_kind:     hidden_remainder_z
      - .offset:         368
        .size:           8
        .value_kind:     hidden_global_offset_x
      - .offset:         376
        .size:           8
        .value_kind:     hidden_global_offset_y
      - .offset:         384
        .size:           8
        .value_kind:     hidden_global_offset_z
      - .offset:         392
        .size:           2
        .value_kind:     hidden_grid_dims
    .group_segment_fixed_size: 0
    .kernarg_segment_align: 8
    .kernarg_segment_size: 584
    .language:       OpenCL C
    .language_version:
      - 2
      - 0
    .max_flat_workgroup_size: 256
    .name:           _ZN2at6native12_GLOBAL__N_143distribution_elementwise_grid_stride_kernelIjLi4EZZZNS0_9templates4cuda13random_kernelIPNS_17CUDAGeneratorImplEEEvRNS_18TensorIteratorBaseET_ENKUlvE_clEvENKUlvE3_clEvEUlP25hiprandStatePhilox4_32_10E0_ZNS1_27distribution_nullary_kernelIsj15HIP_vector_typeIjLj4EES7_SF_ZZZNS5_IS7_EEvS9_SA_ENKSB_clEvENKSC_clEvEUljE_EEvS9_T2_RKT3_T4_EUlijE0_EEvlNS_15PhiloxCudaStateET1_SK_
    .private_segment_fixed_size: 0
    .sgpr_count:     58
    .sgpr_spill_count: 0
    .symbol:         _ZN2at6native12_GLOBAL__N_143distribution_elementwise_grid_stride_kernelIjLi4EZZZNS0_9templates4cuda13random_kernelIPNS_17CUDAGeneratorImplEEEvRNS_18TensorIteratorBaseET_ENKUlvE_clEvENKUlvE3_clEvEUlP25hiprandStatePhilox4_32_10E0_ZNS1_27distribution_nullary_kernelIsj15HIP_vector_typeIjLj4EES7_SF_ZZZNS5_IS7_EEvS9_SA_ENKSB_clEvENKSC_clEvEUljE_EEvS9_T2_RKT3_T4_EUlijE0_EEvlNS_15PhiloxCudaStateET1_SK_.kd
    .uniform_work_group_size: 1
    .uses_dynamic_stack: false
    .vgpr_count:     44
    .vgpr_spill_count: 0
    .wavefront_size: 32
    .workgroup_processor_mode: 1
  - .args:
      - .offset:         0
        .size:           8
        .value_kind:     by_value
      - .offset:         8
        .size:           32
        .value_kind:     by_value
      - .offset:         40
        .size:           1
        .value_kind:     by_value
      - .offset:         48
        .size:           16
        .value_kind:     by_value
      - .offset:         64
        .size:           4
        .value_kind:     hidden_block_count_x
      - .offset:         68
        .size:           4
        .value_kind:     hidden_block_count_y
      - .offset:         72
        .size:           4
        .value_kind:     hidden_block_count_z
      - .offset:         76
        .size:           2
        .value_kind:     hidden_group_size_x
      - .offset:         78
        .size:           2
        .value_kind:     hidden_group_size_y
      - .offset:         80
        .size:           2
        .value_kind:     hidden_group_size_z
      - .offset:         82
        .size:           2
        .value_kind:     hidden_remainder_x
      - .offset:         84
        .size:           2
        .value_kind:     hidden_remainder_y
      - .offset:         86
        .size:           2
        .value_kind:     hidden_remainder_z
      - .offset:         104
        .size:           8
        .value_kind:     hidden_global_offset_x
      - .offset:         112
        .size:           8
        .value_kind:     hidden_global_offset_y
      - .offset:         120
        .size:           8
        .value_kind:     hidden_global_offset_z
      - .offset:         128
        .size:           2
        .value_kind:     hidden_grid_dims
    .group_segment_fixed_size: 0
    .kernarg_segment_align: 8
    .kernarg_segment_size: 320
    .language:       OpenCL C
    .language_version:
      - 2
      - 0
    .max_flat_workgroup_size: 256
    .name:           _ZN2at6native12_GLOBAL__N_143distribution_elementwise_grid_stride_kernelImLi2EZZZNS0_9templates4cuda13random_kernelIPNS_17CUDAGeneratorImplEEEvRNS_18TensorIteratorBaseET_ENKUlvE_clEvENKUlvE4_clEvEUlP25hiprandStatePhilox4_32_10E_ZNS1_27distribution_nullary_kernelIdm15HIP_vector_typeIyLj2EES7_SF_ZZZNS5_IS7_EEvS9_SA_ENKSB_clEvENKSC_clEvEUlmE_EEvS9_T2_RKT3_T4_EUlimE_EEvlNS_15PhiloxCudaStateET1_SK_
    .private_segment_fixed_size: 0
    .sgpr_count:     25
    .sgpr_spill_count: 0
    .symbol:         _ZN2at6native12_GLOBAL__N_143distribution_elementwise_grid_stride_kernelImLi2EZZZNS0_9templates4cuda13random_kernelIPNS_17CUDAGeneratorImplEEEvRNS_18TensorIteratorBaseET_ENKUlvE_clEvENKUlvE4_clEvEUlP25hiprandStatePhilox4_32_10E_ZNS1_27distribution_nullary_kernelIdm15HIP_vector_typeIyLj2EES7_SF_ZZZNS5_IS7_EEvS9_SA_ENKSB_clEvENKSC_clEvEUlmE_EEvS9_T2_RKT3_T4_EUlimE_EEvlNS_15PhiloxCudaStateET1_SK_.kd
    .uniform_work_group_size: 1
    .uses_dynamic_stack: false
    .vgpr_count:     45
    .vgpr_spill_count: 0
    .wavefront_size: 32
    .workgroup_processor_mode: 1
  - .args:
      - .offset:         0
        .size:           8
        .value_kind:     by_value
      - .offset:         8
        .size:           32
        .value_kind:     by_value
      - .offset:         40
        .size:           1
        .value_kind:     by_value
      - .offset:         48
        .size:           280
        .value_kind:     by_value
      - .offset:         328
        .size:           4
        .value_kind:     hidden_block_count_x
      - .offset:         332
        .size:           4
        .value_kind:     hidden_block_count_y
      - .offset:         336
        .size:           4
        .value_kind:     hidden_block_count_z
      - .offset:         340
        .size:           2
        .value_kind:     hidden_group_size_x
      - .offset:         342
        .size:           2
        .value_kind:     hidden_group_size_y
      - .offset:         344
        .size:           2
        .value_kind:     hidden_group_size_z
      - .offset:         346
        .size:           2
        .value_kind:     hidden_remainder_x
      - .offset:         348
        .size:           2
        .value_kind:     hidden_remainder_y
      - .offset:         350
        .size:           2
        .value_kind:     hidden_remainder_z
      - .offset:         368
        .size:           8
        .value_kind:     hidden_global_offset_x
      - .offset:         376
        .size:           8
        .value_kind:     hidden_global_offset_y
      - .offset:         384
        .size:           8
        .value_kind:     hidden_global_offset_z
      - .offset:         392
        .size:           2
        .value_kind:     hidden_grid_dims
    .group_segment_fixed_size: 0
    .kernarg_segment_align: 8
    .kernarg_segment_size: 584
    .language:       OpenCL C
    .language_version:
      - 2
      - 0
    .max_flat_workgroup_size: 256
    .name:           _ZN2at6native12_GLOBAL__N_143distribution_elementwise_grid_stride_kernelImLi2EZZZNS0_9templates4cuda13random_kernelIPNS_17CUDAGeneratorImplEEEvRNS_18TensorIteratorBaseET_ENKUlvE_clEvENKUlvE4_clEvEUlP25hiprandStatePhilox4_32_10E_ZNS1_27distribution_nullary_kernelIdm15HIP_vector_typeIyLj2EES7_SF_ZZZNS5_IS7_EEvS9_SA_ENKSB_clEvENKSC_clEvEUlmE_EEvS9_T2_RKT3_T4_EUlimE0_EEvlNS_15PhiloxCudaStateET1_SK_
    .private_segment_fixed_size: 0
    .sgpr_count:     54
    .sgpr_spill_count: 0
    .symbol:         _ZN2at6native12_GLOBAL__N_143distribution_elementwise_grid_stride_kernelImLi2EZZZNS0_9templates4cuda13random_kernelIPNS_17CUDAGeneratorImplEEEvRNS_18TensorIteratorBaseET_ENKUlvE_clEvENKUlvE4_clEvEUlP25hiprandStatePhilox4_32_10E_ZNS1_27distribution_nullary_kernelIdm15HIP_vector_typeIyLj2EES7_SF_ZZZNS5_IS7_EEvS9_SA_ENKSB_clEvENKSC_clEvEUlmE_EEvS9_T2_RKT3_T4_EUlimE0_EEvlNS_15PhiloxCudaStateET1_SK_.kd
    .uniform_work_group_size: 1
    .uses_dynamic_stack: false
    .vgpr_count:     44
    .vgpr_spill_count: 0
    .wavefront_size: 32
    .workgroup_processor_mode: 1
  - .args:
      - .offset:         0
        .size:           8
        .value_kind:     by_value
      - .offset:         8
        .size:           32
        .value_kind:     by_value
      - .offset:         40
        .size:           1
        .value_kind:     by_value
      - .offset:         48
        .size:           16
        .value_kind:     by_value
      - .offset:         64
        .size:           4
        .value_kind:     hidden_block_count_x
      - .offset:         68
        .size:           4
        .value_kind:     hidden_block_count_y
      - .offset:         72
        .size:           4
        .value_kind:     hidden_block_count_z
      - .offset:         76
        .size:           2
        .value_kind:     hidden_group_size_x
      - .offset:         78
        .size:           2
        .value_kind:     hidden_group_size_y
      - .offset:         80
        .size:           2
        .value_kind:     hidden_group_size_z
      - .offset:         82
        .size:           2
        .value_kind:     hidden_remainder_x
      - .offset:         84
        .size:           2
        .value_kind:     hidden_remainder_y
      - .offset:         86
        .size:           2
        .value_kind:     hidden_remainder_z
      - .offset:         104
        .size:           8
        .value_kind:     hidden_global_offset_x
      - .offset:         112
        .size:           8
        .value_kind:     hidden_global_offset_y
      - .offset:         120
        .size:           8
        .value_kind:     hidden_global_offset_z
      - .offset:         128
        .size:           2
        .value_kind:     hidden_grid_dims
    .group_segment_fixed_size: 0
    .kernarg_segment_align: 8
    .kernarg_segment_size: 320
    .language:       OpenCL C
    .language_version:
      - 2
      - 0
    .max_flat_workgroup_size: 256
    .name:           _ZN2at6native12_GLOBAL__N_143distribution_elementwise_grid_stride_kernelIjLi4EZZZNS0_9templates4cuda13random_kernelIPNS_17CUDAGeneratorImplEEEvRNS_18TensorIteratorBaseET_ENKUlvE_clEvENKUlvE4_clEvEUlP25hiprandStatePhilox4_32_10E0_ZNS1_27distribution_nullary_kernelIdj15HIP_vector_typeIjLj4EES7_SF_ZZZNS5_IS7_EEvS9_SA_ENKSB_clEvENKSC_clEvEUljE_EEvS9_T2_RKT3_T4_EUlijE_EEvlNS_15PhiloxCudaStateET1_SK_
    .private_segment_fixed_size: 0
    .sgpr_count:     25
    .sgpr_spill_count: 0
    .symbol:         _ZN2at6native12_GLOBAL__N_143distribution_elementwise_grid_stride_kernelIjLi4EZZZNS0_9templates4cuda13random_kernelIPNS_17CUDAGeneratorImplEEEvRNS_18TensorIteratorBaseET_ENKUlvE_clEvENKUlvE4_clEvEUlP25hiprandStatePhilox4_32_10E0_ZNS1_27distribution_nullary_kernelIdj15HIP_vector_typeIjLj4EES7_SF_ZZZNS5_IS7_EEvS9_SA_ENKSB_clEvENKSC_clEvEUljE_EEvS9_T2_RKT3_T4_EUlijE_EEvlNS_15PhiloxCudaStateET1_SK_.kd
    .uniform_work_group_size: 1
    .uses_dynamic_stack: false
    .vgpr_count:     44
    .vgpr_spill_count: 0
    .wavefront_size: 32
    .workgroup_processor_mode: 1
  - .args:
      - .offset:         0
        .size:           8
        .value_kind:     by_value
      - .offset:         8
        .size:           32
        .value_kind:     by_value
      - .offset:         40
        .size:           1
        .value_kind:     by_value
      - .offset:         48
        .size:           280
        .value_kind:     by_value
      - .offset:         328
        .size:           4
        .value_kind:     hidden_block_count_x
      - .offset:         332
        .size:           4
        .value_kind:     hidden_block_count_y
      - .offset:         336
        .size:           4
        .value_kind:     hidden_block_count_z
      - .offset:         340
        .size:           2
        .value_kind:     hidden_group_size_x
      - .offset:         342
        .size:           2
        .value_kind:     hidden_group_size_y
      - .offset:         344
        .size:           2
        .value_kind:     hidden_group_size_z
      - .offset:         346
        .size:           2
        .value_kind:     hidden_remainder_x
      - .offset:         348
        .size:           2
        .value_kind:     hidden_remainder_y
      - .offset:         350
        .size:           2
        .value_kind:     hidden_remainder_z
      - .offset:         368
        .size:           8
        .value_kind:     hidden_global_offset_x
      - .offset:         376
        .size:           8
        .value_kind:     hidden_global_offset_y
      - .offset:         384
        .size:           8
        .value_kind:     hidden_global_offset_z
      - .offset:         392
        .size:           2
        .value_kind:     hidden_grid_dims
    .group_segment_fixed_size: 0
    .kernarg_segment_align: 8
    .kernarg_segment_size: 584
    .language:       OpenCL C
    .language_version:
      - 2
      - 0
    .max_flat_workgroup_size: 256
    .name:           _ZN2at6native12_GLOBAL__N_143distribution_elementwise_grid_stride_kernelIjLi4EZZZNS0_9templates4cuda13random_kernelIPNS_17CUDAGeneratorImplEEEvRNS_18TensorIteratorBaseET_ENKUlvE_clEvENKUlvE4_clEvEUlP25hiprandStatePhilox4_32_10E0_ZNS1_27distribution_nullary_kernelIdj15HIP_vector_typeIjLj4EES7_SF_ZZZNS5_IS7_EEvS9_SA_ENKSB_clEvENKSC_clEvEUljE_EEvS9_T2_RKT3_T4_EUlijE0_EEvlNS_15PhiloxCudaStateET1_SK_
    .private_segment_fixed_size: 0
    .sgpr_count:     58
    .sgpr_spill_count: 0
    .symbol:         _ZN2at6native12_GLOBAL__N_143distribution_elementwise_grid_stride_kernelIjLi4EZZZNS0_9templates4cuda13random_kernelIPNS_17CUDAGeneratorImplEEEvRNS_18TensorIteratorBaseET_ENKUlvE_clEvENKUlvE4_clEvEUlP25hiprandStatePhilox4_32_10E0_ZNS1_27distribution_nullary_kernelIdj15HIP_vector_typeIjLj4EES7_SF_ZZZNS5_IS7_EEvS9_SA_ENKSB_clEvENKSC_clEvEUljE_EEvS9_T2_RKT3_T4_EUlijE0_EEvlNS_15PhiloxCudaStateET1_SK_.kd
    .uniform_work_group_size: 1
    .uses_dynamic_stack: false
    .vgpr_count:     44
    .vgpr_spill_count: 0
    .wavefront_size: 32
    .workgroup_processor_mode: 1
  - .args:
      - .offset:         0
        .size:           8
        .value_kind:     by_value
      - .offset:         8
        .size:           32
        .value_kind:     by_value
      - .offset:         40
        .size:           1
        .value_kind:     by_value
      - .offset:         48
        .size:           16
        .value_kind:     by_value
      - .offset:         64
        .size:           4
        .value_kind:     hidden_block_count_x
      - .offset:         68
        .size:           4
        .value_kind:     hidden_block_count_y
      - .offset:         72
        .size:           4
        .value_kind:     hidden_block_count_z
      - .offset:         76
        .size:           2
        .value_kind:     hidden_group_size_x
      - .offset:         78
        .size:           2
        .value_kind:     hidden_group_size_y
      - .offset:         80
        .size:           2
        .value_kind:     hidden_group_size_z
      - .offset:         82
        .size:           2
        .value_kind:     hidden_remainder_x
      - .offset:         84
        .size:           2
        .value_kind:     hidden_remainder_y
      - .offset:         86
        .size:           2
        .value_kind:     hidden_remainder_z
      - .offset:         104
        .size:           8
        .value_kind:     hidden_global_offset_x
      - .offset:         112
        .size:           8
        .value_kind:     hidden_global_offset_y
      - .offset:         120
        .size:           8
        .value_kind:     hidden_global_offset_z
      - .offset:         128
        .size:           2
        .value_kind:     hidden_grid_dims
    .group_segment_fixed_size: 0
    .kernarg_segment_align: 8
    .kernarg_segment_size: 320
    .language:       OpenCL C
    .language_version:
      - 2
      - 0
    .max_flat_workgroup_size: 256
    .name:           _ZN2at6native12_GLOBAL__N_143distribution_elementwise_grid_stride_kernelImLi2EZZZNS0_9templates4cuda13random_kernelIPNS_17CUDAGeneratorImplEEEvRNS_18TensorIteratorBaseET_ENKUlvE_clEvENKUlvE5_clEvEUlP25hiprandStatePhilox4_32_10E_ZNS1_27distribution_nullary_kernelIfm15HIP_vector_typeIyLj2EES7_SF_ZZZNS5_IS7_EEvS9_SA_ENKSB_clEvENKSC_clEvEUlmE_EEvS9_T2_RKT3_T4_EUlimE_EEvlNS_15PhiloxCudaStateET1_SK_
    .private_segment_fixed_size: 0
    .sgpr_count:     25
    .sgpr_spill_count: 0
    .symbol:         _ZN2at6native12_GLOBAL__N_143distribution_elementwise_grid_stride_kernelImLi2EZZZNS0_9templates4cuda13random_kernelIPNS_17CUDAGeneratorImplEEEvRNS_18TensorIteratorBaseET_ENKUlvE_clEvENKUlvE5_clEvEUlP25hiprandStatePhilox4_32_10E_ZNS1_27distribution_nullary_kernelIfm15HIP_vector_typeIyLj2EES7_SF_ZZZNS5_IS7_EEvS9_SA_ENKSB_clEvENKSC_clEvEUlmE_EEvS9_T2_RKT3_T4_EUlimE_EEvlNS_15PhiloxCudaStateET1_SK_.kd
    .uniform_work_group_size: 1
    .uses_dynamic_stack: false
    .vgpr_count:     45
    .vgpr_spill_count: 0
    .wavefront_size: 32
    .workgroup_processor_mode: 1
  - .args:
      - .offset:         0
        .size:           8
        .value_kind:     by_value
      - .offset:         8
        .size:           32
        .value_kind:     by_value
      - .offset:         40
        .size:           1
        .value_kind:     by_value
      - .offset:         48
        .size:           280
        .value_kind:     by_value
      - .offset:         328
        .size:           4
        .value_kind:     hidden_block_count_x
      - .offset:         332
        .size:           4
        .value_kind:     hidden_block_count_y
      - .offset:         336
        .size:           4
        .value_kind:     hidden_block_count_z
      - .offset:         340
        .size:           2
        .value_kind:     hidden_group_size_x
      - .offset:         342
        .size:           2
        .value_kind:     hidden_group_size_y
      - .offset:         344
        .size:           2
        .value_kind:     hidden_group_size_z
      - .offset:         346
        .size:           2
        .value_kind:     hidden_remainder_x
      - .offset:         348
        .size:           2
        .value_kind:     hidden_remainder_y
      - .offset:         350
        .size:           2
        .value_kind:     hidden_remainder_z
      - .offset:         368
        .size:           8
        .value_kind:     hidden_global_offset_x
      - .offset:         376
        .size:           8
        .value_kind:     hidden_global_offset_y
      - .offset:         384
        .size:           8
        .value_kind:     hidden_global_offset_z
      - .offset:         392
        .size:           2
        .value_kind:     hidden_grid_dims
    .group_segment_fixed_size: 0
    .kernarg_segment_align: 8
    .kernarg_segment_size: 584
    .language:       OpenCL C
    .language_version:
      - 2
      - 0
    .max_flat_workgroup_size: 256
    .name:           _ZN2at6native12_GLOBAL__N_143distribution_elementwise_grid_stride_kernelImLi2EZZZNS0_9templates4cuda13random_kernelIPNS_17CUDAGeneratorImplEEEvRNS_18TensorIteratorBaseET_ENKUlvE_clEvENKUlvE5_clEvEUlP25hiprandStatePhilox4_32_10E_ZNS1_27distribution_nullary_kernelIfm15HIP_vector_typeIyLj2EES7_SF_ZZZNS5_IS7_EEvS9_SA_ENKSB_clEvENKSC_clEvEUlmE_EEvS9_T2_RKT3_T4_EUlimE0_EEvlNS_15PhiloxCudaStateET1_SK_
    .private_segment_fixed_size: 0
    .sgpr_count:     54
    .sgpr_spill_count: 0
    .symbol:         _ZN2at6native12_GLOBAL__N_143distribution_elementwise_grid_stride_kernelImLi2EZZZNS0_9templates4cuda13random_kernelIPNS_17CUDAGeneratorImplEEEvRNS_18TensorIteratorBaseET_ENKUlvE_clEvENKUlvE5_clEvEUlP25hiprandStatePhilox4_32_10E_ZNS1_27distribution_nullary_kernelIfm15HIP_vector_typeIyLj2EES7_SF_ZZZNS5_IS7_EEvS9_SA_ENKSB_clEvENKSC_clEvEUlmE_EEvS9_T2_RKT3_T4_EUlimE0_EEvlNS_15PhiloxCudaStateET1_SK_.kd
    .uniform_work_group_size: 1
    .uses_dynamic_stack: false
    .vgpr_count:     44
    .vgpr_spill_count: 0
    .wavefront_size: 32
    .workgroup_processor_mode: 1
  - .args:
      - .offset:         0
        .size:           8
        .value_kind:     by_value
      - .offset:         8
        .size:           32
        .value_kind:     by_value
      - .offset:         40
        .size:           1
        .value_kind:     by_value
      - .offset:         48
        .size:           16
        .value_kind:     by_value
      - .offset:         64
        .size:           4
        .value_kind:     hidden_block_count_x
      - .offset:         68
        .size:           4
        .value_kind:     hidden_block_count_y
      - .offset:         72
        .size:           4
        .value_kind:     hidden_block_count_z
      - .offset:         76
        .size:           2
        .value_kind:     hidden_group_size_x
      - .offset:         78
        .size:           2
        .value_kind:     hidden_group_size_y
      - .offset:         80
        .size:           2
        .value_kind:     hidden_group_size_z
      - .offset:         82
        .size:           2
        .value_kind:     hidden_remainder_x
      - .offset:         84
        .size:           2
        .value_kind:     hidden_remainder_y
      - .offset:         86
        .size:           2
        .value_kind:     hidden_remainder_z
      - .offset:         104
        .size:           8
        .value_kind:     hidden_global_offset_x
      - .offset:         112
        .size:           8
        .value_kind:     hidden_global_offset_y
      - .offset:         120
        .size:           8
        .value_kind:     hidden_global_offset_z
      - .offset:         128
        .size:           2
        .value_kind:     hidden_grid_dims
    .group_segment_fixed_size: 0
    .kernarg_segment_align: 8
    .kernarg_segment_size: 320
    .language:       OpenCL C
    .language_version:
      - 2
      - 0
    .max_flat_workgroup_size: 256
    .name:           _ZN2at6native12_GLOBAL__N_143distribution_elementwise_grid_stride_kernelIjLi4EZZZNS0_9templates4cuda13random_kernelIPNS_17CUDAGeneratorImplEEEvRNS_18TensorIteratorBaseET_ENKUlvE_clEvENKUlvE5_clEvEUlP25hiprandStatePhilox4_32_10E0_ZNS1_27distribution_nullary_kernelIfj15HIP_vector_typeIjLj4EES7_SF_ZZZNS5_IS7_EEvS9_SA_ENKSB_clEvENKSC_clEvEUljE_EEvS9_T2_RKT3_T4_EUlijE_EEvlNS_15PhiloxCudaStateET1_SK_
    .private_segment_fixed_size: 0
    .sgpr_count:     25
    .sgpr_spill_count: 0
    .symbol:         _ZN2at6native12_GLOBAL__N_143distribution_elementwise_grid_stride_kernelIjLi4EZZZNS0_9templates4cuda13random_kernelIPNS_17CUDAGeneratorImplEEEvRNS_18TensorIteratorBaseET_ENKUlvE_clEvENKUlvE5_clEvEUlP25hiprandStatePhilox4_32_10E0_ZNS1_27distribution_nullary_kernelIfj15HIP_vector_typeIjLj4EES7_SF_ZZZNS5_IS7_EEvS9_SA_ENKSB_clEvENKSC_clEvEUljE_EEvS9_T2_RKT3_T4_EUlijE_EEvlNS_15PhiloxCudaStateET1_SK_.kd
    .uniform_work_group_size: 1
    .uses_dynamic_stack: false
    .vgpr_count:     44
    .vgpr_spill_count: 0
    .wavefront_size: 32
    .workgroup_processor_mode: 1
  - .args:
      - .offset:         0
        .size:           8
        .value_kind:     by_value
      - .offset:         8
        .size:           32
        .value_kind:     by_value
      - .offset:         40
        .size:           1
        .value_kind:     by_value
      - .offset:         48
        .size:           280
        .value_kind:     by_value
      - .offset:         328
        .size:           4
        .value_kind:     hidden_block_count_x
      - .offset:         332
        .size:           4
        .value_kind:     hidden_block_count_y
      - .offset:         336
        .size:           4
        .value_kind:     hidden_block_count_z
      - .offset:         340
        .size:           2
        .value_kind:     hidden_group_size_x
      - .offset:         342
        .size:           2
        .value_kind:     hidden_group_size_y
      - .offset:         344
        .size:           2
        .value_kind:     hidden_group_size_z
      - .offset:         346
        .size:           2
        .value_kind:     hidden_remainder_x
      - .offset:         348
        .size:           2
        .value_kind:     hidden_remainder_y
      - .offset:         350
        .size:           2
        .value_kind:     hidden_remainder_z
      - .offset:         368
        .size:           8
        .value_kind:     hidden_global_offset_x
      - .offset:         376
        .size:           8
        .value_kind:     hidden_global_offset_y
      - .offset:         384
        .size:           8
        .value_kind:     hidden_global_offset_z
      - .offset:         392
        .size:           2
        .value_kind:     hidden_grid_dims
    .group_segment_fixed_size: 0
    .kernarg_segment_align: 8
    .kernarg_segment_size: 584
    .language:       OpenCL C
    .language_version:
      - 2
      - 0
    .max_flat_workgroup_size: 256
    .name:           _ZN2at6native12_GLOBAL__N_143distribution_elementwise_grid_stride_kernelIjLi4EZZZNS0_9templates4cuda13random_kernelIPNS_17CUDAGeneratorImplEEEvRNS_18TensorIteratorBaseET_ENKUlvE_clEvENKUlvE5_clEvEUlP25hiprandStatePhilox4_32_10E0_ZNS1_27distribution_nullary_kernelIfj15HIP_vector_typeIjLj4EES7_SF_ZZZNS5_IS7_EEvS9_SA_ENKSB_clEvENKSC_clEvEUljE_EEvS9_T2_RKT3_T4_EUlijE0_EEvlNS_15PhiloxCudaStateET1_SK_
    .private_segment_fixed_size: 0
    .sgpr_count:     58
    .sgpr_spill_count: 0
    .symbol:         _ZN2at6native12_GLOBAL__N_143distribution_elementwise_grid_stride_kernelIjLi4EZZZNS0_9templates4cuda13random_kernelIPNS_17CUDAGeneratorImplEEEvRNS_18TensorIteratorBaseET_ENKUlvE_clEvENKUlvE5_clEvEUlP25hiprandStatePhilox4_32_10E0_ZNS1_27distribution_nullary_kernelIfj15HIP_vector_typeIjLj4EES7_SF_ZZZNS5_IS7_EEvS9_SA_ENKSB_clEvENKSC_clEvEUljE_EEvS9_T2_RKT3_T4_EUlijE0_EEvlNS_15PhiloxCudaStateET1_SK_.kd
    .uniform_work_group_size: 1
    .uses_dynamic_stack: false
    .vgpr_count:     44
    .vgpr_spill_count: 0
    .wavefront_size: 32
    .workgroup_processor_mode: 1
  - .args:
      - .offset:         0
        .size:           8
        .value_kind:     by_value
      - .offset:         8
        .size:           32
        .value_kind:     by_value
      - .offset:         40
        .size:           1
        .value_kind:     by_value
      - .offset:         48
        .size:           16
        .value_kind:     by_value
      - .offset:         64
        .size:           4
        .value_kind:     hidden_block_count_x
      - .offset:         68
        .size:           4
        .value_kind:     hidden_block_count_y
      - .offset:         72
        .size:           4
        .value_kind:     hidden_block_count_z
      - .offset:         76
        .size:           2
        .value_kind:     hidden_group_size_x
      - .offset:         78
        .size:           2
        .value_kind:     hidden_group_size_y
      - .offset:         80
        .size:           2
        .value_kind:     hidden_group_size_z
      - .offset:         82
        .size:           2
        .value_kind:     hidden_remainder_x
      - .offset:         84
        .size:           2
        .value_kind:     hidden_remainder_y
      - .offset:         86
        .size:           2
        .value_kind:     hidden_remainder_z
      - .offset:         104
        .size:           8
        .value_kind:     hidden_global_offset_x
      - .offset:         112
        .size:           8
        .value_kind:     hidden_global_offset_y
      - .offset:         120
        .size:           8
        .value_kind:     hidden_global_offset_z
      - .offset:         128
        .size:           2
        .value_kind:     hidden_grid_dims
    .group_segment_fixed_size: 0
    .kernarg_segment_align: 8
    .kernarg_segment_size: 320
    .language:       OpenCL C
    .language_version:
      - 2
      - 0
    .max_flat_workgroup_size: 256
    .name:           _ZN2at6native12_GLOBAL__N_143distribution_elementwise_grid_stride_kernelImLi2EZZZNS0_9templates4cuda13random_kernelIPNS_17CUDAGeneratorImplEEEvRNS_18TensorIteratorBaseET_ENKUlvE_clEvENKUlvE6_clEvEUlP25hiprandStatePhilox4_32_10E_ZNS1_27distribution_nullary_kernelIN3c104HalfEm15HIP_vector_typeIyLj2EES7_SF_ZZZNS5_IS7_EEvS9_SA_ENKSB_clEvENKSC_clEvEUlmE_EEvS9_T2_RKT3_T4_EUlimE_EEvlNS_15PhiloxCudaStateET1_SM_
    .private_segment_fixed_size: 0
    .sgpr_count:     25
    .sgpr_spill_count: 0
    .symbol:         _ZN2at6native12_GLOBAL__N_143distribution_elementwise_grid_stride_kernelImLi2EZZZNS0_9templates4cuda13random_kernelIPNS_17CUDAGeneratorImplEEEvRNS_18TensorIteratorBaseET_ENKUlvE_clEvENKUlvE6_clEvEUlP25hiprandStatePhilox4_32_10E_ZNS1_27distribution_nullary_kernelIN3c104HalfEm15HIP_vector_typeIyLj2EES7_SF_ZZZNS5_IS7_EEvS9_SA_ENKSB_clEvENKSC_clEvEUlmE_EEvS9_T2_RKT3_T4_EUlimE_EEvlNS_15PhiloxCudaStateET1_SM_.kd
    .uniform_work_group_size: 1
    .uses_dynamic_stack: false
    .vgpr_count:     43
    .vgpr_spill_count: 0
    .wavefront_size: 32
    .workgroup_processor_mode: 1
  - .args:
      - .offset:         0
        .size:           8
        .value_kind:     by_value
      - .offset:         8
        .size:           32
        .value_kind:     by_value
      - .offset:         40
        .size:           1
        .value_kind:     by_value
      - .offset:         48
        .size:           280
        .value_kind:     by_value
      - .offset:         328
        .size:           4
        .value_kind:     hidden_block_count_x
      - .offset:         332
        .size:           4
        .value_kind:     hidden_block_count_y
      - .offset:         336
        .size:           4
        .value_kind:     hidden_block_count_z
      - .offset:         340
        .size:           2
        .value_kind:     hidden_group_size_x
      - .offset:         342
        .size:           2
        .value_kind:     hidden_group_size_y
      - .offset:         344
        .size:           2
        .value_kind:     hidden_group_size_z
      - .offset:         346
        .size:           2
        .value_kind:     hidden_remainder_x
      - .offset:         348
        .size:           2
        .value_kind:     hidden_remainder_y
      - .offset:         350
        .size:           2
        .value_kind:     hidden_remainder_z
      - .offset:         368
        .size:           8
        .value_kind:     hidden_global_offset_x
      - .offset:         376
        .size:           8
        .value_kind:     hidden_global_offset_y
      - .offset:         384
        .size:           8
        .value_kind:     hidden_global_offset_z
      - .offset:         392
        .size:           2
        .value_kind:     hidden_grid_dims
    .group_segment_fixed_size: 0
    .kernarg_segment_align: 8
    .kernarg_segment_size: 584
    .language:       OpenCL C
    .language_version:
      - 2
      - 0
    .max_flat_workgroup_size: 256
    .name:           _ZN2at6native12_GLOBAL__N_143distribution_elementwise_grid_stride_kernelImLi2EZZZNS0_9templates4cuda13random_kernelIPNS_17CUDAGeneratorImplEEEvRNS_18TensorIteratorBaseET_ENKUlvE_clEvENKUlvE6_clEvEUlP25hiprandStatePhilox4_32_10E_ZNS1_27distribution_nullary_kernelIN3c104HalfEm15HIP_vector_typeIyLj2EES7_SF_ZZZNS5_IS7_EEvS9_SA_ENKSB_clEvENKSC_clEvEUlmE_EEvS9_T2_RKT3_T4_EUlimE0_EEvlNS_15PhiloxCudaStateET1_SM_
    .private_segment_fixed_size: 0
    .sgpr_count:     54
    .sgpr_spill_count: 0
    .symbol:         _ZN2at6native12_GLOBAL__N_143distribution_elementwise_grid_stride_kernelImLi2EZZZNS0_9templates4cuda13random_kernelIPNS_17CUDAGeneratorImplEEEvRNS_18TensorIteratorBaseET_ENKUlvE_clEvENKUlvE6_clEvEUlP25hiprandStatePhilox4_32_10E_ZNS1_27distribution_nullary_kernelIN3c104HalfEm15HIP_vector_typeIyLj2EES7_SF_ZZZNS5_IS7_EEvS9_SA_ENKSB_clEvENKSC_clEvEUlmE_EEvS9_T2_RKT3_T4_EUlimE0_EEvlNS_15PhiloxCudaStateET1_SM_.kd
    .uniform_work_group_size: 1
    .uses_dynamic_stack: false
    .vgpr_count:     44
    .vgpr_spill_count: 0
    .wavefront_size: 32
    .workgroup_processor_mode: 1
  - .args:
      - .offset:         0
        .size:           8
        .value_kind:     by_value
      - .offset:         8
        .size:           32
        .value_kind:     by_value
      - .offset:         40
        .size:           1
        .value_kind:     by_value
      - .offset:         48
        .size:           16
        .value_kind:     by_value
      - .offset:         64
        .size:           4
        .value_kind:     hidden_block_count_x
      - .offset:         68
        .size:           4
        .value_kind:     hidden_block_count_y
      - .offset:         72
        .size:           4
        .value_kind:     hidden_block_count_z
      - .offset:         76
        .size:           2
        .value_kind:     hidden_group_size_x
      - .offset:         78
        .size:           2
        .value_kind:     hidden_group_size_y
      - .offset:         80
        .size:           2
        .value_kind:     hidden_group_size_z
      - .offset:         82
        .size:           2
        .value_kind:     hidden_remainder_x
      - .offset:         84
        .size:           2
        .value_kind:     hidden_remainder_y
      - .offset:         86
        .size:           2
        .value_kind:     hidden_remainder_z
      - .offset:         104
        .size:           8
        .value_kind:     hidden_global_offset_x
      - .offset:         112
        .size:           8
        .value_kind:     hidden_global_offset_y
      - .offset:         120
        .size:           8
        .value_kind:     hidden_global_offset_z
      - .offset:         128
        .size:           2
        .value_kind:     hidden_grid_dims
    .group_segment_fixed_size: 0
    .kernarg_segment_align: 8
    .kernarg_segment_size: 320
    .language:       OpenCL C
    .language_version:
      - 2
      - 0
    .max_flat_workgroup_size: 256
    .name:           _ZN2at6native12_GLOBAL__N_143distribution_elementwise_grid_stride_kernelIjLi4EZZZNS0_9templates4cuda13random_kernelIPNS_17CUDAGeneratorImplEEEvRNS_18TensorIteratorBaseET_ENKUlvE_clEvENKUlvE6_clEvEUlP25hiprandStatePhilox4_32_10E0_ZNS1_27distribution_nullary_kernelIN3c104HalfEj15HIP_vector_typeIjLj4EES7_SF_ZZZNS5_IS7_EEvS9_SA_ENKSB_clEvENKSC_clEvEUljE_EEvS9_T2_RKT3_T4_EUlijE_EEvlNS_15PhiloxCudaStateET1_SM_
    .private_segment_fixed_size: 0
    .sgpr_count:     25
    .sgpr_spill_count: 0
    .symbol:         _ZN2at6native12_GLOBAL__N_143distribution_elementwise_grid_stride_kernelIjLi4EZZZNS0_9templates4cuda13random_kernelIPNS_17CUDAGeneratorImplEEEvRNS_18TensorIteratorBaseET_ENKUlvE_clEvENKUlvE6_clEvEUlP25hiprandStatePhilox4_32_10E0_ZNS1_27distribution_nullary_kernelIN3c104HalfEj15HIP_vector_typeIjLj4EES7_SF_ZZZNS5_IS7_EEvS9_SA_ENKSB_clEvENKSC_clEvEUljE_EEvS9_T2_RKT3_T4_EUlijE_EEvlNS_15PhiloxCudaStateET1_SM_.kd
    .uniform_work_group_size: 1
    .uses_dynamic_stack: false
    .vgpr_count:     44
    .vgpr_spill_count: 0
    .wavefront_size: 32
    .workgroup_processor_mode: 1
  - .args:
      - .offset:         0
        .size:           8
        .value_kind:     by_value
      - .offset:         8
        .size:           32
        .value_kind:     by_value
      - .offset:         40
        .size:           1
        .value_kind:     by_value
      - .offset:         48
        .size:           280
        .value_kind:     by_value
      - .offset:         328
        .size:           4
        .value_kind:     hidden_block_count_x
      - .offset:         332
        .size:           4
        .value_kind:     hidden_block_count_y
      - .offset:         336
        .size:           4
        .value_kind:     hidden_block_count_z
      - .offset:         340
        .size:           2
        .value_kind:     hidden_group_size_x
      - .offset:         342
        .size:           2
        .value_kind:     hidden_group_size_y
      - .offset:         344
        .size:           2
        .value_kind:     hidden_group_size_z
      - .offset:         346
        .size:           2
        .value_kind:     hidden_remainder_x
      - .offset:         348
        .size:           2
        .value_kind:     hidden_remainder_y
      - .offset:         350
        .size:           2
        .value_kind:     hidden_remainder_z
      - .offset:         368
        .size:           8
        .value_kind:     hidden_global_offset_x
      - .offset:         376
        .size:           8
        .value_kind:     hidden_global_offset_y
      - .offset:         384
        .size:           8
        .value_kind:     hidden_global_offset_z
      - .offset:         392
        .size:           2
        .value_kind:     hidden_grid_dims
    .group_segment_fixed_size: 0
    .kernarg_segment_align: 8
    .kernarg_segment_size: 584
    .language:       OpenCL C
    .language_version:
      - 2
      - 0
    .max_flat_workgroup_size: 256
    .name:           _ZN2at6native12_GLOBAL__N_143distribution_elementwise_grid_stride_kernelIjLi4EZZZNS0_9templates4cuda13random_kernelIPNS_17CUDAGeneratorImplEEEvRNS_18TensorIteratorBaseET_ENKUlvE_clEvENKUlvE6_clEvEUlP25hiprandStatePhilox4_32_10E0_ZNS1_27distribution_nullary_kernelIN3c104HalfEj15HIP_vector_typeIjLj4EES7_SF_ZZZNS5_IS7_EEvS9_SA_ENKSB_clEvENKSC_clEvEUljE_EEvS9_T2_RKT3_T4_EUlijE0_EEvlNS_15PhiloxCudaStateET1_SM_
    .private_segment_fixed_size: 0
    .sgpr_count:     58
    .sgpr_spill_count: 0
    .symbol:         _ZN2at6native12_GLOBAL__N_143distribution_elementwise_grid_stride_kernelIjLi4EZZZNS0_9templates4cuda13random_kernelIPNS_17CUDAGeneratorImplEEEvRNS_18TensorIteratorBaseET_ENKUlvE_clEvENKUlvE6_clEvEUlP25hiprandStatePhilox4_32_10E0_ZNS1_27distribution_nullary_kernelIN3c104HalfEj15HIP_vector_typeIjLj4EES7_SF_ZZZNS5_IS7_EEvS9_SA_ENKSB_clEvENKSC_clEvEUljE_EEvS9_T2_RKT3_T4_EUlijE0_EEvlNS_15PhiloxCudaStateET1_SM_.kd
    .uniform_work_group_size: 1
    .uses_dynamic_stack: false
    .vgpr_count:     44
    .vgpr_spill_count: 0
    .wavefront_size: 32
    .workgroup_processor_mode: 1
  - .args:
      - .offset:         0
        .size:           8
        .value_kind:     by_value
      - .offset:         8
        .size:           32
        .value_kind:     by_value
      - .offset:         40
        .size:           1
        .value_kind:     by_value
      - .offset:         48
        .size:           16
        .value_kind:     by_value
      - .offset:         64
        .size:           4
        .value_kind:     hidden_block_count_x
      - .offset:         68
        .size:           4
        .value_kind:     hidden_block_count_y
      - .offset:         72
        .size:           4
        .value_kind:     hidden_block_count_z
      - .offset:         76
        .size:           2
        .value_kind:     hidden_group_size_x
      - .offset:         78
        .size:           2
        .value_kind:     hidden_group_size_y
      - .offset:         80
        .size:           2
        .value_kind:     hidden_group_size_z
      - .offset:         82
        .size:           2
        .value_kind:     hidden_remainder_x
      - .offset:         84
        .size:           2
        .value_kind:     hidden_remainder_y
      - .offset:         86
        .size:           2
        .value_kind:     hidden_remainder_z
      - .offset:         104
        .size:           8
        .value_kind:     hidden_global_offset_x
      - .offset:         112
        .size:           8
        .value_kind:     hidden_global_offset_y
      - .offset:         120
        .size:           8
        .value_kind:     hidden_global_offset_z
      - .offset:         128
        .size:           2
        .value_kind:     hidden_grid_dims
    .group_segment_fixed_size: 0
    .kernarg_segment_align: 8
    .kernarg_segment_size: 320
    .language:       OpenCL C
    .language_version:
      - 2
      - 0
    .max_flat_workgroup_size: 256
    .name:           _ZN2at6native12_GLOBAL__N_143distribution_elementwise_grid_stride_kernelImLi2EZZZNS0_9templates4cuda13random_kernelIPNS_17CUDAGeneratorImplEEEvRNS_18TensorIteratorBaseET_ENKUlvE_clEvENKUlvE7_clEvEUlP25hiprandStatePhilox4_32_10E_ZNS1_27distribution_nullary_kernelIN3c108BFloat16Em15HIP_vector_typeIyLj2EES7_SF_ZZZNS5_IS7_EEvS9_SA_ENKSB_clEvENKSC_clEvEUlmE_EEvS9_T2_RKT3_T4_EUlimE_EEvlNS_15PhiloxCudaStateET1_SM_
    .private_segment_fixed_size: 0
    .sgpr_count:     25
    .sgpr_spill_count: 0
    .symbol:         _ZN2at6native12_GLOBAL__N_143distribution_elementwise_grid_stride_kernelImLi2EZZZNS0_9templates4cuda13random_kernelIPNS_17CUDAGeneratorImplEEEvRNS_18TensorIteratorBaseET_ENKUlvE_clEvENKUlvE7_clEvEUlP25hiprandStatePhilox4_32_10E_ZNS1_27distribution_nullary_kernelIN3c108BFloat16Em15HIP_vector_typeIyLj2EES7_SF_ZZZNS5_IS7_EEvS9_SA_ENKSB_clEvENKSC_clEvEUlmE_EEvS9_T2_RKT3_T4_EUlimE_EEvlNS_15PhiloxCudaStateET1_SM_.kd
    .uniform_work_group_size: 1
    .uses_dynamic_stack: false
    .vgpr_count:     43
    .vgpr_spill_count: 0
    .wavefront_size: 32
    .workgroup_processor_mode: 1
  - .args:
      - .offset:         0
        .size:           8
        .value_kind:     by_value
      - .offset:         8
        .size:           32
        .value_kind:     by_value
      - .offset:         40
        .size:           1
        .value_kind:     by_value
      - .offset:         48
        .size:           280
        .value_kind:     by_value
      - .offset:         328
        .size:           4
        .value_kind:     hidden_block_count_x
      - .offset:         332
        .size:           4
        .value_kind:     hidden_block_count_y
      - .offset:         336
        .size:           4
        .value_kind:     hidden_block_count_z
      - .offset:         340
        .size:           2
        .value_kind:     hidden_group_size_x
      - .offset:         342
        .size:           2
        .value_kind:     hidden_group_size_y
      - .offset:         344
        .size:           2
        .value_kind:     hidden_group_size_z
      - .offset:         346
        .size:           2
        .value_kind:     hidden_remainder_x
      - .offset:         348
        .size:           2
        .value_kind:     hidden_remainder_y
      - .offset:         350
        .size:           2
        .value_kind:     hidden_remainder_z
      - .offset:         368
        .size:           8
        .value_kind:     hidden_global_offset_x
      - .offset:         376
        .size:           8
        .value_kind:     hidden_global_offset_y
      - .offset:         384
        .size:           8
        .value_kind:     hidden_global_offset_z
      - .offset:         392
        .size:           2
        .value_kind:     hidden_grid_dims
    .group_segment_fixed_size: 0
    .kernarg_segment_align: 8
    .kernarg_segment_size: 584
    .language:       OpenCL C
    .language_version:
      - 2
      - 0
    .max_flat_workgroup_size: 256
    .name:           _ZN2at6native12_GLOBAL__N_143distribution_elementwise_grid_stride_kernelImLi2EZZZNS0_9templates4cuda13random_kernelIPNS_17CUDAGeneratorImplEEEvRNS_18TensorIteratorBaseET_ENKUlvE_clEvENKUlvE7_clEvEUlP25hiprandStatePhilox4_32_10E_ZNS1_27distribution_nullary_kernelIN3c108BFloat16Em15HIP_vector_typeIyLj2EES7_SF_ZZZNS5_IS7_EEvS9_SA_ENKSB_clEvENKSC_clEvEUlmE_EEvS9_T2_RKT3_T4_EUlimE0_EEvlNS_15PhiloxCudaStateET1_SM_
    .private_segment_fixed_size: 0
    .sgpr_count:     54
    .sgpr_spill_count: 0
    .symbol:         _ZN2at6native12_GLOBAL__N_143distribution_elementwise_grid_stride_kernelImLi2EZZZNS0_9templates4cuda13random_kernelIPNS_17CUDAGeneratorImplEEEvRNS_18TensorIteratorBaseET_ENKUlvE_clEvENKUlvE7_clEvEUlP25hiprandStatePhilox4_32_10E_ZNS1_27distribution_nullary_kernelIN3c108BFloat16Em15HIP_vector_typeIyLj2EES7_SF_ZZZNS5_IS7_EEvS9_SA_ENKSB_clEvENKSC_clEvEUlmE_EEvS9_T2_RKT3_T4_EUlimE0_EEvlNS_15PhiloxCudaStateET1_SM_.kd
    .uniform_work_group_size: 1
    .uses_dynamic_stack: false
    .vgpr_count:     44
    .vgpr_spill_count: 0
    .wavefront_size: 32
    .workgroup_processor_mode: 1
  - .args:
      - .offset:         0
        .size:           8
        .value_kind:     by_value
      - .offset:         8
        .size:           32
        .value_kind:     by_value
      - .offset:         40
        .size:           1
        .value_kind:     by_value
      - .offset:         48
        .size:           16
        .value_kind:     by_value
      - .offset:         64
        .size:           4
        .value_kind:     hidden_block_count_x
      - .offset:         68
        .size:           4
        .value_kind:     hidden_block_count_y
      - .offset:         72
        .size:           4
        .value_kind:     hidden_block_count_z
      - .offset:         76
        .size:           2
        .value_kind:     hidden_group_size_x
      - .offset:         78
        .size:           2
        .value_kind:     hidden_group_size_y
      - .offset:         80
        .size:           2
        .value_kind:     hidden_group_size_z
      - .offset:         82
        .size:           2
        .value_kind:     hidden_remainder_x
      - .offset:         84
        .size:           2
        .value_kind:     hidden_remainder_y
      - .offset:         86
        .size:           2
        .value_kind:     hidden_remainder_z
      - .offset:         104
        .size:           8
        .value_kind:     hidden_global_offset_x
      - .offset:         112
        .size:           8
        .value_kind:     hidden_global_offset_y
      - .offset:         120
        .size:           8
        .value_kind:     hidden_global_offset_z
      - .offset:         128
        .size:           2
        .value_kind:     hidden_grid_dims
    .group_segment_fixed_size: 0
    .kernarg_segment_align: 8
    .kernarg_segment_size: 320
    .language:       OpenCL C
    .language_version:
      - 2
      - 0
    .max_flat_workgroup_size: 256
    .name:           _ZN2at6native12_GLOBAL__N_143distribution_elementwise_grid_stride_kernelIjLi4EZZZNS0_9templates4cuda13random_kernelIPNS_17CUDAGeneratorImplEEEvRNS_18TensorIteratorBaseET_ENKUlvE_clEvENKUlvE7_clEvEUlP25hiprandStatePhilox4_32_10E0_ZNS1_27distribution_nullary_kernelIN3c108BFloat16Ej15HIP_vector_typeIjLj4EES7_SF_ZZZNS5_IS7_EEvS9_SA_ENKSB_clEvENKSC_clEvEUljE_EEvS9_T2_RKT3_T4_EUlijE_EEvlNS_15PhiloxCudaStateET1_SM_
    .private_segment_fixed_size: 0
    .sgpr_count:     25
    .sgpr_spill_count: 0
    .symbol:         _ZN2at6native12_GLOBAL__N_143distribution_elementwise_grid_stride_kernelIjLi4EZZZNS0_9templates4cuda13random_kernelIPNS_17CUDAGeneratorImplEEEvRNS_18TensorIteratorBaseET_ENKUlvE_clEvENKUlvE7_clEvEUlP25hiprandStatePhilox4_32_10E0_ZNS1_27distribution_nullary_kernelIN3c108BFloat16Ej15HIP_vector_typeIjLj4EES7_SF_ZZZNS5_IS7_EEvS9_SA_ENKSB_clEvENKSC_clEvEUljE_EEvS9_T2_RKT3_T4_EUlijE_EEvlNS_15PhiloxCudaStateET1_SM_.kd
    .uniform_work_group_size: 1
    .uses_dynamic_stack: false
    .vgpr_count:     44
    .vgpr_spill_count: 0
    .wavefront_size: 32
    .workgroup_processor_mode: 1
  - .args:
      - .offset:         0
        .size:           8
        .value_kind:     by_value
      - .offset:         8
        .size:           32
        .value_kind:     by_value
      - .offset:         40
        .size:           1
        .value_kind:     by_value
      - .offset:         48
        .size:           280
        .value_kind:     by_value
      - .offset:         328
        .size:           4
        .value_kind:     hidden_block_count_x
      - .offset:         332
        .size:           4
        .value_kind:     hidden_block_count_y
      - .offset:         336
        .size:           4
        .value_kind:     hidden_block_count_z
      - .offset:         340
        .size:           2
        .value_kind:     hidden_group_size_x
      - .offset:         342
        .size:           2
        .value_kind:     hidden_group_size_y
      - .offset:         344
        .size:           2
        .value_kind:     hidden_group_size_z
      - .offset:         346
        .size:           2
        .value_kind:     hidden_remainder_x
      - .offset:         348
        .size:           2
        .value_kind:     hidden_remainder_y
      - .offset:         350
        .size:           2
        .value_kind:     hidden_remainder_z
      - .offset:         368
        .size:           8
        .value_kind:     hidden_global_offset_x
      - .offset:         376
        .size:           8
        .value_kind:     hidden_global_offset_y
      - .offset:         384
        .size:           8
        .value_kind:     hidden_global_offset_z
      - .offset:         392
        .size:           2
        .value_kind:     hidden_grid_dims
    .group_segment_fixed_size: 0
    .kernarg_segment_align: 8
    .kernarg_segment_size: 584
    .language:       OpenCL C
    .language_version:
      - 2
      - 0
    .max_flat_workgroup_size: 256
    .name:           _ZN2at6native12_GLOBAL__N_143distribution_elementwise_grid_stride_kernelIjLi4EZZZNS0_9templates4cuda13random_kernelIPNS_17CUDAGeneratorImplEEEvRNS_18TensorIteratorBaseET_ENKUlvE_clEvENKUlvE7_clEvEUlP25hiprandStatePhilox4_32_10E0_ZNS1_27distribution_nullary_kernelIN3c108BFloat16Ej15HIP_vector_typeIjLj4EES7_SF_ZZZNS5_IS7_EEvS9_SA_ENKSB_clEvENKSC_clEvEUljE_EEvS9_T2_RKT3_T4_EUlijE0_EEvlNS_15PhiloxCudaStateET1_SM_
    .private_segment_fixed_size: 0
    .sgpr_count:     58
    .sgpr_spill_count: 0
    .symbol:         _ZN2at6native12_GLOBAL__N_143distribution_elementwise_grid_stride_kernelIjLi4EZZZNS0_9templates4cuda13random_kernelIPNS_17CUDAGeneratorImplEEEvRNS_18TensorIteratorBaseET_ENKUlvE_clEvENKUlvE7_clEvEUlP25hiprandStatePhilox4_32_10E0_ZNS1_27distribution_nullary_kernelIN3c108BFloat16Ej15HIP_vector_typeIjLj4EES7_SF_ZZZNS5_IS7_EEvS9_SA_ENKSB_clEvENKSC_clEvEUljE_EEvS9_T2_RKT3_T4_EUlijE0_EEvlNS_15PhiloxCudaStateET1_SM_.kd
    .uniform_work_group_size: 1
    .uses_dynamic_stack: false
    .vgpr_count:     44
    .vgpr_spill_count: 0
    .wavefront_size: 32
    .workgroup_processor_mode: 1
  - .args:
      - .offset:         0
        .size:           8
        .value_kind:     by_value
      - .offset:         8
        .size:           32
        .value_kind:     by_value
      - .offset:         40
        .size:           1
        .value_kind:     by_value
      - .offset:         48
        .size:           16
        .value_kind:     by_value
      - .offset:         64
        .size:           4
        .value_kind:     hidden_block_count_x
      - .offset:         68
        .size:           4
        .value_kind:     hidden_block_count_y
      - .offset:         72
        .size:           4
        .value_kind:     hidden_block_count_z
      - .offset:         76
        .size:           2
        .value_kind:     hidden_group_size_x
      - .offset:         78
        .size:           2
        .value_kind:     hidden_group_size_y
      - .offset:         80
        .size:           2
        .value_kind:     hidden_group_size_z
      - .offset:         82
        .size:           2
        .value_kind:     hidden_remainder_x
      - .offset:         84
        .size:           2
        .value_kind:     hidden_remainder_y
      - .offset:         86
        .size:           2
        .value_kind:     hidden_remainder_z
      - .offset:         104
        .size:           8
        .value_kind:     hidden_global_offset_x
      - .offset:         112
        .size:           8
        .value_kind:     hidden_global_offset_y
      - .offset:         120
        .size:           8
        .value_kind:     hidden_global_offset_z
      - .offset:         128
        .size:           2
        .value_kind:     hidden_grid_dims
    .group_segment_fixed_size: 0
    .kernarg_segment_align: 8
    .kernarg_segment_size: 320
    .language:       OpenCL C
    .language_version:
      - 2
      - 0
    .max_flat_workgroup_size: 256
    .name:           _ZN2at6native12_GLOBAL__N_143distribution_elementwise_grid_stride_kernelImLi2EZZZNS0_9templates4cuda13random_kernelIPNS_17CUDAGeneratorImplEEEvRNS_18TensorIteratorBaseET_ENKUlvE_clEvENKUlvE8_clEvEUlP25hiprandStatePhilox4_32_10E_ZNS1_27distribution_nullary_kernelIbm15HIP_vector_typeIyLj2EES7_SF_ZZZNS5_IS7_EEvS9_SA_ENKSB_clEvENKSC_clEvEUlmE_EEvS9_T2_RKT3_T4_EUlimE_EEvlNS_15PhiloxCudaStateET1_SK_
    .private_segment_fixed_size: 0
    .sgpr_count:     25
    .sgpr_spill_count: 0
    .symbol:         _ZN2at6native12_GLOBAL__N_143distribution_elementwise_grid_stride_kernelImLi2EZZZNS0_9templates4cuda13random_kernelIPNS_17CUDAGeneratorImplEEEvRNS_18TensorIteratorBaseET_ENKUlvE_clEvENKUlvE8_clEvEUlP25hiprandStatePhilox4_32_10E_ZNS1_27distribution_nullary_kernelIbm15HIP_vector_typeIyLj2EES7_SF_ZZZNS5_IS7_EEvS9_SA_ENKSB_clEvENKSC_clEvEUlmE_EEvS9_T2_RKT3_T4_EUlimE_EEvlNS_15PhiloxCudaStateET1_SK_.kd
    .uniform_work_group_size: 1
    .uses_dynamic_stack: false
    .vgpr_count:     43
    .vgpr_spill_count: 0
    .wavefront_size: 32
    .workgroup_processor_mode: 1
  - .args:
      - .offset:         0
        .size:           8
        .value_kind:     by_value
      - .offset:         8
        .size:           32
        .value_kind:     by_value
      - .offset:         40
        .size:           1
        .value_kind:     by_value
      - .offset:         48
        .size:           280
        .value_kind:     by_value
      - .offset:         328
        .size:           4
        .value_kind:     hidden_block_count_x
      - .offset:         332
        .size:           4
        .value_kind:     hidden_block_count_y
      - .offset:         336
        .size:           4
        .value_kind:     hidden_block_count_z
      - .offset:         340
        .size:           2
        .value_kind:     hidden_group_size_x
      - .offset:         342
        .size:           2
        .value_kind:     hidden_group_size_y
      - .offset:         344
        .size:           2
        .value_kind:     hidden_group_size_z
      - .offset:         346
        .size:           2
        .value_kind:     hidden_remainder_x
      - .offset:         348
        .size:           2
        .value_kind:     hidden_remainder_y
      - .offset:         350
        .size:           2
        .value_kind:     hidden_remainder_z
      - .offset:         368
        .size:           8
        .value_kind:     hidden_global_offset_x
      - .offset:         376
        .size:           8
        .value_kind:     hidden_global_offset_y
      - .offset:         384
        .size:           8
        .value_kind:     hidden_global_offset_z
      - .offset:         392
        .size:           2
        .value_kind:     hidden_grid_dims
    .group_segment_fixed_size: 0
    .kernarg_segment_align: 8
    .kernarg_segment_size: 584
    .language:       OpenCL C
    .language_version:
      - 2
      - 0
    .max_flat_workgroup_size: 256
    .name:           _ZN2at6native12_GLOBAL__N_143distribution_elementwise_grid_stride_kernelImLi2EZZZNS0_9templates4cuda13random_kernelIPNS_17CUDAGeneratorImplEEEvRNS_18TensorIteratorBaseET_ENKUlvE_clEvENKUlvE8_clEvEUlP25hiprandStatePhilox4_32_10E_ZNS1_27distribution_nullary_kernelIbm15HIP_vector_typeIyLj2EES7_SF_ZZZNS5_IS7_EEvS9_SA_ENKSB_clEvENKSC_clEvEUlmE_EEvS9_T2_RKT3_T4_EUlimE0_EEvlNS_15PhiloxCudaStateET1_SK_
    .private_segment_fixed_size: 0
    .sgpr_count:     54
    .sgpr_spill_count: 0
    .symbol:         _ZN2at6native12_GLOBAL__N_143distribution_elementwise_grid_stride_kernelImLi2EZZZNS0_9templates4cuda13random_kernelIPNS_17CUDAGeneratorImplEEEvRNS_18TensorIteratorBaseET_ENKUlvE_clEvENKUlvE8_clEvEUlP25hiprandStatePhilox4_32_10E_ZNS1_27distribution_nullary_kernelIbm15HIP_vector_typeIyLj2EES7_SF_ZZZNS5_IS7_EEvS9_SA_ENKSB_clEvENKSC_clEvEUlmE_EEvS9_T2_RKT3_T4_EUlimE0_EEvlNS_15PhiloxCudaStateET1_SK_.kd
    .uniform_work_group_size: 1
    .uses_dynamic_stack: false
    .vgpr_count:     41
    .vgpr_spill_count: 0
    .wavefront_size: 32
    .workgroup_processor_mode: 1
  - .args:
      - .offset:         0
        .size:           8
        .value_kind:     by_value
      - .offset:         8
        .size:           32
        .value_kind:     by_value
      - .offset:         40
        .size:           1
        .value_kind:     by_value
      - .offset:         48
        .size:           16
        .value_kind:     by_value
      - .offset:         64
        .size:           4
        .value_kind:     hidden_block_count_x
      - .offset:         68
        .size:           4
        .value_kind:     hidden_block_count_y
      - .offset:         72
        .size:           4
        .value_kind:     hidden_block_count_z
      - .offset:         76
        .size:           2
        .value_kind:     hidden_group_size_x
      - .offset:         78
        .size:           2
        .value_kind:     hidden_group_size_y
      - .offset:         80
        .size:           2
        .value_kind:     hidden_group_size_z
      - .offset:         82
        .size:           2
        .value_kind:     hidden_remainder_x
      - .offset:         84
        .size:           2
        .value_kind:     hidden_remainder_y
      - .offset:         86
        .size:           2
        .value_kind:     hidden_remainder_z
      - .offset:         104
        .size:           8
        .value_kind:     hidden_global_offset_x
      - .offset:         112
        .size:           8
        .value_kind:     hidden_global_offset_y
      - .offset:         120
        .size:           8
        .value_kind:     hidden_global_offset_z
      - .offset:         128
        .size:           2
        .value_kind:     hidden_grid_dims
    .group_segment_fixed_size: 0
    .kernarg_segment_align: 8
    .kernarg_segment_size: 320
    .language:       OpenCL C
    .language_version:
      - 2
      - 0
    .max_flat_workgroup_size: 256
    .name:           _ZN2at6native12_GLOBAL__N_143distribution_elementwise_grid_stride_kernelIjLi4EZZZNS0_9templates4cuda13random_kernelIPNS_17CUDAGeneratorImplEEEvRNS_18TensorIteratorBaseET_ENKUlvE_clEvENKUlvE8_clEvEUlP25hiprandStatePhilox4_32_10E0_ZNS1_27distribution_nullary_kernelIbj15HIP_vector_typeIjLj4EES7_SF_ZZZNS5_IS7_EEvS9_SA_ENKSB_clEvENKSC_clEvEUljE_EEvS9_T2_RKT3_T4_EUlijE_EEvlNS_15PhiloxCudaStateET1_SK_
    .private_segment_fixed_size: 0
    .sgpr_count:     25
    .sgpr_spill_count: 0
    .symbol:         _ZN2at6native12_GLOBAL__N_143distribution_elementwise_grid_stride_kernelIjLi4EZZZNS0_9templates4cuda13random_kernelIPNS_17CUDAGeneratorImplEEEvRNS_18TensorIteratorBaseET_ENKUlvE_clEvENKUlvE8_clEvEUlP25hiprandStatePhilox4_32_10E0_ZNS1_27distribution_nullary_kernelIbj15HIP_vector_typeIjLj4EES7_SF_ZZZNS5_IS7_EEvS9_SA_ENKSB_clEvENKSC_clEvEUljE_EEvS9_T2_RKT3_T4_EUlijE_EEvlNS_15PhiloxCudaStateET1_SK_.kd
    .uniform_work_group_size: 1
    .uses_dynamic_stack: false
    .vgpr_count:     44
    .vgpr_spill_count: 0
    .wavefront_size: 32
    .workgroup_processor_mode: 1
  - .args:
      - .offset:         0
        .size:           8
        .value_kind:     by_value
      - .offset:         8
        .size:           32
        .value_kind:     by_value
      - .offset:         40
        .size:           1
        .value_kind:     by_value
      - .offset:         48
        .size:           280
        .value_kind:     by_value
      - .offset:         328
        .size:           4
        .value_kind:     hidden_block_count_x
      - .offset:         332
        .size:           4
        .value_kind:     hidden_block_count_y
      - .offset:         336
        .size:           4
        .value_kind:     hidden_block_count_z
      - .offset:         340
        .size:           2
        .value_kind:     hidden_group_size_x
      - .offset:         342
        .size:           2
        .value_kind:     hidden_group_size_y
      - .offset:         344
        .size:           2
        .value_kind:     hidden_group_size_z
      - .offset:         346
        .size:           2
        .value_kind:     hidden_remainder_x
      - .offset:         348
        .size:           2
        .value_kind:     hidden_remainder_y
      - .offset:         350
        .size:           2
        .value_kind:     hidden_remainder_z
      - .offset:         368
        .size:           8
        .value_kind:     hidden_global_offset_x
      - .offset:         376
        .size:           8
        .value_kind:     hidden_global_offset_y
      - .offset:         384
        .size:           8
        .value_kind:     hidden_global_offset_z
      - .offset:         392
        .size:           2
        .value_kind:     hidden_grid_dims
    .group_segment_fixed_size: 0
    .kernarg_segment_align: 8
    .kernarg_segment_size: 584
    .language:       OpenCL C
    .language_version:
      - 2
      - 0
    .max_flat_workgroup_size: 256
    .name:           _ZN2at6native12_GLOBAL__N_143distribution_elementwise_grid_stride_kernelIjLi4EZZZNS0_9templates4cuda13random_kernelIPNS_17CUDAGeneratorImplEEEvRNS_18TensorIteratorBaseET_ENKUlvE_clEvENKUlvE8_clEvEUlP25hiprandStatePhilox4_32_10E0_ZNS1_27distribution_nullary_kernelIbj15HIP_vector_typeIjLj4EES7_SF_ZZZNS5_IS7_EEvS9_SA_ENKSB_clEvENKSC_clEvEUljE_EEvS9_T2_RKT3_T4_EUlijE0_EEvlNS_15PhiloxCudaStateET1_SK_
    .private_segment_fixed_size: 0
    .sgpr_count:     58
    .sgpr_spill_count: 0
    .symbol:         _ZN2at6native12_GLOBAL__N_143distribution_elementwise_grid_stride_kernelIjLi4EZZZNS0_9templates4cuda13random_kernelIPNS_17CUDAGeneratorImplEEEvRNS_18TensorIteratorBaseET_ENKUlvE_clEvENKUlvE8_clEvEUlP25hiprandStatePhilox4_32_10E0_ZNS1_27distribution_nullary_kernelIbj15HIP_vector_typeIjLj4EES7_SF_ZZZNS5_IS7_EEvS9_SA_ENKSB_clEvENKSC_clEvEUljE_EEvS9_T2_RKT3_T4_EUlijE0_EEvlNS_15PhiloxCudaStateET1_SK_.kd
    .uniform_work_group_size: 1
    .uses_dynamic_stack: false
    .vgpr_count:     44
    .vgpr_spill_count: 0
    .wavefront_size: 32
    .workgroup_processor_mode: 1
amdhsa.target:   amdgcn-amd-amdhsa--gfx1100
amdhsa.version:
  - 1
  - 2
...

	.end_amdgpu_metadata
